;; amdgpu-corpus repo=ROCm/rocSPARSE kind=compiled arch=gfx90a opt=O3
	.text
	.amdgcn_target "amdgcn-amd-amdhsa--gfx90a"
	.amdhsa_code_object_version 6
	.section	.text._ZN9rocsparseL18bsrxmvn_4x4_kernelILj128ELj4EfiifffEEvT3_20rocsparse_direction_NS_24const_host_device_scalarIT1_EES1_PKS1_PKT2_SA_S7_PKT4_PKT5_S5_PT6_21rocsparse_index_base_b,"axG",@progbits,_ZN9rocsparseL18bsrxmvn_4x4_kernelILj128ELj4EfiifffEEvT3_20rocsparse_direction_NS_24const_host_device_scalarIT1_EES1_PKS1_PKT2_SA_S7_PKT4_PKT5_S5_PT6_21rocsparse_index_base_b,comdat
	.globl	_ZN9rocsparseL18bsrxmvn_4x4_kernelILj128ELj4EfiifffEEvT3_20rocsparse_direction_NS_24const_host_device_scalarIT1_EES1_PKS1_PKT2_SA_S7_PKT4_PKT5_S5_PT6_21rocsparse_index_base_b ; -- Begin function _ZN9rocsparseL18bsrxmvn_4x4_kernelILj128ELj4EfiifffEEvT3_20rocsparse_direction_NS_24const_host_device_scalarIT1_EES1_PKS1_PKT2_SA_S7_PKT4_PKT5_S5_PT6_21rocsparse_index_base_b
	.p2align	8
	.type	_ZN9rocsparseL18bsrxmvn_4x4_kernelILj128ELj4EfiifffEEvT3_20rocsparse_direction_NS_24const_host_device_scalarIT1_EES1_PKS1_PKT2_SA_S7_PKT4_PKT5_S5_PT6_21rocsparse_index_base_b,@function
_ZN9rocsparseL18bsrxmvn_4x4_kernelILj128ELj4EfiifffEEvT3_20rocsparse_direction_NS_24const_host_device_scalarIT1_EES1_PKS1_PKT2_SA_S7_PKT4_PKT5_S5_PT6_21rocsparse_index_base_b: ; @_ZN9rocsparseL18bsrxmvn_4x4_kernelILj128ELj4EfiifffEEvT3_20rocsparse_direction_NS_24const_host_device_scalarIT1_EES1_PKS1_PKT2_SA_S7_PKT4_PKT5_S5_PT6_21rocsparse_index_base_b
; %bb.0:
	s_load_dwordx2 s[18:19], s[4:5], 0x58
	s_load_dwordx2 s[2:3], s[4:5], 0x8
	;; [unrolled: 1-line block ×3, first 2 shown]
	s_waitcnt lgkmcnt(0)
	s_bitcmp1_b32 s19, 0
	s_cselect_b64 s[8:9], -1, 0
	s_xor_b64 s[0:1], s[8:9], -1
	s_and_b64 vcc, exec, s[8:9]
	s_cbranch_vccnz .LBB0_2
; %bb.1:
	s_load_dword s2, s[2:3], 0x0
.LBB0_2:
	s_andn2_b64 vcc, exec, s[0:1]
	s_cbranch_vccnz .LBB0_4
; %bb.3:
	s_load_dword s16, s[16:17], 0x0
.LBB0_4:
	s_waitcnt lgkmcnt(0)
	v_cmp_neq_f32_e64 s[0:1], s2, 0
	v_cmp_neq_f32_e64 s[8:9], s16, 1.0
	s_or_b64 s[0:1], s[0:1], s[8:9]
	s_andn2_b64 vcc, exec, s[0:1]
	s_cbranch_vccnz .LBB0_10
; %bb.5:
	s_load_dwordx2 s[8:9], s[4:5], 0x18
	s_load_dwordx2 s[0:1], s[4:5], 0x0
	v_lshrrev_b32_e32 v1, 2, v0
	v_lshl_or_b32 v12, s6, 5, v1
	s_mov_b64 s[6:7], 0
	s_waitcnt lgkmcnt(0)
	s_cmp_lg_u64 s[8:9], 0
	s_cbranch_scc0 .LBB0_11
; %bb.6:
	s_load_dword s3, s[4:5], 0x10
                                        ; implicit-def: $vgpr1
	s_waitcnt lgkmcnt(0)
	v_cmp_gt_i32_e32 vcc, s3, v12
	s_and_saveexec_b64 s[10:11], vcc
	s_xor_b64 s[10:11], exec, s[10:11]
	s_cbranch_execz .LBB0_8
; %bb.7:
	v_ashrrev_i32_e32 v13, 31, v12
	v_lshlrev_b64 v[2:3], 2, v[12:13]
	v_mov_b32_e32 v1, s9
	v_add_co_u32_e32 v2, vcc, s8, v2
	v_addc_co_u32_e32 v3, vcc, v1, v3, vcc
	global_load_dword v1, v[2:3], off
	s_mov_b64 s[6:7], exec
	s_waitcnt vmcnt(0)
	v_subrev_u32_e32 v1, s18, v1
.LBB0_8:
	s_or_b64 exec, exec, s[10:11]
	s_branch .LBB0_12
.LBB0_9:
	v_cmp_gt_i32_e32 vcc, s0, v12
	s_andn2_b64 s[6:7], s[6:7], exec
	s_and_b64 s[8:9], vcc, exec
	s_or_b64 s[6:7], s[6:7], s[8:9]
	s_and_saveexec_b64 s[8:9], s[6:7]
	s_cbranch_execnz .LBB0_13
.LBB0_10:
	s_endpgm
.LBB0_11:
                                        ; implicit-def: $vgpr1
	s_cbranch_execnz .LBB0_9
.LBB0_12:
	v_mov_b32_e32 v12, v1
	s_and_saveexec_b64 s[8:9], s[6:7]
	s_cbranch_execz .LBB0_10
.LBB0_13:
	s_load_dwordx8 s[8:15], s[4:5], 0x20
	v_ashrrev_i32_e32 v13, 31, v12
	v_lshlrev_b64 v[2:3], 2, v[12:13]
	v_and_b32_e32 v13, 3, v0
	s_load_dwordx2 s[6:7], s[4:5], 0x40
	s_waitcnt lgkmcnt(0)
	v_mov_b32_e32 v1, s9
	v_add_co_u32_e32 v4, vcc, s8, v2
	v_addc_co_u32_e32 v5, vcc, v1, v3, vcc
	v_add_co_u32_e32 v1, vcc, 4, v4
	global_load_dword v27, v[4:5], off
	v_addc_co_u32_e32 v4, vcc, 0, v5, vcc
	v_mov_b32_e32 v5, s11
	v_add_co_u32_e32 v2, vcc, s10, v2
	s_cmp_eq_u64 s[10:11], 0
	v_addc_co_u32_e32 v3, vcc, v5, v3, vcc
	s_cselect_b64 vcc, -1, 0
	v_cndmask_b32_e32 v3, v3, v4, vcc
	v_cndmask_b32_e32 v2, v2, v1, vcc
	global_load_dword v1, v[2:3], off
	v_mov_b32_e32 v2, s15
	s_cmp_eq_u32 s1, 1
	s_waitcnt vmcnt(1)
	v_subrev_u32_e32 v0, s18, v27
	v_add_u32_e32 v14, v0, v13
	v_ashrrev_i32_e32 v15, 31, v14
	s_waitcnt vmcnt(0)
	v_subrev_u32_e32 v26, s18, v1
	v_lshlrev_b64 v[0:1], 6, v[14:15]
	v_add_co_u32_e32 v16, vcc, s14, v0
	v_addc_co_u32_e32 v17, vcc, v2, v1, vcc
	v_cmp_lt_i32_e64 s[0:1], v14, v26
	s_cbranch_scc1 .LBB0_25
; %bb.14:
	s_mov_b32 s10, 0
	v_mov_b32_e32 v19, 0
	v_mov_b32_e32 v18, 0
	;; [unrolled: 1-line block ×4, first 2 shown]
	s_and_saveexec_b64 s[8:9], s[0:1]
	s_cbranch_execz .LBB0_24
; %bb.15:
	v_add_u32_e32 v0, v27, v13
	v_subrev_u32_e32 v0, s18, v0
	v_add_u32_e32 v0, 4, v0
	v_max_i32_e32 v0, v0, v26
	v_not_b32_e32 v1, v27
	v_add3_u32 v0, v0, s18, v1
	v_sub_u32_e32 v0, v0, v13
	v_lshrrev_b32_e32 v1, 2, v0
	v_add_u32_e32 v1, 1, v1
	v_and_b32_e32 v1, 3, v1
	s_mov_b32 s11, s10
	v_cmp_ne_u32_e32 vcc, 0, v1
	v_pk_mov_b32 v[18:19], s[10:11], s[10:11] op_sel:[0,1]
	v_pk_mov_b32 v[20:21], s[10:11], s[10:11] op_sel:[0,1]
	v_mov_b32_e32 v22, v14
	v_pk_mov_b32 v[24:25], v[16:17], v[16:17] op_sel:[0,1]
	s_and_saveexec_b64 s[10:11], vcc
	s_cbranch_execz .LBB0_19
; %bb.16:
	v_mov_b32_e32 v20, 0
	v_lshlrev_b32_e32 v1, 6, v1
	s_mov_b64 s[14:15], 0
	v_mov_b32_e32 v2, s13
	v_mov_b32_e32 v3, s7
	v_pk_mov_b32 v[24:25], v[16:17], v[16:17] op_sel:[0,1]
	v_mov_b32_e32 v22, v14
	v_mov_b32_e32 v21, v20
	;; [unrolled: 1-line block ×4, first 2 shown]
.LBB0_17:                               ; =>This Inner Loop Header: Depth=1
	v_ashrrev_i32_e32 v23, 31, v22
	v_lshlrev_b64 v[4:5], 2, v[22:23]
	v_add_co_u32_e32 v36, vcc, s12, v4
	v_addc_co_u32_e32 v37, vcc, v2, v5, vcc
	global_load_dword v15, v[36:37], off
	global_load_dwordx4 v[4:7], v[24:25], off
	global_load_dwordx4 v[8:11], v[24:25], off offset:16
	global_load_dwordx4 v[28:31], v[24:25], off offset:48
	;; [unrolled: 1-line block ×3, first 2 shown]
	v_subrev_u32_e32 v1, 64, v1
	v_add_u32_e32 v22, 4, v22
	s_waitcnt vmcnt(4)
	v_subrev_u32_e32 v15, s18, v15
	v_lshlrev_b32_e32 v36, 2, v15
	v_ashrrev_i32_e32 v37, 31, v36
	v_lshlrev_b64 v[36:37], 2, v[36:37]
	v_add_co_u32_e32 v36, vcc, s6, v36
	v_addc_co_u32_e32 v37, vcc, v3, v37, vcc
	global_load_dwordx4 v[36:39], v[36:37], off
	s_waitcnt vmcnt(4)
	v_mov_b32_e32 v40, v4
	s_waitcnt vmcnt(3)
	v_mov_b32_e32 v41, v8
	v_mov_b32_e32 v8, v5
	;; [unrolled: 1-line block ×5, first 2 shown]
	s_waitcnt vmcnt(1)
	v_mov_b32_e32 v6, v32
	v_mov_b32_e32 v7, v28
	v_add_co_u32_e32 v24, vcc, 0x100, v24
	v_mov_b32_e32 v28, v33
	v_addc_co_u32_e32 v25, vcc, 0, v25, vcc
	v_mov_b32_e32 v32, v34
	v_mov_b32_e32 v33, v30
	v_cmp_eq_u32_e32 vcc, 0, v1
	v_mov_b32_e32 v30, v35
	s_or_b64 s[14:15], vcc, s[14:15]
	s_waitcnt vmcnt(0)
	v_pk_fma_f32 v[20:21], v[40:41], v[36:37], v[20:21] op_sel_hi:[1,0,1]
	v_pk_fma_f32 v[6:7], v[6:7], v[36:37], v[18:19] op_sel_hi:[1,0,1]
	v_pk_fma_f32 v[8:9], v[8:9], v[36:37], v[20:21] op_sel:[0,1,0]
	v_pk_fma_f32 v[6:7], v[28:29], v[36:37], v[6:7] op_sel:[0,1,0]
	v_mov_b32_e32 v34, v39
	v_pk_fma_f32 v[4:5], v[4:5], v[38:39], v[8:9] op_sel_hi:[1,0,1]
	v_pk_fma_f32 v[6:7], v[32:33], v[38:39], v[6:7] op_sel_hi:[1,0,1]
	;; [unrolled: 1-line block ×4, first 2 shown]
	s_andn2_b64 exec, exec, s[14:15]
	s_cbranch_execnz .LBB0_17
; %bb.18:
	s_or_b64 exec, exec, s[14:15]
.LBB0_19:
	s_or_b64 exec, exec, s[10:11]
	v_cmp_lt_u32_e32 vcc, 11, v0
	s_and_saveexec_b64 s[10:11], vcc
	s_cbranch_execz .LBB0_23
; %bb.20:
	s_mov_b64 s[14:15], 0
	v_mov_b32_e32 v15, s13
	v_mov_b32_e32 v28, s7
.LBB0_21:                               ; =>This Inner Loop Header: Depth=1
	global_load_dwordx4 v[0:3], v[24:25], off offset:48
	global_load_dwordx4 v[30:33], v[24:25], off offset:32
	;; [unrolled: 1-line block ×3, first 2 shown]
	global_load_dwordx4 v[34:37], v[24:25], off
	global_load_dwordx4 v[8:11], v[24:25], off offset:304
	v_ashrrev_i32_e32 v23, 31, v22
	v_lshlrev_b64 v[38:39], 2, v[22:23]
	v_add_co_u32_e32 v82, vcc, s12, v38
	v_addc_co_u32_e32 v83, vcc, v15, v39, vcc
	global_load_dword v23, v[82:83], off
	global_load_dword v29, v[82:83], off offset:16
	global_load_dword v84, v[82:83], off offset:32
	;; [unrolled: 1-line block ×3, first 2 shown]
	global_load_dwordx4 v[38:41], v[24:25], off offset:288
	global_load_dwordx4 v[42:45], v[24:25], off offset:272
	;; [unrolled: 1-line block ×11, first 2 shown]
	v_add_co_u32_e32 v24, vcc, 0x400, v24
	v_add_u32_e32 v22, 16, v22
	v_addc_co_u32_e32 v25, vcc, 0, v25, vcc
	v_cmp_ge_i32_e32 vcc, v22, v26
	s_or_b64 s[14:15], vcc, s[14:15]
	s_waitcnt vmcnt(14)
	v_subrev_u32_e32 v23, s18, v23
	v_lshlrev_b32_e32 v82, 2, v23
	s_waitcnt vmcnt(13)
	v_subrev_u32_e32 v29, s18, v29
	s_waitcnt vmcnt(11)
	v_subrev_u32_e32 v83, s18, v85
	v_lshlrev_b32_e32 v88, 2, v83
	v_ashrrev_i32_e32 v83, 31, v82
	v_mov_b32_e32 v98, v34
	v_subrev_u32_e32 v34, s18, v84
	v_lshlrev_b32_e32 v84, 2, v29
	v_lshlrev_b64 v[82:83], 2, v[82:83]
	v_ashrrev_i32_e32 v85, 31, v84
	v_add_co_u32_e32 v100, vcc, s6, v82
	v_lshlrev_b32_e32 v86, 2, v34
	v_lshlrev_b64 v[84:85], 2, v[84:85]
	v_addc_co_u32_e32 v101, vcc, v28, v83, vcc
	v_ashrrev_i32_e32 v87, 31, v86
	v_add_co_u32_e32 v102, vcc, s6, v84
	v_lshlrev_b64 v[86:87], 2, v[86:87]
	v_addc_co_u32_e32 v103, vcc, v28, v85, vcc
	v_ashrrev_i32_e32 v89, 31, v88
	v_add_co_u32_e32 v104, vcc, s6, v86
	v_lshlrev_b64 v[88:89], 2, v[88:89]
	v_addc_co_u32_e32 v105, vcc, v28, v87, vcc
	v_add_co_u32_e32 v106, vcc, s6, v88
	v_addc_co_u32_e32 v107, vcc, v28, v89, vcc
	global_load_dwordx4 v[82:85], v[100:101], off
	global_load_dwordx4 v[86:89], v[102:103], off
	;; [unrolled: 1-line block ×4, first 2 shown]
	v_mov_b32_e32 v99, v4
	v_mov_b32_e32 v100, v30
	;; [unrolled: 1-line block ×11, first 2 shown]
	s_waitcnt vmcnt(12)
	v_mov_b32_e32 v32, v46
	v_mov_b32_e32 v46, v38
	v_mov_b32_e32 v38, v40
	s_waitcnt vmcnt(8)
	v_mov_b32_e32 v40, v62
	v_mov_b32_e32 v62, v54
	v_mov_b32_e32 v54, v56
	;; [unrolled: 4-line block ×3, first 2 shown]
	v_mov_b32_e32 v33, v42
	v_mov_b32_e32 v42, v47
	;; [unrolled: 1-line block ×27, first 2 shown]
	s_waitcnt vmcnt(3)
	v_pk_fma_f32 v[20:21], v[98:99], v[82:83], v[20:21] op_sel_hi:[1,0,1]
	v_pk_fma_f32 v[18:19], v[100:101], v[82:83], v[18:19] op_sel_hi:[1,0,1]
	v_pk_fma_f32 v[4:5], v[4:5], v[82:83], v[20:21] op_sel:[0,1,0]
	v_pk_fma_f32 v[0:1], v[0:1], v[82:83], v[18:19] op_sel:[0,1,0]
	v_mov_b32_e32 v72, v85
	v_pk_fma_f32 v[4:5], v[34:35], v[84:85], v[4:5] op_sel_hi:[1,0,1]
	v_pk_fma_f32 v[0:1], v[30:31], v[84:85], v[0:1] op_sel_hi:[1,0,1]
	v_pk_fma_f32 v[4:5], v[6:7], v[72:73], v[4:5] op_sel_hi:[1,0,1]
	v_pk_fma_f32 v[0:1], v[2:3], v[72:73], v[0:1] op_sel_hi:[1,0,1]
	s_waitcnt vmcnt(2)
	v_pk_fma_f32 v[2:3], v[32:33], v[86:87], v[4:5] op_sel_hi:[1,0,1]
	v_pk_fma_f32 v[0:1], v[46:47], v[86:87], v[0:1] op_sel_hi:[1,0,1]
	v_pk_fma_f32 v[2:3], v[42:43], v[86:87], v[2:3] op_sel:[0,1,0]
	v_pk_fma_f32 v[0:1], v[8:9], v[86:87], v[0:1] op_sel:[0,1,0]
	v_mov_b32_e32 v80, v89
	v_pk_fma_f32 v[2:3], v[36:37], v[88:89], v[2:3] op_sel_hi:[1,0,1]
	v_pk_fma_f32 v[0:1], v[38:39], v[88:89], v[0:1] op_sel_hi:[1,0,1]
	v_pk_fma_f32 v[2:3], v[44:45], v[80:81], v[2:3] op_sel_hi:[1,0,1]
	v_pk_fma_f32 v[0:1], v[10:11], v[80:81], v[0:1] op_sel_hi:[1,0,1]
	;; [unrolled: 10-line block ×4, first 2 shown]
	s_andn2_b64 exec, exec, s[14:15]
	s_cbranch_execnz .LBB0_21
; %bb.22:
	s_or_b64 exec, exec, s[14:15]
.LBB0_23:
	s_or_b64 exec, exec, s[10:11]
.LBB0_24:
	s_or_b64 exec, exec, s[8:9]
	s_cbranch_execz .LBB0_26
	s_branch .LBB0_37
.LBB0_25:
                                        ; implicit-def: $vgpr19
                                        ; implicit-def: $vgpr21
.LBB0_26:
	s_mov_b32 s10, 0
	v_mov_b32_e32 v19, 0
	v_mov_b32_e32 v18, 0
	;; [unrolled: 1-line block ×4, first 2 shown]
	s_and_saveexec_b64 s[8:9], s[0:1]
	s_cbranch_execz .LBB0_36
; %bb.27:
	v_add_u32_e32 v0, v27, v13
	v_subrev_u32_e32 v0, s18, v0
	v_add_u32_e32 v0, 4, v0
	v_max_i32_e32 v0, v0, v26
	v_not_b32_e32 v1, v27
	v_add3_u32 v0, v0, s18, v1
	v_sub_u32_e32 v0, v0, v13
	v_lshrrev_b32_e32 v1, 2, v0
	v_add_u32_e32 v1, 1, v1
	v_and_b32_e32 v1, 3, v1
	s_mov_b32 s11, s10
	v_cmp_ne_u32_e32 vcc, 0, v1
	v_pk_mov_b32 v[18:19], s[10:11], s[10:11] op_sel:[0,1]
	v_pk_mov_b32 v[20:21], s[10:11], s[10:11] op_sel:[0,1]
	s_and_saveexec_b64 s[0:1], vcc
	s_cbranch_execz .LBB0_31
; %bb.28:
	v_mov_b32_e32 v20, 0
	v_lshlrev_b32_e32 v1, 6, v1
	s_mov_b64 s[10:11], 0
	v_mov_b32_e32 v2, s13
	v_mov_b32_e32 v3, s7
	;; [unrolled: 1-line block ×5, first 2 shown]
.LBB0_29:                               ; =>This Inner Loop Header: Depth=1
	v_ashrrev_i32_e32 v15, 31, v14
	v_lshlrev_b64 v[4:5], 2, v[14:15]
	v_add_co_u32_e32 v22, vcc, s12, v4
	v_addc_co_u32_e32 v23, vcc, v2, v5, vcc
	global_load_dword v15, v[22:23], off
	global_load_dwordx4 v[4:7], v[16:17], off offset:16
	global_load_dwordx4 v[8:11], v[16:17], off
	v_subrev_u32_e32 v1, 64, v1
	v_add_u32_e32 v14, 4, v14
	s_waitcnt vmcnt(2)
	v_subrev_u32_e32 v15, s18, v15
	v_lshlrev_b32_e32 v22, 2, v15
	v_ashrrev_i32_e32 v23, 31, v22
	v_lshlrev_b64 v[22:23], 2, v[22:23]
	v_add_co_u32_e32 v36, vcc, s6, v22
	v_addc_co_u32_e32 v37, vcc, v3, v23, vcc
	global_load_dwordx4 v[22:25], v[36:37], off
	global_load_dwordx4 v[28:31], v[16:17], off offset:32
	global_load_dwordx4 v[32:35], v[16:17], off offset:48
	v_add_co_u32_e32 v16, vcc, 0x100, v16
	v_addc_co_u32_e32 v17, vcc, 0, v17, vcc
	v_cmp_eq_u32_e32 vcc, 0, v1
	s_or_b64 s[10:11], vcc, s[10:11]
	s_waitcnt vmcnt(2)
	v_pk_fma_f32 v[8:9], v[8:9], v[22:23], v[20:21] op_sel_hi:[1,0,1]
	v_pk_fma_f32 v[10:11], v[10:11], v[22:23], v[18:19] op_sel_hi:[1,0,1]
	v_pk_fma_f32 v[4:5], v[4:5], v[22:23], v[8:9] op_sel:[0,1,0]
	v_pk_fma_f32 v[6:7], v[6:7], v[22:23], v[10:11] op_sel:[0,1,0]
	v_mov_b32_e32 v36, v25
	s_waitcnt vmcnt(1)
	v_pk_fma_f32 v[4:5], v[28:29], v[24:25], v[4:5] op_sel_hi:[1,0,1]
	v_pk_fma_f32 v[6:7], v[30:31], v[24:25], v[6:7] op_sel_hi:[1,0,1]
	s_waitcnt vmcnt(0)
	v_pk_fma_f32 v[20:21], v[32:33], v[36:37], v[4:5] op_sel_hi:[1,0,1]
	v_pk_fma_f32 v[18:19], v[34:35], v[36:37], v[6:7] op_sel_hi:[1,0,1]
	s_andn2_b64 exec, exec, s[10:11]
	s_cbranch_execnz .LBB0_29
; %bb.30:
	s_or_b64 exec, exec, s[10:11]
.LBB0_31:
	s_or_b64 exec, exec, s[0:1]
	v_cmp_lt_u32_e32 vcc, 11, v0
	s_and_saveexec_b64 s[0:1], vcc
	s_cbranch_execz .LBB0_35
; %bb.32:
	s_mov_b64 s[10:11], 0
	v_mov_b32_e32 v0, s13
	v_mov_b32_e32 v1, s7
.LBB0_33:                               ; =>This Inner Loop Header: Depth=1
	v_ashrrev_i32_e32 v15, 31, v14
	v_lshlrev_b64 v[2:3], 2, v[14:15]
	v_add_co_u32_e32 v10, vcc, s12, v2
	v_addc_co_u32_e32 v11, vcc, v0, v3, vcc
	global_load_dword v15, v[10:11], off
	global_load_dword v27, v[10:11], off offset:16
	global_load_dword v72, v[10:11], off offset:32
	;; [unrolled: 1-line block ×3, first 2 shown]
	global_load_dwordx4 v[2:5], v[16:17], off offset:48
	global_load_dwordx4 v[6:9], v[16:17], off offset:32
	;; [unrolled: 1-line block ×3, first 2 shown]
	global_load_dwordx4 v[28:31], v[16:17], off
	global_load_dwordx4 v[32:35], v[16:17], off offset:304
	global_load_dwordx4 v[36:39], v[16:17], off offset:288
	;; [unrolled: 1-line block ×7, first 2 shown]
                                        ; kill: killed $vgpr10 killed $vgpr11
	global_load_dwordx4 v[60:63], v[16:17], off offset:512
	global_load_dwordx4 v[64:67], v[16:17], off offset:784
	;; [unrolled: 1-line block ×3, first 2 shown]
	v_add_u32_e32 v14, 16, v14
	s_waitcnt vmcnt(17)
	v_subrev_u32_e32 v10, s18, v15
	s_waitcnt vmcnt(16)
	v_subrev_u32_e32 v11, s18, v27
	v_lshlrev_b32_e32 v10, 2, v10
	s_waitcnt vmcnt(15)
	v_subrev_u32_e32 v15, s18, v72
	v_lshlrev_b32_e32 v72, 2, v11
	v_ashrrev_i32_e32 v11, 31, v10
	v_lshlrev_b64 v[10:11], 2, v[10:11]
	s_waitcnt vmcnt(14)
	v_subrev_u32_e32 v27, s18, v73
	v_ashrrev_i32_e32 v73, 31, v72
	v_add_co_u32_e32 v10, vcc, s6, v10
	v_lshlrev_b32_e32 v74, 2, v15
	v_lshlrev_b64 v[72:73], 2, v[72:73]
	v_addc_co_u32_e32 v11, vcc, v1, v11, vcc
	v_ashrrev_i32_e32 v75, 31, v74
	v_add_co_u32_e32 v96, vcc, s6, v72
	v_lshlrev_b32_e32 v76, 2, v27
	v_lshlrev_b64 v[74:75], 2, v[74:75]
	v_addc_co_u32_e32 v97, vcc, v1, v73, vcc
	v_ashrrev_i32_e32 v77, 31, v76
	v_add_co_u32_e32 v98, vcc, s6, v74
	v_lshlrev_b64 v[76:77], 2, v[76:77]
	v_addc_co_u32_e32 v99, vcc, v1, v75, vcc
	v_add_co_u32_e32 v100, vcc, s6, v76
	v_addc_co_u32_e32 v101, vcc, v1, v77, vcc
	global_load_dwordx4 v[72:75], v[10:11], off
	global_load_dwordx4 v[76:79], v[96:97], off
	;; [unrolled: 1-line block ×4, first 2 shown]
	global_load_dwordx4 v[88:91], v[16:17], off offset:800
	global_load_dwordx4 v[92:95], v[16:17], off offset:816
	v_add_co_u32_e32 v16, vcc, 0x400, v16
	v_addc_co_u32_e32 v17, vcc, 0, v17, vcc
	v_cmp_ge_i32_e32 vcc, v14, v26
	s_or_b64 s[10:11], vcc, s[10:11]
	s_waitcnt vmcnt(5)
	v_pk_fma_f32 v[10:11], v[28:29], v[72:73], v[20:21] op_sel_hi:[1,0,1]
	v_pk_fma_f32 v[18:19], v[30:31], v[72:73], v[18:19] op_sel_hi:[1,0,1]
	v_pk_fma_f32 v[10:11], v[22:23], v[72:73], v[10:11] op_sel:[0,1,0]
	v_pk_fma_f32 v[18:19], v[24:25], v[72:73], v[18:19] op_sel:[0,1,0]
	v_mov_b32_e32 v20, v75
	v_pk_fma_f32 v[6:7], v[6:7], v[74:75], v[10:11] op_sel_hi:[1,0,1]
	v_pk_fma_f32 v[8:9], v[8:9], v[74:75], v[18:19] op_sel_hi:[1,0,1]
	v_pk_fma_f32 v[2:3], v[2:3], v[20:21], v[6:7] op_sel_hi:[1,0,1]
	v_pk_fma_f32 v[4:5], v[4:5], v[20:21], v[8:9] op_sel_hi:[1,0,1]
	s_waitcnt vmcnt(4)
	v_pk_fma_f32 v[2:3], v[44:45], v[76:77], v[2:3] op_sel_hi:[1,0,1]
	v_pk_fma_f32 v[4:5], v[46:47], v[76:77], v[4:5] op_sel_hi:[1,0,1]
	v_pk_fma_f32 v[2:3], v[40:41], v[76:77], v[2:3] op_sel:[0,1,0]
	v_pk_fma_f32 v[4:5], v[42:43], v[76:77], v[4:5] op_sel:[0,1,0]
	v_mov_b32_e32 v28, v79
	v_pk_fma_f32 v[2:3], v[36:37], v[78:79], v[2:3] op_sel_hi:[1,0,1]
	v_pk_fma_f32 v[4:5], v[38:39], v[78:79], v[4:5] op_sel_hi:[1,0,1]
	v_pk_fma_f32 v[2:3], v[32:33], v[28:29], v[2:3] op_sel_hi:[1,0,1]
	v_pk_fma_f32 v[4:5], v[34:35], v[28:29], v[4:5] op_sel_hi:[1,0,1]
	;; [unrolled: 10-line block ×3, first 2 shown]
	s_waitcnt vmcnt(2)
	v_pk_fma_f32 v[2:3], v[68:69], v[84:85], v[2:3] op_sel_hi:[1,0,1]
	v_pk_fma_f32 v[4:5], v[70:71], v[84:85], v[4:5] op_sel_hi:[1,0,1]
	v_pk_fma_f32 v[2:3], v[64:65], v[84:85], v[2:3] op_sel:[0,1,0]
	v_pk_fma_f32 v[4:5], v[66:67], v[84:85], v[4:5] op_sel:[0,1,0]
	v_mov_b32_e32 v96, v87
	s_waitcnt vmcnt(1)
	v_pk_fma_f32 v[2:3], v[88:89], v[86:87], v[2:3] op_sel_hi:[1,0,1]
	v_pk_fma_f32 v[4:5], v[90:91], v[86:87], v[4:5] op_sel_hi:[1,0,1]
	s_waitcnt vmcnt(0)
	v_pk_fma_f32 v[20:21], v[92:93], v[96:97], v[2:3] op_sel_hi:[1,0,1]
	v_pk_fma_f32 v[18:19], v[94:95], v[96:97], v[4:5] op_sel_hi:[1,0,1]
	s_andn2_b64 exec, exec, s[10:11]
	s_cbranch_execnz .LBB0_33
; %bb.34:
	s_or_b64 exec, exec, s[10:11]
.LBB0_35:
	s_or_b64 exec, exec, s[0:1]
.LBB0_36:
	s_or_b64 exec, exec, s[8:9]
.LBB0_37:
	v_mov_b32_dpp v0, v20 row_shr:1 row_mask:0xf bank_mask:0xf
	v_mov_b32_dpp v1, v21 row_shr:1 row_mask:0xf bank_mask:0xf
	;; [unrolled: 1-line block ×4, first 2 shown]
	v_pk_add_f32 v[0:1], v[20:21], v[0:1]
	v_pk_add_f32 v[4:5], v[18:19], v[4:5]
	v_cmp_eq_u32_e32 vcc, 3, v13
	v_mov_b32_dpp v2, v0 row_shr:2 row_mask:0xf bank_mask:0xf
	v_mov_b32_dpp v3, v1 row_shr:2 row_mask:0xf bank_mask:0xf
	;; [unrolled: 1-line block ×4, first 2 shown]
	s_and_b64 exec, exec, vcc
	s_cbranch_execz .LBB0_10
; %bb.38:
	s_load_dwordx2 s[0:1], s[4:5], 0x50
	v_cmp_eq_f32_e64 s[4:5], s16, 0
	v_pk_add_f32 v[2:3], v[0:1], v[2:3]
	v_pk_add_f32 v[0:1], v[4:5], v[6:7]
	s_and_b64 vcc, exec, s[4:5]
	v_lshlrev_b32_e32 v4, 2, v12
	s_cbranch_vccz .LBB0_40
; %bb.39:
	v_ashrrev_i32_e32 v5, 31, v4
	v_lshlrev_b64 v[6:7], 2, v[4:5]
	s_waitcnt lgkmcnt(0)
	v_mov_b32_e32 v5, s1
	v_add_co_u32_e32 v10, vcc, s0, v6
	v_addc_co_u32_e32 v11, vcc, v5, v7, vcc
	v_pk_mul_f32 v[6:7], s[2:3], v[2:3] op_sel_hi:[0,1]
	v_pk_mul_f32 v[8:9], s[2:3], v[0:1] op_sel_hi:[0,1]
	global_store_dwordx4 v[10:11], v[6:9], off
	s_cbranch_execnz .LBB0_10
	s_branch .LBB0_41
.LBB0_40:
.LBB0_41:
	v_ashrrev_i32_e32 v5, 31, v4
	v_lshlrev_b64 v[4:5], 2, v[4:5]
	s_waitcnt lgkmcnt(0)
	v_mov_b32_e32 v6, s1
	v_add_co_u32_e32 v8, vcc, s0, v4
	v_addc_co_u32_e32 v9, vcc, v6, v5, vcc
	global_load_dwordx4 v[4:7], v[8:9], off
	v_pk_mul_f32 v[2:3], s[2:3], v[2:3] op_sel_hi:[0,1]
	v_pk_mul_f32 v[10:11], s[2:3], v[0:1] op_sel_hi:[0,1]
	s_waitcnt vmcnt(0)
	v_pk_fma_f32 v[0:1], s[16:17], v[4:5], v[2:3] op_sel_hi:[0,1,1]
	v_pk_fma_f32 v[2:3], s[16:17], v[6:7], v[10:11] op_sel_hi:[0,1,1]
	global_store_dwordx4 v[8:9], v[0:3], off
	s_endpgm
	.section	.rodata,"a",@progbits
	.p2align	6, 0x0
	.amdhsa_kernel _ZN9rocsparseL18bsrxmvn_4x4_kernelILj128ELj4EfiifffEEvT3_20rocsparse_direction_NS_24const_host_device_scalarIT1_EES1_PKS1_PKT2_SA_S7_PKT4_PKT5_S5_PT6_21rocsparse_index_base_b
		.amdhsa_group_segment_fixed_size 0
		.amdhsa_private_segment_fixed_size 0
		.amdhsa_kernarg_size 96
		.amdhsa_user_sgpr_count 6
		.amdhsa_user_sgpr_private_segment_buffer 1
		.amdhsa_user_sgpr_dispatch_ptr 0
		.amdhsa_user_sgpr_queue_ptr 0
		.amdhsa_user_sgpr_kernarg_segment_ptr 1
		.amdhsa_user_sgpr_dispatch_id 0
		.amdhsa_user_sgpr_flat_scratch_init 0
		.amdhsa_user_sgpr_kernarg_preload_length 0
		.amdhsa_user_sgpr_kernarg_preload_offset 0
		.amdhsa_user_sgpr_private_segment_size 0
		.amdhsa_uses_dynamic_stack 0
		.amdhsa_system_sgpr_private_segment_wavefront_offset 0
		.amdhsa_system_sgpr_workgroup_id_x 1
		.amdhsa_system_sgpr_workgroup_id_y 0
		.amdhsa_system_sgpr_workgroup_id_z 0
		.amdhsa_system_sgpr_workgroup_info 0
		.amdhsa_system_vgpr_workitem_id 0
		.amdhsa_next_free_vgpr 108
		.amdhsa_next_free_sgpr 20
		.amdhsa_accum_offset 108
		.amdhsa_reserve_vcc 1
		.amdhsa_reserve_flat_scratch 0
		.amdhsa_float_round_mode_32 0
		.amdhsa_float_round_mode_16_64 0
		.amdhsa_float_denorm_mode_32 3
		.amdhsa_float_denorm_mode_16_64 3
		.amdhsa_dx10_clamp 1
		.amdhsa_ieee_mode 1
		.amdhsa_fp16_overflow 0
		.amdhsa_tg_split 0
		.amdhsa_exception_fp_ieee_invalid_op 0
		.amdhsa_exception_fp_denorm_src 0
		.amdhsa_exception_fp_ieee_div_zero 0
		.amdhsa_exception_fp_ieee_overflow 0
		.amdhsa_exception_fp_ieee_underflow 0
		.amdhsa_exception_fp_ieee_inexact 0
		.amdhsa_exception_int_div_zero 0
	.end_amdhsa_kernel
	.section	.text._ZN9rocsparseL18bsrxmvn_4x4_kernelILj128ELj4EfiifffEEvT3_20rocsparse_direction_NS_24const_host_device_scalarIT1_EES1_PKS1_PKT2_SA_S7_PKT4_PKT5_S5_PT6_21rocsparse_index_base_b,"axG",@progbits,_ZN9rocsparseL18bsrxmvn_4x4_kernelILj128ELj4EfiifffEEvT3_20rocsparse_direction_NS_24const_host_device_scalarIT1_EES1_PKS1_PKT2_SA_S7_PKT4_PKT5_S5_PT6_21rocsparse_index_base_b,comdat
.Lfunc_end0:
	.size	_ZN9rocsparseL18bsrxmvn_4x4_kernelILj128ELj4EfiifffEEvT3_20rocsparse_direction_NS_24const_host_device_scalarIT1_EES1_PKS1_PKT2_SA_S7_PKT4_PKT5_S5_PT6_21rocsparse_index_base_b, .Lfunc_end0-_ZN9rocsparseL18bsrxmvn_4x4_kernelILj128ELj4EfiifffEEvT3_20rocsparse_direction_NS_24const_host_device_scalarIT1_EES1_PKS1_PKT2_SA_S7_PKT4_PKT5_S5_PT6_21rocsparse_index_base_b
                                        ; -- End function
	.section	.AMDGPU.csdata,"",@progbits
; Kernel info:
; codeLenInByte = 3116
; NumSgprs: 24
; NumVgprs: 108
; NumAgprs: 0
; TotalNumVgprs: 108
; ScratchSize: 0
; MemoryBound: 1
; FloatMode: 240
; IeeeMode: 1
; LDSByteSize: 0 bytes/workgroup (compile time only)
; SGPRBlocks: 2
; VGPRBlocks: 13
; NumSGPRsForWavesPerEU: 24
; NumVGPRsForWavesPerEU: 108
; AccumOffset: 108
; Occupancy: 4
; WaveLimiterHint : 1
; COMPUTE_PGM_RSRC2:SCRATCH_EN: 0
; COMPUTE_PGM_RSRC2:USER_SGPR: 6
; COMPUTE_PGM_RSRC2:TRAP_HANDLER: 0
; COMPUTE_PGM_RSRC2:TGID_X_EN: 1
; COMPUTE_PGM_RSRC2:TGID_Y_EN: 0
; COMPUTE_PGM_RSRC2:TGID_Z_EN: 0
; COMPUTE_PGM_RSRC2:TIDIG_COMP_CNT: 0
; COMPUTE_PGM_RSRC3_GFX90A:ACCUM_OFFSET: 26
; COMPUTE_PGM_RSRC3_GFX90A:TG_SPLIT: 0
	.section	.text._ZN9rocsparseL18bsrxmvn_4x4_kernelILj128ELj8EfiifffEEvT3_20rocsparse_direction_NS_24const_host_device_scalarIT1_EES1_PKS1_PKT2_SA_S7_PKT4_PKT5_S5_PT6_21rocsparse_index_base_b,"axG",@progbits,_ZN9rocsparseL18bsrxmvn_4x4_kernelILj128ELj8EfiifffEEvT3_20rocsparse_direction_NS_24const_host_device_scalarIT1_EES1_PKS1_PKT2_SA_S7_PKT4_PKT5_S5_PT6_21rocsparse_index_base_b,comdat
	.globl	_ZN9rocsparseL18bsrxmvn_4x4_kernelILj128ELj8EfiifffEEvT3_20rocsparse_direction_NS_24const_host_device_scalarIT1_EES1_PKS1_PKT2_SA_S7_PKT4_PKT5_S5_PT6_21rocsparse_index_base_b ; -- Begin function _ZN9rocsparseL18bsrxmvn_4x4_kernelILj128ELj8EfiifffEEvT3_20rocsparse_direction_NS_24const_host_device_scalarIT1_EES1_PKS1_PKT2_SA_S7_PKT4_PKT5_S5_PT6_21rocsparse_index_base_b
	.p2align	8
	.type	_ZN9rocsparseL18bsrxmvn_4x4_kernelILj128ELj8EfiifffEEvT3_20rocsparse_direction_NS_24const_host_device_scalarIT1_EES1_PKS1_PKT2_SA_S7_PKT4_PKT5_S5_PT6_21rocsparse_index_base_b,@function
_ZN9rocsparseL18bsrxmvn_4x4_kernelILj128ELj8EfiifffEEvT3_20rocsparse_direction_NS_24const_host_device_scalarIT1_EES1_PKS1_PKT2_SA_S7_PKT4_PKT5_S5_PT6_21rocsparse_index_base_b: ; @_ZN9rocsparseL18bsrxmvn_4x4_kernelILj128ELj8EfiifffEEvT3_20rocsparse_direction_NS_24const_host_device_scalarIT1_EES1_PKS1_PKT2_SA_S7_PKT4_PKT5_S5_PT6_21rocsparse_index_base_b
; %bb.0:
	s_load_dwordx2 s[18:19], s[4:5], 0x58
	s_load_dwordx2 s[2:3], s[4:5], 0x8
	;; [unrolled: 1-line block ×3, first 2 shown]
	s_waitcnt lgkmcnt(0)
	s_bitcmp1_b32 s19, 0
	s_cselect_b64 s[8:9], -1, 0
	s_xor_b64 s[0:1], s[8:9], -1
	s_and_b64 vcc, exec, s[8:9]
	s_cbranch_vccnz .LBB1_2
; %bb.1:
	s_load_dword s2, s[2:3], 0x0
.LBB1_2:
	s_andn2_b64 vcc, exec, s[0:1]
	s_cbranch_vccnz .LBB1_4
; %bb.3:
	s_load_dword s16, s[16:17], 0x0
.LBB1_4:
	s_waitcnt lgkmcnt(0)
	v_cmp_neq_f32_e64 s[0:1], s2, 0
	v_cmp_neq_f32_e64 s[8:9], s16, 1.0
	s_or_b64 s[0:1], s[0:1], s[8:9]
	s_andn2_b64 vcc, exec, s[0:1]
	s_cbranch_vccnz .LBB1_10
; %bb.5:
	s_load_dwordx2 s[8:9], s[4:5], 0x18
	s_load_dwordx2 s[0:1], s[4:5], 0x0
	v_lshrrev_b32_e32 v1, 3, v0
	v_lshl_or_b32 v12, s6, 4, v1
	s_mov_b64 s[6:7], 0
	s_waitcnt lgkmcnt(0)
	s_cmp_lg_u64 s[8:9], 0
	s_cbranch_scc0 .LBB1_11
; %bb.6:
	s_load_dword s3, s[4:5], 0x10
                                        ; implicit-def: $vgpr1
	s_waitcnt lgkmcnt(0)
	v_cmp_gt_i32_e32 vcc, s3, v12
	s_and_saveexec_b64 s[10:11], vcc
	s_xor_b64 s[10:11], exec, s[10:11]
	s_cbranch_execz .LBB1_8
; %bb.7:
	v_ashrrev_i32_e32 v13, 31, v12
	v_lshlrev_b64 v[2:3], 2, v[12:13]
	v_mov_b32_e32 v1, s9
	v_add_co_u32_e32 v2, vcc, s8, v2
	v_addc_co_u32_e32 v3, vcc, v1, v3, vcc
	global_load_dword v1, v[2:3], off
	s_mov_b64 s[6:7], exec
	s_waitcnt vmcnt(0)
	v_subrev_u32_e32 v1, s18, v1
.LBB1_8:
	s_or_b64 exec, exec, s[10:11]
	s_branch .LBB1_12
.LBB1_9:
	v_cmp_gt_i32_e32 vcc, s0, v12
	s_andn2_b64 s[6:7], s[6:7], exec
	s_and_b64 s[8:9], vcc, exec
	s_or_b64 s[6:7], s[6:7], s[8:9]
	s_and_saveexec_b64 s[8:9], s[6:7]
	s_cbranch_execnz .LBB1_13
.LBB1_10:
	s_endpgm
.LBB1_11:
                                        ; implicit-def: $vgpr1
	s_cbranch_execnz .LBB1_9
.LBB1_12:
	v_mov_b32_e32 v12, v1
	s_and_saveexec_b64 s[8:9], s[6:7]
	s_cbranch_execz .LBB1_10
.LBB1_13:
	s_load_dwordx8 s[8:15], s[4:5], 0x20
	v_ashrrev_i32_e32 v13, 31, v12
	v_lshlrev_b64 v[2:3], 2, v[12:13]
	v_and_b32_e32 v13, 7, v0
	s_load_dwordx2 s[6:7], s[4:5], 0x40
	s_waitcnt lgkmcnt(0)
	v_mov_b32_e32 v1, s9
	v_add_co_u32_e32 v4, vcc, s8, v2
	v_addc_co_u32_e32 v5, vcc, v1, v3, vcc
	v_add_co_u32_e32 v1, vcc, 4, v4
	global_load_dword v27, v[4:5], off
	v_addc_co_u32_e32 v4, vcc, 0, v5, vcc
	v_mov_b32_e32 v5, s11
	v_add_co_u32_e32 v2, vcc, s10, v2
	s_cmp_eq_u64 s[10:11], 0
	v_addc_co_u32_e32 v3, vcc, v5, v3, vcc
	s_cselect_b64 vcc, -1, 0
	v_cndmask_b32_e32 v3, v3, v4, vcc
	v_cndmask_b32_e32 v2, v2, v1, vcc
	global_load_dword v1, v[2:3], off
	v_mov_b32_e32 v2, s15
	s_cmp_eq_u32 s1, 1
	s_waitcnt vmcnt(1)
	v_subrev_u32_e32 v0, s18, v27
	v_add_u32_e32 v14, v0, v13
	v_ashrrev_i32_e32 v15, 31, v14
	s_waitcnt vmcnt(0)
	v_subrev_u32_e32 v26, s18, v1
	v_lshlrev_b64 v[0:1], 6, v[14:15]
	v_add_co_u32_e32 v16, vcc, s14, v0
	v_addc_co_u32_e32 v17, vcc, v2, v1, vcc
	v_cmp_lt_i32_e64 s[0:1], v14, v26
	s_cbranch_scc1 .LBB1_25
; %bb.14:
	s_mov_b32 s10, 0
	v_mov_b32_e32 v19, 0
	v_mov_b32_e32 v18, 0
	;; [unrolled: 1-line block ×4, first 2 shown]
	s_and_saveexec_b64 s[8:9], s[0:1]
	s_cbranch_execz .LBB1_24
; %bb.15:
	v_add_u32_e32 v0, v27, v13
	v_subrev_u32_e32 v0, s18, v0
	v_add_u32_e32 v0, 8, v0
	v_max_i32_e32 v0, v0, v26
	v_not_b32_e32 v1, v27
	v_add3_u32 v0, v0, s18, v1
	v_sub_u32_e32 v0, v0, v13
	v_lshrrev_b32_e32 v1, 3, v0
	v_add_u32_e32 v1, 1, v1
	v_and_b32_e32 v1, 3, v1
	s_mov_b32 s11, s10
	v_cmp_ne_u32_e32 vcc, 0, v1
	v_pk_mov_b32 v[18:19], s[10:11], s[10:11] op_sel:[0,1]
	v_pk_mov_b32 v[20:21], s[10:11], s[10:11] op_sel:[0,1]
	v_mov_b32_e32 v22, v14
	v_pk_mov_b32 v[24:25], v[16:17], v[16:17] op_sel:[0,1]
	s_and_saveexec_b64 s[10:11], vcc
	s_cbranch_execz .LBB1_19
; %bb.16:
	v_mov_b32_e32 v20, 0
	v_lshlrev_b32_e32 v1, 6, v1
	s_mov_b64 s[14:15], 0
	v_mov_b32_e32 v2, s13
	v_mov_b32_e32 v3, s7
	v_pk_mov_b32 v[24:25], v[16:17], v[16:17] op_sel:[0,1]
	v_mov_b32_e32 v22, v14
	v_mov_b32_e32 v21, v20
	;; [unrolled: 1-line block ×4, first 2 shown]
.LBB1_17:                               ; =>This Inner Loop Header: Depth=1
	v_ashrrev_i32_e32 v23, 31, v22
	v_lshlrev_b64 v[4:5], 2, v[22:23]
	v_add_co_u32_e32 v36, vcc, s12, v4
	v_addc_co_u32_e32 v37, vcc, v2, v5, vcc
	global_load_dword v15, v[36:37], off
	global_load_dwordx4 v[4:7], v[24:25], off
	global_load_dwordx4 v[8:11], v[24:25], off offset:16
	global_load_dwordx4 v[28:31], v[24:25], off offset:48
	;; [unrolled: 1-line block ×3, first 2 shown]
	v_subrev_u32_e32 v1, 64, v1
	v_add_u32_e32 v22, 8, v22
	s_waitcnt vmcnt(4)
	v_subrev_u32_e32 v15, s18, v15
	v_lshlrev_b32_e32 v36, 2, v15
	v_ashrrev_i32_e32 v37, 31, v36
	v_lshlrev_b64 v[36:37], 2, v[36:37]
	v_add_co_u32_e32 v36, vcc, s6, v36
	v_addc_co_u32_e32 v37, vcc, v3, v37, vcc
	global_load_dwordx4 v[36:39], v[36:37], off
	s_waitcnt vmcnt(4)
	v_mov_b32_e32 v40, v4
	s_waitcnt vmcnt(3)
	v_mov_b32_e32 v41, v8
	v_mov_b32_e32 v8, v5
	;; [unrolled: 1-line block ×5, first 2 shown]
	s_waitcnt vmcnt(1)
	v_mov_b32_e32 v6, v32
	v_mov_b32_e32 v7, v28
	v_add_co_u32_e32 v24, vcc, 0x200, v24
	v_mov_b32_e32 v28, v33
	v_addc_co_u32_e32 v25, vcc, 0, v25, vcc
	v_mov_b32_e32 v32, v34
	v_mov_b32_e32 v33, v30
	v_cmp_eq_u32_e32 vcc, 0, v1
	v_mov_b32_e32 v30, v35
	s_or_b64 s[14:15], vcc, s[14:15]
	s_waitcnt vmcnt(0)
	v_pk_fma_f32 v[20:21], v[40:41], v[36:37], v[20:21] op_sel_hi:[1,0,1]
	v_pk_fma_f32 v[6:7], v[6:7], v[36:37], v[18:19] op_sel_hi:[1,0,1]
	v_pk_fma_f32 v[8:9], v[8:9], v[36:37], v[20:21] op_sel:[0,1,0]
	v_pk_fma_f32 v[6:7], v[28:29], v[36:37], v[6:7] op_sel:[0,1,0]
	v_mov_b32_e32 v34, v39
	v_pk_fma_f32 v[4:5], v[4:5], v[38:39], v[8:9] op_sel_hi:[1,0,1]
	v_pk_fma_f32 v[6:7], v[32:33], v[38:39], v[6:7] op_sel_hi:[1,0,1]
	;; [unrolled: 1-line block ×4, first 2 shown]
	s_andn2_b64 exec, exec, s[14:15]
	s_cbranch_execnz .LBB1_17
; %bb.18:
	s_or_b64 exec, exec, s[14:15]
.LBB1_19:
	s_or_b64 exec, exec, s[10:11]
	v_cmp_lt_u32_e32 vcc, 23, v0
	s_and_saveexec_b64 s[10:11], vcc
	s_cbranch_execz .LBB1_23
; %bb.20:
	s_mov_b64 s[14:15], 0
	v_mov_b32_e32 v15, s13
	v_mov_b32_e32 v28, s7
.LBB1_21:                               ; =>This Inner Loop Header: Depth=1
	global_load_dwordx4 v[0:3], v[24:25], off offset:48
	global_load_dwordx4 v[30:33], v[24:25], off offset:32
	;; [unrolled: 1-line block ×3, first 2 shown]
	global_load_dwordx4 v[34:37], v[24:25], off
	global_load_dwordx4 v[8:11], v[24:25], off offset:560
	v_ashrrev_i32_e32 v23, 31, v22
	v_lshlrev_b64 v[38:39], 2, v[22:23]
	v_add_co_u32_e32 v82, vcc, s12, v38
	v_addc_co_u32_e32 v83, vcc, v15, v39, vcc
	global_load_dword v23, v[82:83], off
	global_load_dword v29, v[82:83], off offset:32
	global_load_dword v84, v[82:83], off offset:64
	;; [unrolled: 1-line block ×3, first 2 shown]
	global_load_dwordx4 v[38:41], v[24:25], off offset:544
	global_load_dwordx4 v[42:45], v[24:25], off offset:528
	;; [unrolled: 1-line block ×11, first 2 shown]
	v_add_co_u32_e32 v24, vcc, 0x800, v24
	v_add_u32_e32 v22, 32, v22
	v_addc_co_u32_e32 v25, vcc, 0, v25, vcc
	v_cmp_ge_i32_e32 vcc, v22, v26
	s_or_b64 s[14:15], vcc, s[14:15]
	s_waitcnt vmcnt(14)
	v_subrev_u32_e32 v23, s18, v23
	v_lshlrev_b32_e32 v82, 2, v23
	s_waitcnt vmcnt(13)
	v_subrev_u32_e32 v29, s18, v29
	s_waitcnt vmcnt(11)
	v_subrev_u32_e32 v83, s18, v85
	v_lshlrev_b32_e32 v88, 2, v83
	v_ashrrev_i32_e32 v83, 31, v82
	v_mov_b32_e32 v98, v34
	v_subrev_u32_e32 v34, s18, v84
	v_lshlrev_b32_e32 v84, 2, v29
	v_lshlrev_b64 v[82:83], 2, v[82:83]
	v_ashrrev_i32_e32 v85, 31, v84
	v_add_co_u32_e32 v100, vcc, s6, v82
	v_lshlrev_b32_e32 v86, 2, v34
	v_lshlrev_b64 v[84:85], 2, v[84:85]
	v_addc_co_u32_e32 v101, vcc, v28, v83, vcc
	v_ashrrev_i32_e32 v87, 31, v86
	v_add_co_u32_e32 v102, vcc, s6, v84
	v_lshlrev_b64 v[86:87], 2, v[86:87]
	v_addc_co_u32_e32 v103, vcc, v28, v85, vcc
	v_ashrrev_i32_e32 v89, 31, v88
	v_add_co_u32_e32 v104, vcc, s6, v86
	v_lshlrev_b64 v[88:89], 2, v[88:89]
	v_addc_co_u32_e32 v105, vcc, v28, v87, vcc
	v_add_co_u32_e32 v106, vcc, s6, v88
	v_addc_co_u32_e32 v107, vcc, v28, v89, vcc
	global_load_dwordx4 v[82:85], v[100:101], off
	global_load_dwordx4 v[86:89], v[102:103], off
	;; [unrolled: 1-line block ×4, first 2 shown]
	v_mov_b32_e32 v99, v4
	v_mov_b32_e32 v100, v30
	;; [unrolled: 1-line block ×11, first 2 shown]
	s_waitcnt vmcnt(12)
	v_mov_b32_e32 v32, v46
	v_mov_b32_e32 v46, v38
	v_mov_b32_e32 v38, v40
	s_waitcnt vmcnt(8)
	v_mov_b32_e32 v40, v62
	v_mov_b32_e32 v62, v54
	v_mov_b32_e32 v54, v56
	;; [unrolled: 4-line block ×3, first 2 shown]
	v_mov_b32_e32 v33, v42
	v_mov_b32_e32 v42, v47
	;; [unrolled: 1-line block ×27, first 2 shown]
	s_waitcnt vmcnt(3)
	v_pk_fma_f32 v[20:21], v[98:99], v[82:83], v[20:21] op_sel_hi:[1,0,1]
	v_pk_fma_f32 v[18:19], v[100:101], v[82:83], v[18:19] op_sel_hi:[1,0,1]
	v_pk_fma_f32 v[4:5], v[4:5], v[82:83], v[20:21] op_sel:[0,1,0]
	v_pk_fma_f32 v[0:1], v[0:1], v[82:83], v[18:19] op_sel:[0,1,0]
	v_mov_b32_e32 v72, v85
	v_pk_fma_f32 v[4:5], v[34:35], v[84:85], v[4:5] op_sel_hi:[1,0,1]
	v_pk_fma_f32 v[0:1], v[30:31], v[84:85], v[0:1] op_sel_hi:[1,0,1]
	v_pk_fma_f32 v[4:5], v[6:7], v[72:73], v[4:5] op_sel_hi:[1,0,1]
	v_pk_fma_f32 v[0:1], v[2:3], v[72:73], v[0:1] op_sel_hi:[1,0,1]
	s_waitcnt vmcnt(2)
	v_pk_fma_f32 v[2:3], v[32:33], v[86:87], v[4:5] op_sel_hi:[1,0,1]
	v_pk_fma_f32 v[0:1], v[46:47], v[86:87], v[0:1] op_sel_hi:[1,0,1]
	v_pk_fma_f32 v[2:3], v[42:43], v[86:87], v[2:3] op_sel:[0,1,0]
	v_pk_fma_f32 v[0:1], v[8:9], v[86:87], v[0:1] op_sel:[0,1,0]
	v_mov_b32_e32 v80, v89
	v_pk_fma_f32 v[2:3], v[36:37], v[88:89], v[2:3] op_sel_hi:[1,0,1]
	v_pk_fma_f32 v[0:1], v[38:39], v[88:89], v[0:1] op_sel_hi:[1,0,1]
	v_pk_fma_f32 v[2:3], v[44:45], v[80:81], v[2:3] op_sel_hi:[1,0,1]
	v_pk_fma_f32 v[0:1], v[10:11], v[80:81], v[0:1] op_sel_hi:[1,0,1]
	;; [unrolled: 10-line block ×4, first 2 shown]
	s_andn2_b64 exec, exec, s[14:15]
	s_cbranch_execnz .LBB1_21
; %bb.22:
	s_or_b64 exec, exec, s[14:15]
.LBB1_23:
	s_or_b64 exec, exec, s[10:11]
.LBB1_24:
	s_or_b64 exec, exec, s[8:9]
	s_cbranch_execz .LBB1_26
	s_branch .LBB1_37
.LBB1_25:
                                        ; implicit-def: $vgpr19
                                        ; implicit-def: $vgpr21
.LBB1_26:
	s_mov_b32 s10, 0
	v_mov_b32_e32 v19, 0
	v_mov_b32_e32 v18, 0
	v_mov_b32_e32 v21, 0
	v_mov_b32_e32 v20, 0
	s_and_saveexec_b64 s[8:9], s[0:1]
	s_cbranch_execz .LBB1_36
; %bb.27:
	v_add_u32_e32 v0, v27, v13
	v_subrev_u32_e32 v0, s18, v0
	v_add_u32_e32 v0, 8, v0
	v_max_i32_e32 v0, v0, v26
	v_not_b32_e32 v1, v27
	v_add3_u32 v0, v0, s18, v1
	v_sub_u32_e32 v0, v0, v13
	v_lshrrev_b32_e32 v1, 3, v0
	v_add_u32_e32 v1, 1, v1
	v_and_b32_e32 v1, 3, v1
	s_mov_b32 s11, s10
	v_cmp_ne_u32_e32 vcc, 0, v1
	v_pk_mov_b32 v[18:19], s[10:11], s[10:11] op_sel:[0,1]
	v_pk_mov_b32 v[20:21], s[10:11], s[10:11] op_sel:[0,1]
	s_and_saveexec_b64 s[0:1], vcc
	s_cbranch_execz .LBB1_31
; %bb.28:
	v_mov_b32_e32 v20, 0
	v_lshlrev_b32_e32 v1, 6, v1
	s_mov_b64 s[10:11], 0
	v_mov_b32_e32 v2, s13
	v_mov_b32_e32 v3, s7
	;; [unrolled: 1-line block ×5, first 2 shown]
.LBB1_29:                               ; =>This Inner Loop Header: Depth=1
	v_ashrrev_i32_e32 v15, 31, v14
	v_lshlrev_b64 v[4:5], 2, v[14:15]
	v_add_co_u32_e32 v22, vcc, s12, v4
	v_addc_co_u32_e32 v23, vcc, v2, v5, vcc
	global_load_dword v15, v[22:23], off
	global_load_dwordx4 v[4:7], v[16:17], off offset:16
	global_load_dwordx4 v[8:11], v[16:17], off
	v_subrev_u32_e32 v1, 64, v1
	v_add_u32_e32 v14, 8, v14
	s_waitcnt vmcnt(2)
	v_subrev_u32_e32 v15, s18, v15
	v_lshlrev_b32_e32 v22, 2, v15
	v_ashrrev_i32_e32 v23, 31, v22
	v_lshlrev_b64 v[22:23], 2, v[22:23]
	v_add_co_u32_e32 v36, vcc, s6, v22
	v_addc_co_u32_e32 v37, vcc, v3, v23, vcc
	global_load_dwordx4 v[22:25], v[36:37], off
	global_load_dwordx4 v[28:31], v[16:17], off offset:32
	global_load_dwordx4 v[32:35], v[16:17], off offset:48
	v_add_co_u32_e32 v16, vcc, 0x200, v16
	v_addc_co_u32_e32 v17, vcc, 0, v17, vcc
	v_cmp_eq_u32_e32 vcc, 0, v1
	s_or_b64 s[10:11], vcc, s[10:11]
	s_waitcnt vmcnt(2)
	v_pk_fma_f32 v[8:9], v[8:9], v[22:23], v[20:21] op_sel_hi:[1,0,1]
	v_pk_fma_f32 v[10:11], v[10:11], v[22:23], v[18:19] op_sel_hi:[1,0,1]
	v_pk_fma_f32 v[4:5], v[4:5], v[22:23], v[8:9] op_sel:[0,1,0]
	v_pk_fma_f32 v[6:7], v[6:7], v[22:23], v[10:11] op_sel:[0,1,0]
	v_mov_b32_e32 v36, v25
	s_waitcnt vmcnt(1)
	v_pk_fma_f32 v[4:5], v[28:29], v[24:25], v[4:5] op_sel_hi:[1,0,1]
	v_pk_fma_f32 v[6:7], v[30:31], v[24:25], v[6:7] op_sel_hi:[1,0,1]
	s_waitcnt vmcnt(0)
	v_pk_fma_f32 v[20:21], v[32:33], v[36:37], v[4:5] op_sel_hi:[1,0,1]
	v_pk_fma_f32 v[18:19], v[34:35], v[36:37], v[6:7] op_sel_hi:[1,0,1]
	s_andn2_b64 exec, exec, s[10:11]
	s_cbranch_execnz .LBB1_29
; %bb.30:
	s_or_b64 exec, exec, s[10:11]
.LBB1_31:
	s_or_b64 exec, exec, s[0:1]
	v_cmp_lt_u32_e32 vcc, 23, v0
	s_and_saveexec_b64 s[0:1], vcc
	s_cbranch_execz .LBB1_35
; %bb.32:
	s_mov_b64 s[10:11], 0
	v_mov_b32_e32 v0, s13
	v_mov_b32_e32 v1, s7
.LBB1_33:                               ; =>This Inner Loop Header: Depth=1
	v_ashrrev_i32_e32 v15, 31, v14
	v_lshlrev_b64 v[2:3], 2, v[14:15]
	v_add_co_u32_e32 v10, vcc, s12, v2
	v_addc_co_u32_e32 v11, vcc, v0, v3, vcc
	global_load_dword v15, v[10:11], off
	global_load_dword v27, v[10:11], off offset:32
	global_load_dword v72, v[10:11], off offset:64
	;; [unrolled: 1-line block ×3, first 2 shown]
	global_load_dwordx4 v[2:5], v[16:17], off offset:48
	global_load_dwordx4 v[6:9], v[16:17], off offset:32
	;; [unrolled: 1-line block ×3, first 2 shown]
	global_load_dwordx4 v[28:31], v[16:17], off
	global_load_dwordx4 v[32:35], v[16:17], off offset:560
	global_load_dwordx4 v[36:39], v[16:17], off offset:544
	;; [unrolled: 1-line block ×7, first 2 shown]
                                        ; kill: killed $vgpr10 killed $vgpr11
	global_load_dwordx4 v[60:63], v[16:17], off offset:1024
	global_load_dwordx4 v[64:67], v[16:17], off offset:1552
	;; [unrolled: 1-line block ×3, first 2 shown]
	v_add_u32_e32 v14, 32, v14
	s_waitcnt vmcnt(17)
	v_subrev_u32_e32 v10, s18, v15
	s_waitcnt vmcnt(16)
	v_subrev_u32_e32 v11, s18, v27
	v_lshlrev_b32_e32 v10, 2, v10
	s_waitcnt vmcnt(15)
	v_subrev_u32_e32 v15, s18, v72
	v_lshlrev_b32_e32 v72, 2, v11
	v_ashrrev_i32_e32 v11, 31, v10
	v_lshlrev_b64 v[10:11], 2, v[10:11]
	s_waitcnt vmcnt(14)
	v_subrev_u32_e32 v27, s18, v73
	v_ashrrev_i32_e32 v73, 31, v72
	v_add_co_u32_e32 v10, vcc, s6, v10
	v_lshlrev_b32_e32 v74, 2, v15
	v_lshlrev_b64 v[72:73], 2, v[72:73]
	v_addc_co_u32_e32 v11, vcc, v1, v11, vcc
	v_ashrrev_i32_e32 v75, 31, v74
	v_add_co_u32_e32 v96, vcc, s6, v72
	v_lshlrev_b32_e32 v76, 2, v27
	v_lshlrev_b64 v[74:75], 2, v[74:75]
	v_addc_co_u32_e32 v97, vcc, v1, v73, vcc
	v_ashrrev_i32_e32 v77, 31, v76
	v_add_co_u32_e32 v98, vcc, s6, v74
	v_lshlrev_b64 v[76:77], 2, v[76:77]
	v_addc_co_u32_e32 v99, vcc, v1, v75, vcc
	v_add_co_u32_e32 v100, vcc, s6, v76
	v_addc_co_u32_e32 v101, vcc, v1, v77, vcc
	global_load_dwordx4 v[72:75], v[10:11], off
	global_load_dwordx4 v[76:79], v[96:97], off
	global_load_dwordx4 v[80:83], v[98:99], off
	global_load_dwordx4 v[84:87], v[100:101], off
	global_load_dwordx4 v[88:91], v[16:17], off offset:1568
	global_load_dwordx4 v[92:95], v[16:17], off offset:1584
	v_add_co_u32_e32 v16, vcc, 0x800, v16
	v_addc_co_u32_e32 v17, vcc, 0, v17, vcc
	v_cmp_ge_i32_e32 vcc, v14, v26
	s_or_b64 s[10:11], vcc, s[10:11]
	s_waitcnt vmcnt(5)
	v_pk_fma_f32 v[10:11], v[28:29], v[72:73], v[20:21] op_sel_hi:[1,0,1]
	v_pk_fma_f32 v[18:19], v[30:31], v[72:73], v[18:19] op_sel_hi:[1,0,1]
	v_pk_fma_f32 v[10:11], v[22:23], v[72:73], v[10:11] op_sel:[0,1,0]
	v_pk_fma_f32 v[18:19], v[24:25], v[72:73], v[18:19] op_sel:[0,1,0]
	v_mov_b32_e32 v20, v75
	v_pk_fma_f32 v[6:7], v[6:7], v[74:75], v[10:11] op_sel_hi:[1,0,1]
	v_pk_fma_f32 v[8:9], v[8:9], v[74:75], v[18:19] op_sel_hi:[1,0,1]
	v_pk_fma_f32 v[2:3], v[2:3], v[20:21], v[6:7] op_sel_hi:[1,0,1]
	v_pk_fma_f32 v[4:5], v[4:5], v[20:21], v[8:9] op_sel_hi:[1,0,1]
	s_waitcnt vmcnt(4)
	v_pk_fma_f32 v[2:3], v[44:45], v[76:77], v[2:3] op_sel_hi:[1,0,1]
	v_pk_fma_f32 v[4:5], v[46:47], v[76:77], v[4:5] op_sel_hi:[1,0,1]
	v_pk_fma_f32 v[2:3], v[40:41], v[76:77], v[2:3] op_sel:[0,1,0]
	v_pk_fma_f32 v[4:5], v[42:43], v[76:77], v[4:5] op_sel:[0,1,0]
	v_mov_b32_e32 v28, v79
	v_pk_fma_f32 v[2:3], v[36:37], v[78:79], v[2:3] op_sel_hi:[1,0,1]
	v_pk_fma_f32 v[4:5], v[38:39], v[78:79], v[4:5] op_sel_hi:[1,0,1]
	v_pk_fma_f32 v[2:3], v[32:33], v[28:29], v[2:3] op_sel_hi:[1,0,1]
	v_pk_fma_f32 v[4:5], v[34:35], v[28:29], v[4:5] op_sel_hi:[1,0,1]
	;; [unrolled: 10-line block ×3, first 2 shown]
	s_waitcnt vmcnt(2)
	v_pk_fma_f32 v[2:3], v[68:69], v[84:85], v[2:3] op_sel_hi:[1,0,1]
	v_pk_fma_f32 v[4:5], v[70:71], v[84:85], v[4:5] op_sel_hi:[1,0,1]
	v_pk_fma_f32 v[2:3], v[64:65], v[84:85], v[2:3] op_sel:[0,1,0]
	v_pk_fma_f32 v[4:5], v[66:67], v[84:85], v[4:5] op_sel:[0,1,0]
	v_mov_b32_e32 v96, v87
	s_waitcnt vmcnt(1)
	v_pk_fma_f32 v[2:3], v[88:89], v[86:87], v[2:3] op_sel_hi:[1,0,1]
	v_pk_fma_f32 v[4:5], v[90:91], v[86:87], v[4:5] op_sel_hi:[1,0,1]
	s_waitcnt vmcnt(0)
	v_pk_fma_f32 v[20:21], v[92:93], v[96:97], v[2:3] op_sel_hi:[1,0,1]
	v_pk_fma_f32 v[18:19], v[94:95], v[96:97], v[4:5] op_sel_hi:[1,0,1]
	s_andn2_b64 exec, exec, s[10:11]
	s_cbranch_execnz .LBB1_33
; %bb.34:
	s_or_b64 exec, exec, s[10:11]
.LBB1_35:
	s_or_b64 exec, exec, s[0:1]
.LBB1_36:
	s_or_b64 exec, exec, s[8:9]
.LBB1_37:
	v_mov_b32_dpp v0, v20 row_shr:1 row_mask:0xf bank_mask:0xf
	v_mov_b32_dpp v1, v21 row_shr:1 row_mask:0xf bank_mask:0xf
	;; [unrolled: 1-line block ×4, first 2 shown]
	v_pk_add_f32 v[0:1], v[20:21], v[0:1]
	v_pk_add_f32 v[4:5], v[18:19], v[4:5]
	v_cmp_eq_u32_e32 vcc, 7, v13
	v_mov_b32_dpp v2, v0 row_shr:2 row_mask:0xf bank_mask:0xf
	v_mov_b32_dpp v3, v1 row_shr:2 row_mask:0xf bank_mask:0xf
	;; [unrolled: 1-line block ×4, first 2 shown]
	v_pk_add_f32 v[0:1], v[0:1], v[2:3]
	v_pk_add_f32 v[4:5], v[4:5], v[6:7]
	s_nop 0
	v_mov_b32_dpp v2, v0 row_shr:4 row_mask:0xf bank_mask:0xe
	v_mov_b32_dpp v3, v1 row_shr:4 row_mask:0xf bank_mask:0xe
	;; [unrolled: 1-line block ×4, first 2 shown]
	s_and_b64 exec, exec, vcc
	s_cbranch_execz .LBB1_10
; %bb.38:
	s_load_dwordx2 s[0:1], s[4:5], 0x50
	v_cmp_eq_f32_e64 s[4:5], s16, 0
	v_pk_add_f32 v[2:3], v[0:1], v[2:3]
	v_pk_add_f32 v[0:1], v[4:5], v[6:7]
	s_and_b64 vcc, exec, s[4:5]
	v_lshlrev_b32_e32 v4, 2, v12
	s_cbranch_vccz .LBB1_40
; %bb.39:
	v_ashrrev_i32_e32 v5, 31, v4
	v_lshlrev_b64 v[6:7], 2, v[4:5]
	s_waitcnt lgkmcnt(0)
	v_mov_b32_e32 v5, s1
	v_add_co_u32_e32 v10, vcc, s0, v6
	v_addc_co_u32_e32 v11, vcc, v5, v7, vcc
	v_pk_mul_f32 v[6:7], s[2:3], v[2:3] op_sel_hi:[0,1]
	v_pk_mul_f32 v[8:9], s[2:3], v[0:1] op_sel_hi:[0,1]
	global_store_dwordx4 v[10:11], v[6:9], off
	s_cbranch_execnz .LBB1_10
	s_branch .LBB1_41
.LBB1_40:
.LBB1_41:
	v_ashrrev_i32_e32 v5, 31, v4
	v_lshlrev_b64 v[4:5], 2, v[4:5]
	s_waitcnt lgkmcnt(0)
	v_mov_b32_e32 v6, s1
	v_add_co_u32_e32 v8, vcc, s0, v4
	v_addc_co_u32_e32 v9, vcc, v6, v5, vcc
	global_load_dwordx4 v[4:7], v[8:9], off
	v_pk_mul_f32 v[2:3], s[2:3], v[2:3] op_sel_hi:[0,1]
	v_pk_mul_f32 v[10:11], s[2:3], v[0:1] op_sel_hi:[0,1]
	s_waitcnt vmcnt(0)
	v_pk_fma_f32 v[0:1], s[16:17], v[4:5], v[2:3] op_sel_hi:[0,1,1]
	v_pk_fma_f32 v[2:3], s[16:17], v[6:7], v[10:11] op_sel_hi:[0,1,1]
	global_store_dwordx4 v[8:9], v[0:3], off
	s_endpgm
	.section	.rodata,"a",@progbits
	.p2align	6, 0x0
	.amdhsa_kernel _ZN9rocsparseL18bsrxmvn_4x4_kernelILj128ELj8EfiifffEEvT3_20rocsparse_direction_NS_24const_host_device_scalarIT1_EES1_PKS1_PKT2_SA_S7_PKT4_PKT5_S5_PT6_21rocsparse_index_base_b
		.amdhsa_group_segment_fixed_size 0
		.amdhsa_private_segment_fixed_size 0
		.amdhsa_kernarg_size 96
		.amdhsa_user_sgpr_count 6
		.amdhsa_user_sgpr_private_segment_buffer 1
		.amdhsa_user_sgpr_dispatch_ptr 0
		.amdhsa_user_sgpr_queue_ptr 0
		.amdhsa_user_sgpr_kernarg_segment_ptr 1
		.amdhsa_user_sgpr_dispatch_id 0
		.amdhsa_user_sgpr_flat_scratch_init 0
		.amdhsa_user_sgpr_kernarg_preload_length 0
		.amdhsa_user_sgpr_kernarg_preload_offset 0
		.amdhsa_user_sgpr_private_segment_size 0
		.amdhsa_uses_dynamic_stack 0
		.amdhsa_system_sgpr_private_segment_wavefront_offset 0
		.amdhsa_system_sgpr_workgroup_id_x 1
		.amdhsa_system_sgpr_workgroup_id_y 0
		.amdhsa_system_sgpr_workgroup_id_z 0
		.amdhsa_system_sgpr_workgroup_info 0
		.amdhsa_system_vgpr_workitem_id 0
		.amdhsa_next_free_vgpr 108
		.amdhsa_next_free_sgpr 20
		.amdhsa_accum_offset 108
		.amdhsa_reserve_vcc 1
		.amdhsa_reserve_flat_scratch 0
		.amdhsa_float_round_mode_32 0
		.amdhsa_float_round_mode_16_64 0
		.amdhsa_float_denorm_mode_32 3
		.amdhsa_float_denorm_mode_16_64 3
		.amdhsa_dx10_clamp 1
		.amdhsa_ieee_mode 1
		.amdhsa_fp16_overflow 0
		.amdhsa_tg_split 0
		.amdhsa_exception_fp_ieee_invalid_op 0
		.amdhsa_exception_fp_denorm_src 0
		.amdhsa_exception_fp_ieee_div_zero 0
		.amdhsa_exception_fp_ieee_overflow 0
		.amdhsa_exception_fp_ieee_underflow 0
		.amdhsa_exception_fp_ieee_inexact 0
		.amdhsa_exception_int_div_zero 0
	.end_amdhsa_kernel
	.section	.text._ZN9rocsparseL18bsrxmvn_4x4_kernelILj128ELj8EfiifffEEvT3_20rocsparse_direction_NS_24const_host_device_scalarIT1_EES1_PKS1_PKT2_SA_S7_PKT4_PKT5_S5_PT6_21rocsparse_index_base_b,"axG",@progbits,_ZN9rocsparseL18bsrxmvn_4x4_kernelILj128ELj8EfiifffEEvT3_20rocsparse_direction_NS_24const_host_device_scalarIT1_EES1_PKS1_PKT2_SA_S7_PKT4_PKT5_S5_PT6_21rocsparse_index_base_b,comdat
.Lfunc_end1:
	.size	_ZN9rocsparseL18bsrxmvn_4x4_kernelILj128ELj8EfiifffEEvT3_20rocsparse_direction_NS_24const_host_device_scalarIT1_EES1_PKS1_PKT2_SA_S7_PKT4_PKT5_S5_PT6_21rocsparse_index_base_b, .Lfunc_end1-_ZN9rocsparseL18bsrxmvn_4x4_kernelILj128ELj8EfiifffEEvT3_20rocsparse_direction_NS_24const_host_device_scalarIT1_EES1_PKS1_PKT2_SA_S7_PKT4_PKT5_S5_PT6_21rocsparse_index_base_b
                                        ; -- End function
	.section	.AMDGPU.csdata,"",@progbits
; Kernel info:
; codeLenInByte = 3168
; NumSgprs: 24
; NumVgprs: 108
; NumAgprs: 0
; TotalNumVgprs: 108
; ScratchSize: 0
; MemoryBound: 1
; FloatMode: 240
; IeeeMode: 1
; LDSByteSize: 0 bytes/workgroup (compile time only)
; SGPRBlocks: 2
; VGPRBlocks: 13
; NumSGPRsForWavesPerEU: 24
; NumVGPRsForWavesPerEU: 108
; AccumOffset: 108
; Occupancy: 4
; WaveLimiterHint : 1
; COMPUTE_PGM_RSRC2:SCRATCH_EN: 0
; COMPUTE_PGM_RSRC2:USER_SGPR: 6
; COMPUTE_PGM_RSRC2:TRAP_HANDLER: 0
; COMPUTE_PGM_RSRC2:TGID_X_EN: 1
; COMPUTE_PGM_RSRC2:TGID_Y_EN: 0
; COMPUTE_PGM_RSRC2:TGID_Z_EN: 0
; COMPUTE_PGM_RSRC2:TIDIG_COMP_CNT: 0
; COMPUTE_PGM_RSRC3_GFX90A:ACCUM_OFFSET: 26
; COMPUTE_PGM_RSRC3_GFX90A:TG_SPLIT: 0
	.section	.text._ZN9rocsparseL18bsrxmvn_4x4_kernelILj128ELj16EfiifffEEvT3_20rocsparse_direction_NS_24const_host_device_scalarIT1_EES1_PKS1_PKT2_SA_S7_PKT4_PKT5_S5_PT6_21rocsparse_index_base_b,"axG",@progbits,_ZN9rocsparseL18bsrxmvn_4x4_kernelILj128ELj16EfiifffEEvT3_20rocsparse_direction_NS_24const_host_device_scalarIT1_EES1_PKS1_PKT2_SA_S7_PKT4_PKT5_S5_PT6_21rocsparse_index_base_b,comdat
	.globl	_ZN9rocsparseL18bsrxmvn_4x4_kernelILj128ELj16EfiifffEEvT3_20rocsparse_direction_NS_24const_host_device_scalarIT1_EES1_PKS1_PKT2_SA_S7_PKT4_PKT5_S5_PT6_21rocsparse_index_base_b ; -- Begin function _ZN9rocsparseL18bsrxmvn_4x4_kernelILj128ELj16EfiifffEEvT3_20rocsparse_direction_NS_24const_host_device_scalarIT1_EES1_PKS1_PKT2_SA_S7_PKT4_PKT5_S5_PT6_21rocsparse_index_base_b
	.p2align	8
	.type	_ZN9rocsparseL18bsrxmvn_4x4_kernelILj128ELj16EfiifffEEvT3_20rocsparse_direction_NS_24const_host_device_scalarIT1_EES1_PKS1_PKT2_SA_S7_PKT4_PKT5_S5_PT6_21rocsparse_index_base_b,@function
_ZN9rocsparseL18bsrxmvn_4x4_kernelILj128ELj16EfiifffEEvT3_20rocsparse_direction_NS_24const_host_device_scalarIT1_EES1_PKS1_PKT2_SA_S7_PKT4_PKT5_S5_PT6_21rocsparse_index_base_b: ; @_ZN9rocsparseL18bsrxmvn_4x4_kernelILj128ELj16EfiifffEEvT3_20rocsparse_direction_NS_24const_host_device_scalarIT1_EES1_PKS1_PKT2_SA_S7_PKT4_PKT5_S5_PT6_21rocsparse_index_base_b
; %bb.0:
	s_load_dwordx2 s[18:19], s[4:5], 0x58
	s_load_dwordx2 s[2:3], s[4:5], 0x8
	;; [unrolled: 1-line block ×3, first 2 shown]
	s_waitcnt lgkmcnt(0)
	s_bitcmp1_b32 s19, 0
	s_cselect_b64 s[8:9], -1, 0
	s_xor_b64 s[0:1], s[8:9], -1
	s_and_b64 vcc, exec, s[8:9]
	s_cbranch_vccnz .LBB2_2
; %bb.1:
	s_load_dword s2, s[2:3], 0x0
.LBB2_2:
	s_andn2_b64 vcc, exec, s[0:1]
	s_cbranch_vccnz .LBB2_4
; %bb.3:
	s_load_dword s16, s[16:17], 0x0
.LBB2_4:
	s_waitcnt lgkmcnt(0)
	v_cmp_neq_f32_e64 s[0:1], s2, 0
	v_cmp_neq_f32_e64 s[8:9], s16, 1.0
	s_or_b64 s[0:1], s[0:1], s[8:9]
	s_andn2_b64 vcc, exec, s[0:1]
	s_cbranch_vccnz .LBB2_10
; %bb.5:
	s_load_dwordx2 s[8:9], s[4:5], 0x18
	s_load_dwordx2 s[0:1], s[4:5], 0x0
	v_lshrrev_b32_e32 v1, 4, v0
	v_lshl_or_b32 v12, s6, 3, v1
	s_mov_b64 s[6:7], 0
	s_waitcnt lgkmcnt(0)
	s_cmp_lg_u64 s[8:9], 0
	s_cbranch_scc0 .LBB2_11
; %bb.6:
	s_load_dword s3, s[4:5], 0x10
                                        ; implicit-def: $vgpr1
	s_waitcnt lgkmcnt(0)
	v_cmp_gt_i32_e32 vcc, s3, v12
	s_and_saveexec_b64 s[10:11], vcc
	s_xor_b64 s[10:11], exec, s[10:11]
	s_cbranch_execz .LBB2_8
; %bb.7:
	v_ashrrev_i32_e32 v13, 31, v12
	v_lshlrev_b64 v[2:3], 2, v[12:13]
	v_mov_b32_e32 v1, s9
	v_add_co_u32_e32 v2, vcc, s8, v2
	v_addc_co_u32_e32 v3, vcc, v1, v3, vcc
	global_load_dword v1, v[2:3], off
	s_mov_b64 s[6:7], exec
	s_waitcnt vmcnt(0)
	v_subrev_u32_e32 v1, s18, v1
.LBB2_8:
	s_or_b64 exec, exec, s[10:11]
	s_branch .LBB2_12
.LBB2_9:
	v_cmp_gt_i32_e32 vcc, s0, v12
	s_andn2_b64 s[6:7], s[6:7], exec
	s_and_b64 s[8:9], vcc, exec
	s_or_b64 s[6:7], s[6:7], s[8:9]
	s_and_saveexec_b64 s[8:9], s[6:7]
	s_cbranch_execnz .LBB2_13
.LBB2_10:
	s_endpgm
.LBB2_11:
                                        ; implicit-def: $vgpr1
	s_cbranch_execnz .LBB2_9
.LBB2_12:
	v_mov_b32_e32 v12, v1
	s_and_saveexec_b64 s[8:9], s[6:7]
	s_cbranch_execz .LBB2_10
.LBB2_13:
	s_load_dwordx8 s[8:15], s[4:5], 0x20
	v_ashrrev_i32_e32 v13, 31, v12
	v_lshlrev_b64 v[2:3], 2, v[12:13]
	v_and_b32_e32 v13, 15, v0
	s_load_dwordx2 s[6:7], s[4:5], 0x40
	s_waitcnt lgkmcnt(0)
	v_mov_b32_e32 v1, s9
	v_add_co_u32_e32 v4, vcc, s8, v2
	v_addc_co_u32_e32 v5, vcc, v1, v3, vcc
	v_add_co_u32_e32 v1, vcc, 4, v4
	global_load_dword v27, v[4:5], off
	v_addc_co_u32_e32 v4, vcc, 0, v5, vcc
	v_mov_b32_e32 v5, s11
	v_add_co_u32_e32 v2, vcc, s10, v2
	s_cmp_eq_u64 s[10:11], 0
	v_addc_co_u32_e32 v3, vcc, v5, v3, vcc
	s_cselect_b64 vcc, -1, 0
	v_cndmask_b32_e32 v3, v3, v4, vcc
	v_cndmask_b32_e32 v2, v2, v1, vcc
	global_load_dword v1, v[2:3], off
	v_mov_b32_e32 v2, s15
	s_cmp_eq_u32 s1, 1
	s_waitcnt vmcnt(1)
	v_subrev_u32_e32 v0, s18, v27
	v_add_u32_e32 v14, v0, v13
	v_ashrrev_i32_e32 v15, 31, v14
	s_waitcnt vmcnt(0)
	v_subrev_u32_e32 v26, s18, v1
	v_lshlrev_b64 v[0:1], 6, v[14:15]
	v_add_co_u32_e32 v16, vcc, s14, v0
	v_addc_co_u32_e32 v17, vcc, v2, v1, vcc
	v_cmp_lt_i32_e64 s[0:1], v14, v26
	s_cbranch_scc1 .LBB2_25
; %bb.14:
	v_mov_b32_e32 v19, 0
	v_mov_b32_e32 v18, 0
	;; [unrolled: 1-line block ×4, first 2 shown]
	s_and_saveexec_b64 s[8:9], s[0:1]
	s_cbranch_execz .LBB2_24
; %bb.15:
	v_add_u32_e32 v0, v27, v13
	v_subrev_u32_e32 v0, s18, v0
	v_add_u32_e32 v0, 16, v0
	v_max_i32_e32 v0, v0, v26
	v_not_b32_e32 v1, v27
	v_add3_u32 v0, v0, s18, v1
	v_sub_u32_e32 v0, v0, v13
	v_lshrrev_b32_e32 v1, 4, v0
	v_add_u32_e32 v1, 1, v1
	v_and_b32_e32 v1, 3, v1
	v_mov_b32_e32 v20, 0
	v_cmp_ne_u32_e32 vcc, 0, v1
	v_mov_b32_e32 v21, v20
	v_mov_b32_e32 v18, v20
	;; [unrolled: 1-line block ×4, first 2 shown]
	v_pk_mov_b32 v[24:25], v[16:17], v[16:17] op_sel:[0,1]
	s_and_saveexec_b64 s[10:11], vcc
	s_cbranch_execz .LBB2_19
; %bb.16:
	v_mov_b32_e32 v19, 0
	v_lshlrev_b32_e32 v1, 6, v1
	s_mov_b64 s[14:15], 0
	v_mov_b32_e32 v2, s13
	v_mov_b32_e32 v3, s7
	v_pk_mov_b32 v[24:25], v[16:17], v[16:17] op_sel:[0,1]
	v_mov_b32_e32 v22, v14
	v_mov_b32_e32 v18, v19
	;; [unrolled: 1-line block ×4, first 2 shown]
.LBB2_17:                               ; =>This Inner Loop Header: Depth=1
	v_ashrrev_i32_e32 v23, 31, v22
	v_lshlrev_b64 v[4:5], 2, v[22:23]
	v_add_co_u32_e32 v36, vcc, s12, v4
	v_addc_co_u32_e32 v37, vcc, v2, v5, vcc
	global_load_dword v15, v[36:37], off
	global_load_dwordx4 v[4:7], v[24:25], off
	global_load_dwordx4 v[8:11], v[24:25], off offset:16
	global_load_dwordx4 v[28:31], v[24:25], off offset:48
	;; [unrolled: 1-line block ×3, first 2 shown]
	v_subrev_u32_e32 v1, 64, v1
	v_add_u32_e32 v22, 16, v22
	s_waitcnt vmcnt(4)
	v_subrev_u32_e32 v15, s18, v15
	v_lshlrev_b32_e32 v36, 2, v15
	v_ashrrev_i32_e32 v37, 31, v36
	v_lshlrev_b64 v[36:37], 2, v[36:37]
	v_add_co_u32_e32 v36, vcc, s6, v36
	v_addc_co_u32_e32 v37, vcc, v3, v37, vcc
	global_load_dwordx4 v[36:39], v[36:37], off
	s_waitcnt vmcnt(4)
	v_mov_b32_e32 v40, v4
	s_waitcnt vmcnt(3)
	v_mov_b32_e32 v41, v8
	v_mov_b32_e32 v8, v5
	;; [unrolled: 1-line block ×5, first 2 shown]
	s_waitcnt vmcnt(1)
	v_mov_b32_e32 v6, v32
	v_mov_b32_e32 v7, v28
	v_add_co_u32_e32 v24, vcc, 0x400, v24
	v_mov_b32_e32 v28, v33
	v_addc_co_u32_e32 v25, vcc, 0, v25, vcc
	v_mov_b32_e32 v32, v34
	v_mov_b32_e32 v33, v30
	v_cmp_eq_u32_e32 vcc, 0, v1
	v_mov_b32_e32 v30, v35
	s_or_b64 s[14:15], vcc, s[14:15]
	s_waitcnt vmcnt(0)
	v_pk_fma_f32 v[20:21], v[40:41], v[36:37], v[20:21] op_sel_hi:[1,0,1]
	v_pk_fma_f32 v[6:7], v[6:7], v[36:37], v[18:19] op_sel_hi:[1,0,1]
	v_pk_fma_f32 v[8:9], v[8:9], v[36:37], v[20:21] op_sel:[0,1,0]
	v_pk_fma_f32 v[6:7], v[28:29], v[36:37], v[6:7] op_sel:[0,1,0]
	v_mov_b32_e32 v34, v39
	v_pk_fma_f32 v[4:5], v[4:5], v[38:39], v[8:9] op_sel_hi:[1,0,1]
	v_pk_fma_f32 v[6:7], v[32:33], v[38:39], v[6:7] op_sel_hi:[1,0,1]
	;; [unrolled: 1-line block ×4, first 2 shown]
	s_andn2_b64 exec, exec, s[14:15]
	s_cbranch_execnz .LBB2_17
; %bb.18:
	s_or_b64 exec, exec, s[14:15]
.LBB2_19:
	s_or_b64 exec, exec, s[10:11]
	v_cmp_lt_u32_e32 vcc, 47, v0
	s_and_saveexec_b64 s[10:11], vcc
	s_cbranch_execz .LBB2_23
; %bb.20:
	s_mov_b64 s[14:15], 0
	v_mov_b32_e32 v15, s13
	v_mov_b32_e32 v28, s7
.LBB2_21:                               ; =>This Inner Loop Header: Depth=1
	global_load_dwordx4 v[0:3], v[24:25], off offset:48
	global_load_dwordx4 v[30:33], v[24:25], off offset:32
	;; [unrolled: 1-line block ×3, first 2 shown]
	global_load_dwordx4 v[34:37], v[24:25], off
	global_load_dwordx4 v[8:11], v[24:25], off offset:1072
	v_ashrrev_i32_e32 v23, 31, v22
	v_lshlrev_b64 v[38:39], 2, v[22:23]
	v_add_co_u32_e32 v82, vcc, s12, v38
	v_addc_co_u32_e32 v83, vcc, v15, v39, vcc
	global_load_dword v23, v[82:83], off
	global_load_dword v29, v[82:83], off offset:64
	global_load_dword v84, v[82:83], off offset:128
	;; [unrolled: 1-line block ×3, first 2 shown]
	global_load_dwordx4 v[38:41], v[24:25], off offset:1056
	global_load_dwordx4 v[42:45], v[24:25], off offset:1040
	;; [unrolled: 1-line block ×11, first 2 shown]
	v_add_co_u32_e32 v24, vcc, 0x1000, v24
	v_add_u32_e32 v22, 64, v22
	v_addc_co_u32_e32 v25, vcc, 0, v25, vcc
	v_cmp_ge_i32_e32 vcc, v22, v26
	s_or_b64 s[14:15], vcc, s[14:15]
	s_waitcnt vmcnt(14)
	v_subrev_u32_e32 v23, s18, v23
	v_lshlrev_b32_e32 v82, 2, v23
	s_waitcnt vmcnt(13)
	v_subrev_u32_e32 v29, s18, v29
	s_waitcnt vmcnt(11)
	v_subrev_u32_e32 v83, s18, v85
	v_lshlrev_b32_e32 v88, 2, v83
	v_ashrrev_i32_e32 v83, 31, v82
	v_mov_b32_e32 v98, v34
	v_subrev_u32_e32 v34, s18, v84
	v_lshlrev_b32_e32 v84, 2, v29
	v_lshlrev_b64 v[82:83], 2, v[82:83]
	v_ashrrev_i32_e32 v85, 31, v84
	v_add_co_u32_e32 v100, vcc, s6, v82
	v_lshlrev_b32_e32 v86, 2, v34
	v_lshlrev_b64 v[84:85], 2, v[84:85]
	v_addc_co_u32_e32 v101, vcc, v28, v83, vcc
	v_ashrrev_i32_e32 v87, 31, v86
	v_add_co_u32_e32 v102, vcc, s6, v84
	v_lshlrev_b64 v[86:87], 2, v[86:87]
	v_addc_co_u32_e32 v103, vcc, v28, v85, vcc
	v_ashrrev_i32_e32 v89, 31, v88
	v_add_co_u32_e32 v104, vcc, s6, v86
	v_lshlrev_b64 v[88:89], 2, v[88:89]
	v_addc_co_u32_e32 v105, vcc, v28, v87, vcc
	v_add_co_u32_e32 v106, vcc, s6, v88
	v_addc_co_u32_e32 v107, vcc, v28, v89, vcc
	global_load_dwordx4 v[82:85], v[100:101], off
	global_load_dwordx4 v[86:89], v[102:103], off
	;; [unrolled: 1-line block ×4, first 2 shown]
	v_mov_b32_e32 v99, v4
	v_mov_b32_e32 v100, v30
	;; [unrolled: 1-line block ×11, first 2 shown]
	s_waitcnt vmcnt(12)
	v_mov_b32_e32 v32, v46
	v_mov_b32_e32 v46, v38
	v_mov_b32_e32 v38, v40
	s_waitcnt vmcnt(8)
	v_mov_b32_e32 v40, v62
	v_mov_b32_e32 v62, v54
	v_mov_b32_e32 v54, v56
	;; [unrolled: 4-line block ×3, first 2 shown]
	v_mov_b32_e32 v33, v42
	v_mov_b32_e32 v42, v47
	;; [unrolled: 1-line block ×27, first 2 shown]
	s_waitcnt vmcnt(3)
	v_pk_fma_f32 v[20:21], v[98:99], v[82:83], v[20:21] op_sel_hi:[1,0,1]
	v_pk_fma_f32 v[18:19], v[100:101], v[82:83], v[18:19] op_sel_hi:[1,0,1]
	v_pk_fma_f32 v[4:5], v[4:5], v[82:83], v[20:21] op_sel:[0,1,0]
	v_pk_fma_f32 v[0:1], v[0:1], v[82:83], v[18:19] op_sel:[0,1,0]
	v_mov_b32_e32 v72, v85
	v_pk_fma_f32 v[4:5], v[34:35], v[84:85], v[4:5] op_sel_hi:[1,0,1]
	v_pk_fma_f32 v[0:1], v[30:31], v[84:85], v[0:1] op_sel_hi:[1,0,1]
	v_pk_fma_f32 v[4:5], v[6:7], v[72:73], v[4:5] op_sel_hi:[1,0,1]
	v_pk_fma_f32 v[0:1], v[2:3], v[72:73], v[0:1] op_sel_hi:[1,0,1]
	s_waitcnt vmcnt(2)
	v_pk_fma_f32 v[2:3], v[32:33], v[86:87], v[4:5] op_sel_hi:[1,0,1]
	v_pk_fma_f32 v[0:1], v[46:47], v[86:87], v[0:1] op_sel_hi:[1,0,1]
	v_pk_fma_f32 v[2:3], v[42:43], v[86:87], v[2:3] op_sel:[0,1,0]
	v_pk_fma_f32 v[0:1], v[8:9], v[86:87], v[0:1] op_sel:[0,1,0]
	v_mov_b32_e32 v80, v89
	v_pk_fma_f32 v[2:3], v[36:37], v[88:89], v[2:3] op_sel_hi:[1,0,1]
	v_pk_fma_f32 v[0:1], v[38:39], v[88:89], v[0:1] op_sel_hi:[1,0,1]
	v_pk_fma_f32 v[2:3], v[44:45], v[80:81], v[2:3] op_sel_hi:[1,0,1]
	v_pk_fma_f32 v[0:1], v[10:11], v[80:81], v[0:1] op_sel_hi:[1,0,1]
	;; [unrolled: 10-line block ×4, first 2 shown]
	s_andn2_b64 exec, exec, s[14:15]
	s_cbranch_execnz .LBB2_21
; %bb.22:
	s_or_b64 exec, exec, s[14:15]
.LBB2_23:
	s_or_b64 exec, exec, s[10:11]
.LBB2_24:
	s_or_b64 exec, exec, s[8:9]
	s_cbranch_execz .LBB2_26
	s_branch .LBB2_37
.LBB2_25:
                                        ; implicit-def: $vgpr19
                                        ; implicit-def: $vgpr21
.LBB2_26:
	v_mov_b32_e32 v19, 0
	v_mov_b32_e32 v18, 0
	;; [unrolled: 1-line block ×4, first 2 shown]
	s_and_saveexec_b64 s[8:9], s[0:1]
	s_cbranch_execz .LBB2_36
; %bb.27:
	v_add_u32_e32 v0, v27, v13
	v_subrev_u32_e32 v0, s18, v0
	v_add_u32_e32 v0, 16, v0
	v_max_i32_e32 v0, v0, v26
	v_not_b32_e32 v1, v27
	v_add3_u32 v0, v0, s18, v1
	v_sub_u32_e32 v0, v0, v13
	v_lshrrev_b32_e32 v1, 4, v0
	v_add_u32_e32 v1, 1, v1
	v_and_b32_e32 v1, 3, v1
	v_mov_b32_e32 v20, 0
	v_cmp_ne_u32_e32 vcc, 0, v1
	v_mov_b32_e32 v21, v20
	v_mov_b32_e32 v18, v20
	;; [unrolled: 1-line block ×3, first 2 shown]
	s_and_saveexec_b64 s[0:1], vcc
	s_cbranch_execz .LBB2_31
; %bb.28:
	v_mov_b32_e32 v19, 0
	v_lshlrev_b32_e32 v1, 6, v1
	s_mov_b64 s[10:11], 0
	v_mov_b32_e32 v2, s13
	v_mov_b32_e32 v3, s7
	;; [unrolled: 1-line block ×5, first 2 shown]
.LBB2_29:                               ; =>This Inner Loop Header: Depth=1
	v_ashrrev_i32_e32 v15, 31, v14
	v_lshlrev_b64 v[4:5], 2, v[14:15]
	v_add_co_u32_e32 v22, vcc, s12, v4
	v_addc_co_u32_e32 v23, vcc, v2, v5, vcc
	global_load_dword v15, v[22:23], off
	global_load_dwordx4 v[4:7], v[16:17], off offset:16
	global_load_dwordx4 v[8:11], v[16:17], off
	v_subrev_u32_e32 v1, 64, v1
	v_add_u32_e32 v14, 16, v14
	s_waitcnt vmcnt(2)
	v_subrev_u32_e32 v15, s18, v15
	v_lshlrev_b32_e32 v22, 2, v15
	v_ashrrev_i32_e32 v23, 31, v22
	v_lshlrev_b64 v[22:23], 2, v[22:23]
	v_add_co_u32_e32 v36, vcc, s6, v22
	v_addc_co_u32_e32 v37, vcc, v3, v23, vcc
	global_load_dwordx4 v[22:25], v[36:37], off
	global_load_dwordx4 v[28:31], v[16:17], off offset:32
	global_load_dwordx4 v[32:35], v[16:17], off offset:48
	v_add_co_u32_e32 v16, vcc, 0x400, v16
	v_addc_co_u32_e32 v17, vcc, 0, v17, vcc
	v_cmp_eq_u32_e32 vcc, 0, v1
	s_or_b64 s[10:11], vcc, s[10:11]
	s_waitcnt vmcnt(2)
	v_pk_fma_f32 v[8:9], v[8:9], v[22:23], v[20:21] op_sel_hi:[1,0,1]
	v_pk_fma_f32 v[10:11], v[10:11], v[22:23], v[18:19] op_sel_hi:[1,0,1]
	v_pk_fma_f32 v[4:5], v[4:5], v[22:23], v[8:9] op_sel:[0,1,0]
	v_pk_fma_f32 v[6:7], v[6:7], v[22:23], v[10:11] op_sel:[0,1,0]
	v_mov_b32_e32 v36, v25
	s_waitcnt vmcnt(1)
	v_pk_fma_f32 v[4:5], v[28:29], v[24:25], v[4:5] op_sel_hi:[1,0,1]
	v_pk_fma_f32 v[6:7], v[30:31], v[24:25], v[6:7] op_sel_hi:[1,0,1]
	s_waitcnt vmcnt(0)
	v_pk_fma_f32 v[20:21], v[32:33], v[36:37], v[4:5] op_sel_hi:[1,0,1]
	v_pk_fma_f32 v[18:19], v[34:35], v[36:37], v[6:7] op_sel_hi:[1,0,1]
	s_andn2_b64 exec, exec, s[10:11]
	s_cbranch_execnz .LBB2_29
; %bb.30:
	s_or_b64 exec, exec, s[10:11]
.LBB2_31:
	s_or_b64 exec, exec, s[0:1]
	v_cmp_lt_u32_e32 vcc, 47, v0
	s_and_saveexec_b64 s[0:1], vcc
	s_cbranch_execz .LBB2_35
; %bb.32:
	s_mov_b64 s[10:11], 0
	v_mov_b32_e32 v0, s13
	v_mov_b32_e32 v1, s7
.LBB2_33:                               ; =>This Inner Loop Header: Depth=1
	v_ashrrev_i32_e32 v15, 31, v14
	v_lshlrev_b64 v[2:3], 2, v[14:15]
	v_add_co_u32_e32 v10, vcc, s12, v2
	v_addc_co_u32_e32 v11, vcc, v0, v3, vcc
	global_load_dword v15, v[10:11], off
	global_load_dword v27, v[10:11], off offset:64
	global_load_dword v72, v[10:11], off offset:128
	;; [unrolled: 1-line block ×3, first 2 shown]
	global_load_dwordx4 v[2:5], v[16:17], off offset:48
	global_load_dwordx4 v[6:9], v[16:17], off offset:32
	global_load_dwordx4 v[22:25], v[16:17], off offset:16
	global_load_dwordx4 v[28:31], v[16:17], off
	global_load_dwordx4 v[32:35], v[16:17], off offset:1072
	global_load_dwordx4 v[36:39], v[16:17], off offset:1056
	;; [unrolled: 1-line block ×7, first 2 shown]
                                        ; kill: killed $vgpr10 killed $vgpr11
	global_load_dwordx4 v[60:63], v[16:17], off offset:2048
	global_load_dwordx4 v[64:67], v[16:17], off offset:3088
	;; [unrolled: 1-line block ×3, first 2 shown]
	v_add_u32_e32 v14, 64, v14
	s_waitcnt vmcnt(17)
	v_subrev_u32_e32 v10, s18, v15
	s_waitcnt vmcnt(16)
	v_subrev_u32_e32 v11, s18, v27
	v_lshlrev_b32_e32 v10, 2, v10
	s_waitcnt vmcnt(15)
	v_subrev_u32_e32 v15, s18, v72
	v_lshlrev_b32_e32 v72, 2, v11
	v_ashrrev_i32_e32 v11, 31, v10
	v_lshlrev_b64 v[10:11], 2, v[10:11]
	s_waitcnt vmcnt(14)
	v_subrev_u32_e32 v27, s18, v73
	v_ashrrev_i32_e32 v73, 31, v72
	v_add_co_u32_e32 v10, vcc, s6, v10
	v_lshlrev_b32_e32 v74, 2, v15
	v_lshlrev_b64 v[72:73], 2, v[72:73]
	v_addc_co_u32_e32 v11, vcc, v1, v11, vcc
	v_ashrrev_i32_e32 v75, 31, v74
	v_add_co_u32_e32 v96, vcc, s6, v72
	v_lshlrev_b32_e32 v76, 2, v27
	v_lshlrev_b64 v[74:75], 2, v[74:75]
	v_addc_co_u32_e32 v97, vcc, v1, v73, vcc
	v_ashrrev_i32_e32 v77, 31, v76
	v_add_co_u32_e32 v98, vcc, s6, v74
	v_lshlrev_b64 v[76:77], 2, v[76:77]
	v_addc_co_u32_e32 v99, vcc, v1, v75, vcc
	v_add_co_u32_e32 v100, vcc, s6, v76
	v_addc_co_u32_e32 v101, vcc, v1, v77, vcc
	global_load_dwordx4 v[72:75], v[10:11], off
	global_load_dwordx4 v[76:79], v[96:97], off
	;; [unrolled: 1-line block ×4, first 2 shown]
	global_load_dwordx4 v[88:91], v[16:17], off offset:3104
	global_load_dwordx4 v[92:95], v[16:17], off offset:3120
	v_add_co_u32_e32 v16, vcc, 0x1000, v16
	v_addc_co_u32_e32 v17, vcc, 0, v17, vcc
	v_cmp_ge_i32_e32 vcc, v14, v26
	s_or_b64 s[10:11], vcc, s[10:11]
	s_waitcnt vmcnt(5)
	v_pk_fma_f32 v[10:11], v[28:29], v[72:73], v[20:21] op_sel_hi:[1,0,1]
	v_pk_fma_f32 v[18:19], v[30:31], v[72:73], v[18:19] op_sel_hi:[1,0,1]
	v_pk_fma_f32 v[10:11], v[22:23], v[72:73], v[10:11] op_sel:[0,1,0]
	v_pk_fma_f32 v[18:19], v[24:25], v[72:73], v[18:19] op_sel:[0,1,0]
	v_mov_b32_e32 v20, v75
	v_pk_fma_f32 v[6:7], v[6:7], v[74:75], v[10:11] op_sel_hi:[1,0,1]
	v_pk_fma_f32 v[8:9], v[8:9], v[74:75], v[18:19] op_sel_hi:[1,0,1]
	v_pk_fma_f32 v[2:3], v[2:3], v[20:21], v[6:7] op_sel_hi:[1,0,1]
	v_pk_fma_f32 v[4:5], v[4:5], v[20:21], v[8:9] op_sel_hi:[1,0,1]
	s_waitcnt vmcnt(4)
	v_pk_fma_f32 v[2:3], v[44:45], v[76:77], v[2:3] op_sel_hi:[1,0,1]
	v_pk_fma_f32 v[4:5], v[46:47], v[76:77], v[4:5] op_sel_hi:[1,0,1]
	v_pk_fma_f32 v[2:3], v[40:41], v[76:77], v[2:3] op_sel:[0,1,0]
	v_pk_fma_f32 v[4:5], v[42:43], v[76:77], v[4:5] op_sel:[0,1,0]
	v_mov_b32_e32 v28, v79
	v_pk_fma_f32 v[2:3], v[36:37], v[78:79], v[2:3] op_sel_hi:[1,0,1]
	v_pk_fma_f32 v[4:5], v[38:39], v[78:79], v[4:5] op_sel_hi:[1,0,1]
	v_pk_fma_f32 v[2:3], v[32:33], v[28:29], v[2:3] op_sel_hi:[1,0,1]
	v_pk_fma_f32 v[4:5], v[34:35], v[28:29], v[4:5] op_sel_hi:[1,0,1]
	;; [unrolled: 10-line block ×3, first 2 shown]
	s_waitcnt vmcnt(2)
	v_pk_fma_f32 v[2:3], v[68:69], v[84:85], v[2:3] op_sel_hi:[1,0,1]
	v_pk_fma_f32 v[4:5], v[70:71], v[84:85], v[4:5] op_sel_hi:[1,0,1]
	v_pk_fma_f32 v[2:3], v[64:65], v[84:85], v[2:3] op_sel:[0,1,0]
	v_pk_fma_f32 v[4:5], v[66:67], v[84:85], v[4:5] op_sel:[0,1,0]
	v_mov_b32_e32 v96, v87
	s_waitcnt vmcnt(1)
	v_pk_fma_f32 v[2:3], v[88:89], v[86:87], v[2:3] op_sel_hi:[1,0,1]
	v_pk_fma_f32 v[4:5], v[90:91], v[86:87], v[4:5] op_sel_hi:[1,0,1]
	s_waitcnt vmcnt(0)
	v_pk_fma_f32 v[20:21], v[92:93], v[96:97], v[2:3] op_sel_hi:[1,0,1]
	v_pk_fma_f32 v[18:19], v[94:95], v[96:97], v[4:5] op_sel_hi:[1,0,1]
	s_andn2_b64 exec, exec, s[10:11]
	s_cbranch_execnz .LBB2_33
; %bb.34:
	s_or_b64 exec, exec, s[10:11]
.LBB2_35:
	s_or_b64 exec, exec, s[0:1]
.LBB2_36:
	s_or_b64 exec, exec, s[8:9]
.LBB2_37:
	v_mov_b32_dpp v0, v20 row_shr:1 row_mask:0xf bank_mask:0xf
	v_mov_b32_dpp v1, v21 row_shr:1 row_mask:0xf bank_mask:0xf
	;; [unrolled: 1-line block ×4, first 2 shown]
	v_pk_add_f32 v[0:1], v[20:21], v[0:1]
	v_pk_add_f32 v[4:5], v[18:19], v[4:5]
	v_cmp_eq_u32_e32 vcc, 15, v13
	v_mov_b32_dpp v2, v0 row_shr:2 row_mask:0xf bank_mask:0xf
	v_mov_b32_dpp v3, v1 row_shr:2 row_mask:0xf bank_mask:0xf
	;; [unrolled: 1-line block ×4, first 2 shown]
	v_pk_add_f32 v[0:1], v[0:1], v[2:3]
	v_pk_add_f32 v[4:5], v[4:5], v[6:7]
	s_nop 0
	v_mov_b32_dpp v2, v0 row_shr:4 row_mask:0xf bank_mask:0xe
	v_mov_b32_dpp v3, v1 row_shr:4 row_mask:0xf bank_mask:0xe
	;; [unrolled: 1-line block ×4, first 2 shown]
	v_pk_add_f32 v[0:1], v[0:1], v[2:3]
	v_pk_add_f32 v[4:5], v[4:5], v[6:7]
	s_nop 0
	v_mov_b32_dpp v2, v0 row_shr:8 row_mask:0xf bank_mask:0xc
	v_mov_b32_dpp v3, v1 row_shr:8 row_mask:0xf bank_mask:0xc
	;; [unrolled: 1-line block ×4, first 2 shown]
	s_and_b64 exec, exec, vcc
	s_cbranch_execz .LBB2_10
; %bb.38:
	s_load_dwordx2 s[0:1], s[4:5], 0x50
	v_cmp_eq_f32_e64 s[4:5], s16, 0
	v_pk_add_f32 v[2:3], v[0:1], v[2:3]
	v_pk_add_f32 v[0:1], v[4:5], v[6:7]
	s_and_b64 vcc, exec, s[4:5]
	v_lshlrev_b32_e32 v4, 2, v12
	s_cbranch_vccz .LBB2_40
; %bb.39:
	v_ashrrev_i32_e32 v5, 31, v4
	v_lshlrev_b64 v[6:7], 2, v[4:5]
	s_waitcnt lgkmcnt(0)
	v_mov_b32_e32 v5, s1
	v_add_co_u32_e32 v10, vcc, s0, v6
	v_addc_co_u32_e32 v11, vcc, v5, v7, vcc
	v_pk_mul_f32 v[6:7], s[2:3], v[2:3] op_sel_hi:[0,1]
	v_pk_mul_f32 v[8:9], s[2:3], v[0:1] op_sel_hi:[0,1]
	global_store_dwordx4 v[10:11], v[6:9], off
	s_cbranch_execnz .LBB2_10
	s_branch .LBB2_41
.LBB2_40:
.LBB2_41:
	v_ashrrev_i32_e32 v5, 31, v4
	v_lshlrev_b64 v[4:5], 2, v[4:5]
	s_waitcnt lgkmcnt(0)
	v_mov_b32_e32 v6, s1
	v_add_co_u32_e32 v8, vcc, s0, v4
	v_addc_co_u32_e32 v9, vcc, v6, v5, vcc
	global_load_dwordx4 v[4:7], v[8:9], off
	v_pk_mul_f32 v[2:3], s[2:3], v[2:3] op_sel_hi:[0,1]
	v_pk_mul_f32 v[10:11], s[2:3], v[0:1] op_sel_hi:[0,1]
	s_waitcnt vmcnt(0)
	v_pk_fma_f32 v[0:1], s[16:17], v[4:5], v[2:3] op_sel_hi:[0,1,1]
	v_pk_fma_f32 v[2:3], s[16:17], v[6:7], v[10:11] op_sel_hi:[0,1,1]
	global_store_dwordx4 v[8:9], v[0:3], off
	s_endpgm
	.section	.rodata,"a",@progbits
	.p2align	6, 0x0
	.amdhsa_kernel _ZN9rocsparseL18bsrxmvn_4x4_kernelILj128ELj16EfiifffEEvT3_20rocsparse_direction_NS_24const_host_device_scalarIT1_EES1_PKS1_PKT2_SA_S7_PKT4_PKT5_S5_PT6_21rocsparse_index_base_b
		.amdhsa_group_segment_fixed_size 0
		.amdhsa_private_segment_fixed_size 0
		.amdhsa_kernarg_size 96
		.amdhsa_user_sgpr_count 6
		.amdhsa_user_sgpr_private_segment_buffer 1
		.amdhsa_user_sgpr_dispatch_ptr 0
		.amdhsa_user_sgpr_queue_ptr 0
		.amdhsa_user_sgpr_kernarg_segment_ptr 1
		.amdhsa_user_sgpr_dispatch_id 0
		.amdhsa_user_sgpr_flat_scratch_init 0
		.amdhsa_user_sgpr_kernarg_preload_length 0
		.amdhsa_user_sgpr_kernarg_preload_offset 0
		.amdhsa_user_sgpr_private_segment_size 0
		.amdhsa_uses_dynamic_stack 0
		.amdhsa_system_sgpr_private_segment_wavefront_offset 0
		.amdhsa_system_sgpr_workgroup_id_x 1
		.amdhsa_system_sgpr_workgroup_id_y 0
		.amdhsa_system_sgpr_workgroup_id_z 0
		.amdhsa_system_sgpr_workgroup_info 0
		.amdhsa_system_vgpr_workitem_id 0
		.amdhsa_next_free_vgpr 108
		.amdhsa_next_free_sgpr 20
		.amdhsa_accum_offset 108
		.amdhsa_reserve_vcc 1
		.amdhsa_reserve_flat_scratch 0
		.amdhsa_float_round_mode_32 0
		.amdhsa_float_round_mode_16_64 0
		.amdhsa_float_denorm_mode_32 3
		.amdhsa_float_denorm_mode_16_64 3
		.amdhsa_dx10_clamp 1
		.amdhsa_ieee_mode 1
		.amdhsa_fp16_overflow 0
		.amdhsa_tg_split 0
		.amdhsa_exception_fp_ieee_invalid_op 0
		.amdhsa_exception_fp_denorm_src 0
		.amdhsa_exception_fp_ieee_div_zero 0
		.amdhsa_exception_fp_ieee_overflow 0
		.amdhsa_exception_fp_ieee_underflow 0
		.amdhsa_exception_fp_ieee_inexact 0
		.amdhsa_exception_int_div_zero 0
	.end_amdhsa_kernel
	.section	.text._ZN9rocsparseL18bsrxmvn_4x4_kernelILj128ELj16EfiifffEEvT3_20rocsparse_direction_NS_24const_host_device_scalarIT1_EES1_PKS1_PKT2_SA_S7_PKT4_PKT5_S5_PT6_21rocsparse_index_base_b,"axG",@progbits,_ZN9rocsparseL18bsrxmvn_4x4_kernelILj128ELj16EfiifffEEvT3_20rocsparse_direction_NS_24const_host_device_scalarIT1_EES1_PKS1_PKT2_SA_S7_PKT4_PKT5_S5_PT6_21rocsparse_index_base_b,comdat
.Lfunc_end2:
	.size	_ZN9rocsparseL18bsrxmvn_4x4_kernelILj128ELj16EfiifffEEvT3_20rocsparse_direction_NS_24const_host_device_scalarIT1_EES1_PKS1_PKT2_SA_S7_PKT4_PKT5_S5_PT6_21rocsparse_index_base_b, .Lfunc_end2-_ZN9rocsparseL18bsrxmvn_4x4_kernelILj128ELj16EfiifffEEvT3_20rocsparse_direction_NS_24const_host_device_scalarIT1_EES1_PKS1_PKT2_SA_S7_PKT4_PKT5_S5_PT6_21rocsparse_index_base_b
                                        ; -- End function
	.section	.AMDGPU.csdata,"",@progbits
; Kernel info:
; codeLenInByte = 3204
; NumSgprs: 24
; NumVgprs: 108
; NumAgprs: 0
; TotalNumVgprs: 108
; ScratchSize: 0
; MemoryBound: 0
; FloatMode: 240
; IeeeMode: 1
; LDSByteSize: 0 bytes/workgroup (compile time only)
; SGPRBlocks: 2
; VGPRBlocks: 13
; NumSGPRsForWavesPerEU: 24
; NumVGPRsForWavesPerEU: 108
; AccumOffset: 108
; Occupancy: 4
; WaveLimiterHint : 1
; COMPUTE_PGM_RSRC2:SCRATCH_EN: 0
; COMPUTE_PGM_RSRC2:USER_SGPR: 6
; COMPUTE_PGM_RSRC2:TRAP_HANDLER: 0
; COMPUTE_PGM_RSRC2:TGID_X_EN: 1
; COMPUTE_PGM_RSRC2:TGID_Y_EN: 0
; COMPUTE_PGM_RSRC2:TGID_Z_EN: 0
; COMPUTE_PGM_RSRC2:TIDIG_COMP_CNT: 0
; COMPUTE_PGM_RSRC3_GFX90A:ACCUM_OFFSET: 26
; COMPUTE_PGM_RSRC3_GFX90A:TG_SPLIT: 0
	.section	.text._ZN9rocsparseL18bsrxmvn_4x4_kernelILj128ELj32EfiifffEEvT3_20rocsparse_direction_NS_24const_host_device_scalarIT1_EES1_PKS1_PKT2_SA_S7_PKT4_PKT5_S5_PT6_21rocsparse_index_base_b,"axG",@progbits,_ZN9rocsparseL18bsrxmvn_4x4_kernelILj128ELj32EfiifffEEvT3_20rocsparse_direction_NS_24const_host_device_scalarIT1_EES1_PKS1_PKT2_SA_S7_PKT4_PKT5_S5_PT6_21rocsparse_index_base_b,comdat
	.globl	_ZN9rocsparseL18bsrxmvn_4x4_kernelILj128ELj32EfiifffEEvT3_20rocsparse_direction_NS_24const_host_device_scalarIT1_EES1_PKS1_PKT2_SA_S7_PKT4_PKT5_S5_PT6_21rocsparse_index_base_b ; -- Begin function _ZN9rocsparseL18bsrxmvn_4x4_kernelILj128ELj32EfiifffEEvT3_20rocsparse_direction_NS_24const_host_device_scalarIT1_EES1_PKS1_PKT2_SA_S7_PKT4_PKT5_S5_PT6_21rocsparse_index_base_b
	.p2align	8
	.type	_ZN9rocsparseL18bsrxmvn_4x4_kernelILj128ELj32EfiifffEEvT3_20rocsparse_direction_NS_24const_host_device_scalarIT1_EES1_PKS1_PKT2_SA_S7_PKT4_PKT5_S5_PT6_21rocsparse_index_base_b,@function
_ZN9rocsparseL18bsrxmvn_4x4_kernelILj128ELj32EfiifffEEvT3_20rocsparse_direction_NS_24const_host_device_scalarIT1_EES1_PKS1_PKT2_SA_S7_PKT4_PKT5_S5_PT6_21rocsparse_index_base_b: ; @_ZN9rocsparseL18bsrxmvn_4x4_kernelILj128ELj32EfiifffEEvT3_20rocsparse_direction_NS_24const_host_device_scalarIT1_EES1_PKS1_PKT2_SA_S7_PKT4_PKT5_S5_PT6_21rocsparse_index_base_b
; %bb.0:
	s_load_dwordx2 s[20:21], s[4:5], 0x58
	s_load_dwordx2 s[16:17], s[4:5], 0x8
	;; [unrolled: 1-line block ×3, first 2 shown]
	s_waitcnt lgkmcnt(0)
	s_bitcmp1_b32 s21, 0
	s_cselect_b64 s[2:3], -1, 0
	s_xor_b64 s[0:1], s[2:3], -1
	s_and_b64 vcc, exec, s[2:3]
	s_cbranch_vccnz .LBB3_2
; %bb.1:
	s_load_dword s16, s[16:17], 0x0
.LBB3_2:
	s_andn2_b64 vcc, exec, s[0:1]
	s_cbranch_vccnz .LBB3_4
; %bb.3:
	s_load_dword s18, s[18:19], 0x0
.LBB3_4:
	s_waitcnt lgkmcnt(0)
	v_cmp_neq_f32_e64 s[0:1], s16, 0
	v_cmp_neq_f32_e64 s[2:3], s18, 1.0
	s_or_b64 s[0:1], s[0:1], s[2:3]
	s_andn2_b64 vcc, exec, s[0:1]
	s_cbranch_vccnz .LBB3_10
; %bb.5:
	s_load_dwordx2 s[8:9], s[4:5], 0x18
	s_load_dwordx2 s[0:1], s[4:5], 0x0
	v_lshrrev_b32_e32 v1, 5, v0
	v_lshl_or_b32 v16, s6, 2, v1
	s_mov_b64 s[2:3], 0
	s_waitcnt lgkmcnt(0)
	s_cmp_lg_u64 s[8:9], 0
	s_cbranch_scc0 .LBB3_11
; %bb.6:
	s_load_dword s6, s[4:5], 0x10
                                        ; implicit-def: $vgpr1
	s_waitcnt lgkmcnt(0)
	v_cmp_gt_i32_e32 vcc, s6, v16
	s_and_saveexec_b64 s[6:7], vcc
	s_xor_b64 s[6:7], exec, s[6:7]
	s_cbranch_execz .LBB3_8
; %bb.7:
	v_ashrrev_i32_e32 v17, 31, v16
	v_lshlrev_b64 v[2:3], 2, v[16:17]
	v_mov_b32_e32 v1, s9
	v_add_co_u32_e32 v2, vcc, s8, v2
	v_addc_co_u32_e32 v3, vcc, v1, v3, vcc
	global_load_dword v1, v[2:3], off
	s_mov_b64 s[2:3], exec
	s_waitcnt vmcnt(0)
	v_subrev_u32_e32 v1, s20, v1
.LBB3_8:
	s_or_b64 exec, exec, s[6:7]
	s_branch .LBB3_12
.LBB3_9:
	v_cmp_gt_i32_e32 vcc, s0, v16
	s_andn2_b64 s[2:3], s[2:3], exec
	s_and_b64 s[6:7], vcc, exec
	s_or_b64 s[2:3], s[2:3], s[6:7]
	s_and_saveexec_b64 s[6:7], s[2:3]
	s_cbranch_execnz .LBB3_13
.LBB3_10:
	s_endpgm
.LBB3_11:
                                        ; implicit-def: $vgpr1
	s_cbranch_execnz .LBB3_9
.LBB3_12:
	v_mov_b32_e32 v16, v1
	s_and_saveexec_b64 s[6:7], s[2:3]
	s_cbranch_execz .LBB3_10
.LBB3_13:
	s_load_dwordx8 s[8:15], s[4:5], 0x20
	v_ashrrev_i32_e32 v17, 31, v16
	v_lshlrev_b64 v[2:3], 2, v[16:17]
	v_and_b32_e32 v17, 31, v0
	s_load_dwordx2 s[6:7], s[4:5], 0x40
	s_waitcnt lgkmcnt(0)
	v_mov_b32_e32 v1, s9
	v_add_co_u32_e32 v4, vcc, s8, v2
	v_addc_co_u32_e32 v5, vcc, v1, v3, vcc
	v_add_co_u32_e32 v1, vcc, 4, v4
	global_load_dword v31, v[4:5], off
	v_addc_co_u32_e32 v4, vcc, 0, v5, vcc
	v_mov_b32_e32 v5, s11
	v_add_co_u32_e32 v2, vcc, s10, v2
	s_cmp_eq_u64 s[10:11], 0
	v_addc_co_u32_e32 v3, vcc, v5, v3, vcc
	s_cselect_b64 vcc, -1, 0
	v_cndmask_b32_e32 v3, v3, v4, vcc
	v_cndmask_b32_e32 v2, v2, v1, vcc
	global_load_dword v1, v[2:3], off
	v_mov_b32_e32 v2, s15
	s_cmp_eq_u32 s1, 1
	s_waitcnt vmcnt(1)
	v_subrev_u32_e32 v0, s20, v31
	v_add_u32_e32 v18, v0, v17
	v_ashrrev_i32_e32 v19, 31, v18
	s_waitcnt vmcnt(0)
	v_subrev_u32_e32 v30, s20, v1
	v_lshlrev_b64 v[0:1], 6, v[18:19]
	v_add_co_u32_e32 v20, vcc, s14, v0
	v_addc_co_u32_e32 v21, vcc, v2, v1, vcc
	v_cmp_lt_i32_e64 s[0:1], v18, v30
	s_cbranch_scc1 .LBB3_25
; %bb.14:
	s_mov_b32 s2, 0
	v_mov_b32_e32 v23, 0
	v_mov_b32_e32 v22, 0
	;; [unrolled: 1-line block ×4, first 2 shown]
	s_and_saveexec_b64 s[8:9], s[0:1]
	s_cbranch_execz .LBB3_24
; %bb.15:
	v_add_u32_e32 v0, v31, v17
	v_subrev_u32_e32 v0, s20, v0
	v_add_u32_e32 v0, 32, v0
	v_max_i32_e32 v0, v0, v30
	v_not_b32_e32 v1, v31
	v_add3_u32 v0, v0, s20, v1
	v_sub_u32_e32 v0, v0, v17
	v_lshrrev_b32_e32 v1, 5, v0
	v_add_u32_e32 v1, 1, v1
	v_and_b32_e32 v1, 3, v1
	s_mov_b32 s3, s2
	v_cmp_ne_u32_e32 vcc, 0, v1
	v_pk_mov_b32 v[24:25], s[2:3], s[2:3] op_sel:[0,1]
	v_pk_mov_b32 v[22:23], s[2:3], s[2:3] op_sel:[0,1]
	v_mov_b32_e32 v26, v18
	v_pk_mov_b32 v[28:29], v[20:21], v[20:21] op_sel:[0,1]
	s_and_saveexec_b64 s[2:3], vcc
	s_cbranch_execz .LBB3_19
; %bb.16:
	v_mov_b32_e32 v22, 0
	v_lshlrev_b32_e32 v1, 6, v1
	s_mov_b64 s[10:11], 0
	v_mov_b32_e32 v2, s13
	v_mov_b32_e32 v3, s7
	v_pk_mov_b32 v[28:29], v[20:21], v[20:21] op_sel:[0,1]
	v_mov_b32_e32 v26, v18
	v_mov_b32_e32 v23, v22
	;; [unrolled: 1-line block ×4, first 2 shown]
.LBB3_17:                               ; =>This Inner Loop Header: Depth=1
	v_ashrrev_i32_e32 v27, 31, v26
	v_lshlrev_b64 v[4:5], 2, v[26:27]
	v_add_co_u32_e32 v36, vcc, s12, v4
	v_addc_co_u32_e32 v37, vcc, v2, v5, vcc
	global_load_dword v19, v[36:37], off
	global_load_dwordx4 v[4:7], v[28:29], off
	global_load_dwordx4 v[8:11], v[28:29], off offset:16
	global_load_dwordx4 v[12:15], v[28:29], off offset:48
	;; [unrolled: 1-line block ×3, first 2 shown]
	v_subrev_u32_e32 v1, 64, v1
	v_add_u32_e32 v26, 32, v26
	s_waitcnt vmcnt(4)
	v_subrev_u32_e32 v19, s20, v19
	v_lshlrev_b32_e32 v36, 2, v19
	v_ashrrev_i32_e32 v37, 31, v36
	v_lshlrev_b64 v[36:37], 2, v[36:37]
	v_add_co_u32_e32 v36, vcc, s6, v36
	v_addc_co_u32_e32 v37, vcc, v3, v37, vcc
	global_load_dwordx4 v[36:39], v[36:37], off
	s_waitcnt vmcnt(4)
	v_mov_b32_e32 v40, v4
	s_waitcnt vmcnt(3)
	v_mov_b32_e32 v41, v8
	v_mov_b32_e32 v8, v5
	;; [unrolled: 1-line block ×5, first 2 shown]
	s_waitcnt vmcnt(1)
	v_mov_b32_e32 v6, v32
	v_mov_b32_e32 v7, v12
	v_add_co_u32_e32 v28, vcc, 0x800, v28
	v_mov_b32_e32 v12, v33
	v_addc_co_u32_e32 v29, vcc, 0, v29, vcc
	v_mov_b32_e32 v32, v34
	v_mov_b32_e32 v33, v14
	v_cmp_eq_u32_e32 vcc, 0, v1
	v_mov_b32_e32 v14, v35
	s_or_b64 s[10:11], vcc, s[10:11]
	s_waitcnt vmcnt(0)
	v_pk_fma_f32 v[24:25], v[40:41], v[36:37], v[24:25] op_sel_hi:[1,0,1]
	v_pk_fma_f32 v[6:7], v[6:7], v[36:37], v[22:23] op_sel_hi:[1,0,1]
	v_pk_fma_f32 v[8:9], v[8:9], v[36:37], v[24:25] op_sel:[0,1,0]
	v_pk_fma_f32 v[6:7], v[12:13], v[36:37], v[6:7] op_sel:[0,1,0]
	v_mov_b32_e32 v34, v39
	v_pk_fma_f32 v[4:5], v[4:5], v[38:39], v[8:9] op_sel_hi:[1,0,1]
	v_pk_fma_f32 v[6:7], v[32:33], v[38:39], v[6:7] op_sel_hi:[1,0,1]
	;; [unrolled: 1-line block ×4, first 2 shown]
	s_andn2_b64 exec, exec, s[10:11]
	s_cbranch_execnz .LBB3_17
; %bb.18:
	s_or_b64 exec, exec, s[10:11]
.LBB3_19:
	s_or_b64 exec, exec, s[2:3]
	s_movk_i32 s2, 0x5f
	v_cmp_lt_u32_e32 vcc, s2, v0
	s_and_saveexec_b64 s[10:11], vcc
	s_cbranch_execz .LBB3_23
; %bb.20:
	s_mov_b64 s[14:15], 0
	v_mov_b32_e32 v19, s13
	v_mov_b32_e32 v32, s7
	s_movk_i32 s17, 0x1000
.LBB3_21:                               ; =>This Inner Loop Header: Depth=1
	v_ashrrev_i32_e32 v27, 31, v26
	v_lshlrev_b64 v[50:51], 2, v[26:27]
	v_add_co_u32_e32 v50, vcc, s12, v50
	v_addc_co_u32_e32 v51, vcc, v19, v51, vcc
	global_load_dwordx4 v[0:3], v[28:29], off offset:48
	global_load_dwordx4 v[34:37], v[28:29], off offset:32
	;; [unrolled: 1-line block ×3, first 2 shown]
	global_load_dwordx4 v[38:41], v[28:29], off
	global_load_dwordx4 v[8:11], v[28:29], off offset:2096
	global_load_dwordx4 v[42:45], v[28:29], off offset:2080
	;; [unrolled: 1-line block ×4, first 2 shown]
	global_load_dword v27, v[50:51], off
	global_load_dword v33, v[50:51], off offset:128
	global_load_dword v84, v[50:51], off offset:256
	;; [unrolled: 1-line block ×3, first 2 shown]
	v_add_co_u32_e64 v82, s[2:3], s17, v28
	v_addc_co_u32_e64 v83, s[2:3], 0, v29, s[2:3]
	v_add_co_u32_e32 v28, vcc, 0x2000, v28
	global_load_dwordx4 v[50:53], v[82:83], off offset:48
	global_load_dwordx4 v[54:57], v[82:83], off offset:32
	global_load_dwordx4 v[58:61], v[82:83], off
	global_load_dwordx4 v[62:65], v[82:83], off offset:16
	global_load_dwordx4 v[66:69], v[82:83], off offset:2096
	;; [unrolled: 1-line block ×5, first 2 shown]
	v_add_u32_e32 v26, 0x80, v26
	v_addc_co_u32_e32 v29, vcc, 0, v29, vcc
	v_cmp_ge_i32_e32 vcc, v26, v30
	s_or_b64 s[14:15], vcc, s[14:15]
	s_waitcnt vmcnt(17)
	v_mov_b32_e32 v99, v4
	s_waitcnt vmcnt(16)
	v_mov_b32_e32 v98, v38
	v_mov_b32_e32 v4, v39
	s_waitcnt vmcnt(11)
	v_subrev_u32_e32 v27, s20, v27
	v_lshlrev_b32_e32 v82, 2, v27
	s_waitcnt vmcnt(10)
	v_subrev_u32_e32 v33, s20, v33
	s_waitcnt vmcnt(8)
	v_subrev_u32_e32 v83, s20, v85
	v_lshlrev_b32_e32 v88, 2, v83
	v_ashrrev_i32_e32 v83, 31, v82
	v_subrev_u32_e32 v38, s20, v84
	v_lshlrev_b32_e32 v84, 2, v33
	v_lshlrev_b64 v[82:83], 2, v[82:83]
	v_ashrrev_i32_e32 v85, 31, v84
	v_add_co_u32_e32 v100, vcc, s6, v82
	v_lshlrev_b32_e32 v86, 2, v38
	v_lshlrev_b64 v[84:85], 2, v[84:85]
	v_addc_co_u32_e32 v101, vcc, v32, v83, vcc
	v_ashrrev_i32_e32 v87, 31, v86
	v_add_co_u32_e32 v102, vcc, s6, v84
	v_lshlrev_b64 v[86:87], 2, v[86:87]
	v_addc_co_u32_e32 v103, vcc, v32, v85, vcc
	v_ashrrev_i32_e32 v89, 31, v88
	v_add_co_u32_e32 v104, vcc, s6, v86
	v_lshlrev_b64 v[88:89], 2, v[88:89]
	v_addc_co_u32_e32 v105, vcc, v32, v87, vcc
	v_add_co_u32_e32 v106, vcc, s6, v88
	v_addc_co_u32_e32 v107, vcc, v32, v89, vcc
	global_load_dwordx4 v[82:85], v[100:101], off
	global_load_dwordx4 v[86:89], v[102:103], off
	;; [unrolled: 1-line block ×4, first 2 shown]
	v_mov_b32_e32 v100, v34
	v_mov_b32_e32 v101, v0
	;; [unrolled: 1-line block ×12, first 2 shown]
	s_waitcnt vmcnt(9)
	v_mov_b32_e32 v44, v58
	v_mov_b32_e32 v58, v54
	;; [unrolled: 1-line block ×3, first 2 shown]
	s_waitcnt vmcnt(4)
	v_mov_b32_e32 v56, v78
	v_mov_b32_e32 v78, v70
	;; [unrolled: 1-line block ×30, first 2 shown]
	s_waitcnt vmcnt(3)
	v_pk_fma_f32 v[24:25], v[98:99], v[82:83], v[24:25] op_sel_hi:[1,0,1]
	v_pk_fma_f32 v[22:23], v[100:101], v[82:83], v[22:23] op_sel_hi:[1,0,1]
	v_pk_fma_f32 v[4:5], v[4:5], v[82:83], v[24:25] op_sel:[0,1,0]
	v_pk_fma_f32 v[0:1], v[0:1], v[82:83], v[22:23] op_sel:[0,1,0]
	v_mov_b32_e32 v72, v85
	v_pk_fma_f32 v[4:5], v[38:39], v[84:85], v[4:5] op_sel_hi:[1,0,1]
	v_pk_fma_f32 v[0:1], v[34:35], v[84:85], v[0:1] op_sel_hi:[1,0,1]
	v_pk_fma_f32 v[4:5], v[6:7], v[72:73], v[4:5] op_sel_hi:[1,0,1]
	v_pk_fma_f32 v[0:1], v[2:3], v[72:73], v[0:1] op_sel_hi:[1,0,1]
	s_waitcnt vmcnt(2)
	v_pk_fma_f32 v[2:3], v[36:37], v[86:87], v[4:5] op_sel_hi:[1,0,1]
	v_pk_fma_f32 v[0:1], v[46:47], v[86:87], v[0:1] op_sel_hi:[1,0,1]
	v_pk_fma_f32 v[2:3], v[12:13], v[86:87], v[2:3] op_sel:[0,1,0]
	v_pk_fma_f32 v[0:1], v[8:9], v[86:87], v[0:1] op_sel:[0,1,0]
	v_mov_b32_e32 v80, v89
	v_pk_fma_f32 v[2:3], v[40:41], v[88:89], v[2:3] op_sel_hi:[1,0,1]
	v_pk_fma_f32 v[0:1], v[42:43], v[88:89], v[0:1] op_sel_hi:[1,0,1]
	v_pk_fma_f32 v[2:3], v[14:15], v[80:81], v[2:3] op_sel_hi:[1,0,1]
	v_pk_fma_f32 v[0:1], v[10:11], v[80:81], v[0:1] op_sel_hi:[1,0,1]
	;; [unrolled: 10-line block ×4, first 2 shown]
	s_andn2_b64 exec, exec, s[14:15]
	s_cbranch_execnz .LBB3_21
; %bb.22:
	s_or_b64 exec, exec, s[14:15]
.LBB3_23:
	s_or_b64 exec, exec, s[10:11]
.LBB3_24:
	s_or_b64 exec, exec, s[8:9]
	s_cbranch_execz .LBB3_26
	s_branch .LBB3_37
.LBB3_25:
                                        ; implicit-def: $vgpr23
                                        ; implicit-def: $vgpr25
.LBB3_26:
	s_mov_b32 s8, 0
	v_mov_b32_e32 v23, 0
	v_mov_b32_e32 v22, 0
	;; [unrolled: 1-line block ×4, first 2 shown]
	s_and_saveexec_b64 s[2:3], s[0:1]
	s_cbranch_execz .LBB3_36
; %bb.27:
	v_add_u32_e32 v0, v31, v17
	v_subrev_u32_e32 v0, s20, v0
	v_add_u32_e32 v0, 32, v0
	v_max_i32_e32 v0, v0, v30
	v_not_b32_e32 v1, v31
	v_add3_u32 v0, v0, s20, v1
	v_sub_u32_e32 v0, v0, v17
	v_lshrrev_b32_e32 v1, 5, v0
	v_add_u32_e32 v1, 1, v1
	v_and_b32_e32 v1, 3, v1
	s_mov_b32 s9, s8
	v_cmp_ne_u32_e32 vcc, 0, v1
	v_pk_mov_b32 v[24:25], s[8:9], s[8:9] op_sel:[0,1]
	v_pk_mov_b32 v[22:23], s[8:9], s[8:9] op_sel:[0,1]
	s_and_saveexec_b64 s[0:1], vcc
	s_cbranch_execz .LBB3_31
; %bb.28:
	v_mov_b32_e32 v22, 0
	v_lshlrev_b32_e32 v1, 6, v1
	s_mov_b64 s[8:9], 0
	v_mov_b32_e32 v2, s13
	v_mov_b32_e32 v3, s7
	;; [unrolled: 1-line block ×5, first 2 shown]
.LBB3_29:                               ; =>This Inner Loop Header: Depth=1
	v_ashrrev_i32_e32 v19, 31, v18
	v_lshlrev_b64 v[4:5], 2, v[18:19]
	v_add_co_u32_e32 v12, vcc, s12, v4
	v_addc_co_u32_e32 v13, vcc, v2, v5, vcc
	global_load_dword v14, v[12:13], off
	global_load_dwordx4 v[4:7], v[20:21], off offset:16
	global_load_dwordx4 v[8:11], v[20:21], off
	v_subrev_u32_e32 v1, 64, v1
	v_add_u32_e32 v18, 32, v18
	s_waitcnt vmcnt(2)
	v_subrev_u32_e32 v12, s20, v14
	v_lshlrev_b32_e32 v12, 2, v12
	v_ashrrev_i32_e32 v13, 31, v12
	v_lshlrev_b64 v[12:13], 2, v[12:13]
	v_add_co_u32_e32 v36, vcc, s6, v12
	v_addc_co_u32_e32 v37, vcc, v3, v13, vcc
	global_load_dwordx4 v[12:15], v[36:37], off
	global_load_dwordx4 v[26:29], v[20:21], off offset:32
	global_load_dwordx4 v[32:35], v[20:21], off offset:48
	v_add_co_u32_e32 v20, vcc, 0x800, v20
	v_addc_co_u32_e32 v21, vcc, 0, v21, vcc
	v_cmp_eq_u32_e32 vcc, 0, v1
	s_or_b64 s[8:9], vcc, s[8:9]
	s_waitcnt vmcnt(2)
	v_pk_fma_f32 v[8:9], v[8:9], v[12:13], v[24:25] op_sel_hi:[1,0,1]
	v_pk_fma_f32 v[10:11], v[10:11], v[12:13], v[22:23] op_sel_hi:[1,0,1]
	v_pk_fma_f32 v[4:5], v[4:5], v[12:13], v[8:9] op_sel:[0,1,0]
	v_pk_fma_f32 v[6:7], v[6:7], v[12:13], v[10:11] op_sel:[0,1,0]
	v_mov_b32_e32 v22, v15
	s_waitcnt vmcnt(1)
	v_pk_fma_f32 v[4:5], v[26:27], v[14:15], v[4:5] op_sel_hi:[1,0,1]
	v_pk_fma_f32 v[6:7], v[28:29], v[14:15], v[6:7] op_sel_hi:[1,0,1]
	s_waitcnt vmcnt(0)
	v_pk_fma_f32 v[24:25], v[32:33], v[22:23], v[4:5] op_sel_hi:[1,0,1]
	v_pk_fma_f32 v[22:23], v[34:35], v[22:23], v[6:7] op_sel_hi:[1,0,1]
	s_andn2_b64 exec, exec, s[8:9]
	s_cbranch_execnz .LBB3_29
; %bb.30:
	s_or_b64 exec, exec, s[8:9]
.LBB3_31:
	s_or_b64 exec, exec, s[0:1]
	s_movk_i32 s0, 0x5f
	v_cmp_lt_u32_e32 vcc, s0, v0
	s_and_saveexec_b64 s[0:1], vcc
	s_cbranch_execz .LBB3_35
; %bb.32:
	s_mov_b64 s[8:9], 0
	v_mov_b32_e32 v0, s13
	v_mov_b32_e32 v1, s7
	s_movk_i32 s7, 0x1000
.LBB3_33:                               ; =>This Inner Loop Header: Depth=1
	v_ashrrev_i32_e32 v19, 31, v18
	v_lshlrev_b64 v[2:3], 2, v[18:19]
	v_add_co_u32_e32 v14, vcc, s12, v2
	v_addc_co_u32_e32 v15, vcc, v0, v3, vcc
	global_load_dword v19, v[14:15], off
	global_load_dword v31, v[14:15], off offset:128
	global_load_dword v72, v[14:15], off offset:256
	;; [unrolled: 1-line block ×3, first 2 shown]
	global_load_dwordx4 v[2:5], v[20:21], off offset:48
	global_load_dwordx4 v[6:9], v[20:21], off offset:32
	;; [unrolled: 1-line block ×3, first 2 shown]
	global_load_dwordx4 v[26:29], v[20:21], off
	global_load_dwordx4 v[32:35], v[20:21], off offset:2096
	global_load_dwordx4 v[36:39], v[20:21], off offset:2080
	;; [unrolled: 1-line block ×4, first 2 shown]
	v_add_co_u32_e32 v14, vcc, s7, v20
	v_addc_co_u32_e32 v15, vcc, 0, v21, vcc
	global_load_dwordx4 v[48:51], v[14:15], off offset:48
	global_load_dwordx4 v[52:55], v[14:15], off offset:32
	global_load_dwordx4 v[56:59], v[14:15], off
	global_load_dwordx4 v[60:63], v[14:15], off offset:16
	global_load_dwordx4 v[64:67], v[14:15], off offset:2064
	;; [unrolled: 1-line block ×3, first 2 shown]
	v_add_u32_e32 v18, 0x80, v18
	s_waitcnt vmcnt(17)
	v_subrev_u32_e32 v19, s20, v19
	s_waitcnt vmcnt(16)
	v_subrev_u32_e32 v31, s20, v31
	;; [unrolled: 2-line block ×4, first 2 shown]
	v_lshlrev_b32_e32 v72, 2, v19
	v_lshlrev_b32_e32 v78, 2, v73
	v_ashrrev_i32_e32 v73, 31, v72
	v_lshlrev_b32_e32 v74, 2, v31
	v_lshlrev_b64 v[72:73], 2, v[72:73]
	v_lshlrev_b32_e32 v76, 2, v75
	v_ashrrev_i32_e32 v75, 31, v74
	v_add_co_u32_e32 v96, vcc, s6, v72
	v_lshlrev_b64 v[74:75], 2, v[74:75]
	v_addc_co_u32_e32 v97, vcc, v1, v73, vcc
	v_ashrrev_i32_e32 v77, 31, v76
	v_add_co_u32_e32 v98, vcc, s6, v74
	v_lshlrev_b64 v[76:77], 2, v[76:77]
	v_addc_co_u32_e32 v99, vcc, v1, v75, vcc
	;; [unrolled: 4-line block ×3, first 2 shown]
	v_add_co_u32_e32 v102, vcc, s6, v78
	v_addc_co_u32_e32 v103, vcc, v1, v79, vcc
	global_load_dwordx4 v[72:75], v[96:97], off
	global_load_dwordx4 v[76:79], v[98:99], off
	;; [unrolled: 1-line block ×4, first 2 shown]
	global_load_dwordx4 v[88:91], v[14:15], off offset:2080
	global_load_dwordx4 v[92:95], v[14:15], off offset:2096
	v_add_co_u32_e32 v20, vcc, 0x2000, v20
	v_addc_co_u32_e32 v21, vcc, 0, v21, vcc
	v_cmp_ge_i32_e32 vcc, v18, v30
	s_or_b64 s[8:9], vcc, s[8:9]
	s_waitcnt vmcnt(5)
	v_pk_fma_f32 v[14:15], v[26:27], v[72:73], v[24:25] op_sel_hi:[1,0,1]
	v_pk_fma_f32 v[22:23], v[28:29], v[72:73], v[22:23] op_sel_hi:[1,0,1]
	v_pk_fma_f32 v[10:11], v[10:11], v[72:73], v[14:15] op_sel:[0,1,0]
	v_pk_fma_f32 v[12:13], v[12:13], v[72:73], v[22:23] op_sel:[0,1,0]
	v_mov_b32_e32 v24, v75
	v_pk_fma_f32 v[6:7], v[6:7], v[74:75], v[10:11] op_sel_hi:[1,0,1]
	v_pk_fma_f32 v[8:9], v[8:9], v[74:75], v[12:13] op_sel_hi:[1,0,1]
	v_pk_fma_f32 v[2:3], v[2:3], v[24:25], v[6:7] op_sel_hi:[1,0,1]
	v_pk_fma_f32 v[4:5], v[4:5], v[24:25], v[8:9] op_sel_hi:[1,0,1]
	s_waitcnt vmcnt(4)
	v_pk_fma_f32 v[2:3], v[44:45], v[76:77], v[2:3] op_sel_hi:[1,0,1]
	v_pk_fma_f32 v[4:5], v[46:47], v[76:77], v[4:5] op_sel_hi:[1,0,1]
	v_pk_fma_f32 v[2:3], v[40:41], v[76:77], v[2:3] op_sel:[0,1,0]
	v_pk_fma_f32 v[4:5], v[42:43], v[76:77], v[4:5] op_sel:[0,1,0]
	v_mov_b32_e32 v26, v79
	v_pk_fma_f32 v[2:3], v[36:37], v[78:79], v[2:3] op_sel_hi:[1,0,1]
	v_pk_fma_f32 v[4:5], v[38:39], v[78:79], v[4:5] op_sel_hi:[1,0,1]
	v_pk_fma_f32 v[2:3], v[32:33], v[26:27], v[2:3] op_sel_hi:[1,0,1]
	v_pk_fma_f32 v[4:5], v[34:35], v[26:27], v[4:5] op_sel_hi:[1,0,1]
	;; [unrolled: 10-line block ×3, first 2 shown]
	s_waitcnt vmcnt(2)
	v_pk_fma_f32 v[2:3], v[68:69], v[84:85], v[2:3] op_sel_hi:[1,0,1]
	v_pk_fma_f32 v[4:5], v[70:71], v[84:85], v[4:5] op_sel_hi:[1,0,1]
	v_pk_fma_f32 v[2:3], v[64:65], v[84:85], v[2:3] op_sel:[0,1,0]
	v_pk_fma_f32 v[4:5], v[66:67], v[84:85], v[4:5] op_sel:[0,1,0]
	v_mov_b32_e32 v96, v87
	s_waitcnt vmcnt(1)
	v_pk_fma_f32 v[2:3], v[88:89], v[86:87], v[2:3] op_sel_hi:[1,0,1]
	v_pk_fma_f32 v[4:5], v[90:91], v[86:87], v[4:5] op_sel_hi:[1,0,1]
	s_waitcnt vmcnt(0)
	v_pk_fma_f32 v[24:25], v[92:93], v[96:97], v[2:3] op_sel_hi:[1,0,1]
	v_pk_fma_f32 v[22:23], v[94:95], v[96:97], v[4:5] op_sel_hi:[1,0,1]
	s_andn2_b64 exec, exec, s[8:9]
	s_cbranch_execnz .LBB3_33
; %bb.34:
	s_or_b64 exec, exec, s[8:9]
.LBB3_35:
	s_or_b64 exec, exec, s[0:1]
.LBB3_36:
	s_or_b64 exec, exec, s[2:3]
.LBB3_37:
	v_mov_b32_dpp v0, v24 row_shr:1 row_mask:0xf bank_mask:0xf
	v_mov_b32_dpp v1, v25 row_shr:1 row_mask:0xf bank_mask:0xf
	;; [unrolled: 1-line block ×4, first 2 shown]
	v_pk_add_f32 v[0:1], v[24:25], v[0:1]
	v_pk_add_f32 v[4:5], v[22:23], v[4:5]
	v_cmp_eq_u32_e32 vcc, 31, v17
	v_mov_b32_dpp v2, v0 row_shr:2 row_mask:0xf bank_mask:0xf
	v_mov_b32_dpp v3, v1 row_shr:2 row_mask:0xf bank_mask:0xf
	v_mov_b32_dpp v6, v4 row_shr:2 row_mask:0xf bank_mask:0xf
	v_mov_b32_dpp v7, v5 row_shr:2 row_mask:0xf bank_mask:0xf
	v_pk_add_f32 v[0:1], v[0:1], v[2:3]
	v_pk_add_f32 v[4:5], v[4:5], v[6:7]
	s_nop 0
	v_mov_b32_dpp v2, v0 row_shr:4 row_mask:0xf bank_mask:0xe
	v_mov_b32_dpp v3, v1 row_shr:4 row_mask:0xf bank_mask:0xe
	v_mov_b32_dpp v6, v4 row_shr:4 row_mask:0xf bank_mask:0xe
	v_mov_b32_dpp v7, v5 row_shr:4 row_mask:0xf bank_mask:0xe
	v_pk_add_f32 v[0:1], v[0:1], v[2:3]
	v_pk_add_f32 v[4:5], v[4:5], v[6:7]
	s_nop 0
	;; [unrolled: 7-line block ×3, first 2 shown]
	v_mov_b32_dpp v2, v0 row_bcast:15 row_mask:0xa bank_mask:0xf
	v_mov_b32_dpp v3, v1 row_bcast:15 row_mask:0xa bank_mask:0xf
	;; [unrolled: 1-line block ×4, first 2 shown]
	s_and_b64 exec, exec, vcc
	s_cbranch_execz .LBB3_10
; %bb.38:
	s_load_dwordx2 s[0:1], s[4:5], 0x50
	v_cmp_eq_f32_e64 s[2:3], s18, 0
	v_pk_add_f32 v[2:3], v[0:1], v[2:3]
	v_pk_add_f32 v[0:1], v[4:5], v[6:7]
	s_and_b64 vcc, exec, s[2:3]
	v_lshlrev_b32_e32 v4, 2, v16
	s_cbranch_vccz .LBB3_40
; %bb.39:
	v_ashrrev_i32_e32 v5, 31, v4
	v_lshlrev_b64 v[6:7], 2, v[4:5]
	s_waitcnt lgkmcnt(0)
	v_mov_b32_e32 v5, s1
	v_add_co_u32_e32 v10, vcc, s0, v6
	v_addc_co_u32_e32 v11, vcc, v5, v7, vcc
	v_pk_mul_f32 v[6:7], s[16:17], v[2:3] op_sel_hi:[0,1]
	v_pk_mul_f32 v[8:9], s[16:17], v[0:1] op_sel_hi:[0,1]
	global_store_dwordx4 v[10:11], v[6:9], off
	s_cbranch_execnz .LBB3_10
	s_branch .LBB3_41
.LBB3_40:
.LBB3_41:
	v_ashrrev_i32_e32 v5, 31, v4
	v_lshlrev_b64 v[4:5], 2, v[4:5]
	s_waitcnt lgkmcnt(0)
	v_mov_b32_e32 v6, s1
	v_add_co_u32_e32 v8, vcc, s0, v4
	v_addc_co_u32_e32 v9, vcc, v6, v5, vcc
	global_load_dwordx4 v[4:7], v[8:9], off
	v_pk_mul_f32 v[2:3], s[16:17], v[2:3] op_sel_hi:[0,1]
	v_pk_mul_f32 v[10:11], s[16:17], v[0:1] op_sel_hi:[0,1]
	s_waitcnt vmcnt(0)
	v_pk_fma_f32 v[0:1], s[18:19], v[4:5], v[2:3] op_sel_hi:[0,1,1]
	v_pk_fma_f32 v[2:3], s[18:19], v[6:7], v[10:11] op_sel_hi:[0,1,1]
	global_store_dwordx4 v[8:9], v[0:3], off
	s_endpgm
	.section	.rodata,"a",@progbits
	.p2align	6, 0x0
	.amdhsa_kernel _ZN9rocsparseL18bsrxmvn_4x4_kernelILj128ELj32EfiifffEEvT3_20rocsparse_direction_NS_24const_host_device_scalarIT1_EES1_PKS1_PKT2_SA_S7_PKT4_PKT5_S5_PT6_21rocsparse_index_base_b
		.amdhsa_group_segment_fixed_size 0
		.amdhsa_private_segment_fixed_size 0
		.amdhsa_kernarg_size 96
		.amdhsa_user_sgpr_count 6
		.amdhsa_user_sgpr_private_segment_buffer 1
		.amdhsa_user_sgpr_dispatch_ptr 0
		.amdhsa_user_sgpr_queue_ptr 0
		.amdhsa_user_sgpr_kernarg_segment_ptr 1
		.amdhsa_user_sgpr_dispatch_id 0
		.amdhsa_user_sgpr_flat_scratch_init 0
		.amdhsa_user_sgpr_kernarg_preload_length 0
		.amdhsa_user_sgpr_kernarg_preload_offset 0
		.amdhsa_user_sgpr_private_segment_size 0
		.amdhsa_uses_dynamic_stack 0
		.amdhsa_system_sgpr_private_segment_wavefront_offset 0
		.amdhsa_system_sgpr_workgroup_id_x 1
		.amdhsa_system_sgpr_workgroup_id_y 0
		.amdhsa_system_sgpr_workgroup_id_z 0
		.amdhsa_system_sgpr_workgroup_info 0
		.amdhsa_system_vgpr_workitem_id 0
		.amdhsa_next_free_vgpr 108
		.amdhsa_next_free_sgpr 22
		.amdhsa_accum_offset 108
		.amdhsa_reserve_vcc 1
		.amdhsa_reserve_flat_scratch 0
		.amdhsa_float_round_mode_32 0
		.amdhsa_float_round_mode_16_64 0
		.amdhsa_float_denorm_mode_32 3
		.amdhsa_float_denorm_mode_16_64 3
		.amdhsa_dx10_clamp 1
		.amdhsa_ieee_mode 1
		.amdhsa_fp16_overflow 0
		.amdhsa_tg_split 0
		.amdhsa_exception_fp_ieee_invalid_op 0
		.amdhsa_exception_fp_denorm_src 0
		.amdhsa_exception_fp_ieee_div_zero 0
		.amdhsa_exception_fp_ieee_overflow 0
		.amdhsa_exception_fp_ieee_underflow 0
		.amdhsa_exception_fp_ieee_inexact 0
		.amdhsa_exception_int_div_zero 0
	.end_amdhsa_kernel
	.section	.text._ZN9rocsparseL18bsrxmvn_4x4_kernelILj128ELj32EfiifffEEvT3_20rocsparse_direction_NS_24const_host_device_scalarIT1_EES1_PKS1_PKT2_SA_S7_PKT4_PKT5_S5_PT6_21rocsparse_index_base_b,"axG",@progbits,_ZN9rocsparseL18bsrxmvn_4x4_kernelILj128ELj32EfiifffEEvT3_20rocsparse_direction_NS_24const_host_device_scalarIT1_EES1_PKS1_PKT2_SA_S7_PKT4_PKT5_S5_PT6_21rocsparse_index_base_b,comdat
.Lfunc_end3:
	.size	_ZN9rocsparseL18bsrxmvn_4x4_kernelILj128ELj32EfiifffEEvT3_20rocsparse_direction_NS_24const_host_device_scalarIT1_EES1_PKS1_PKT2_SA_S7_PKT4_PKT5_S5_PT6_21rocsparse_index_base_b, .Lfunc_end3-_ZN9rocsparseL18bsrxmvn_4x4_kernelILj128ELj32EfiifffEEvT3_20rocsparse_direction_NS_24const_host_device_scalarIT1_EES1_PKS1_PKT2_SA_S7_PKT4_PKT5_S5_PT6_21rocsparse_index_base_b
                                        ; -- End function
	.section	.AMDGPU.csdata,"",@progbits
; Kernel info:
; codeLenInByte = 3324
; NumSgprs: 26
; NumVgprs: 108
; NumAgprs: 0
; TotalNumVgprs: 108
; ScratchSize: 0
; MemoryBound: 1
; FloatMode: 240
; IeeeMode: 1
; LDSByteSize: 0 bytes/workgroup (compile time only)
; SGPRBlocks: 3
; VGPRBlocks: 13
; NumSGPRsForWavesPerEU: 26
; NumVGPRsForWavesPerEU: 108
; AccumOffset: 108
; Occupancy: 4
; WaveLimiterHint : 1
; COMPUTE_PGM_RSRC2:SCRATCH_EN: 0
; COMPUTE_PGM_RSRC2:USER_SGPR: 6
; COMPUTE_PGM_RSRC2:TRAP_HANDLER: 0
; COMPUTE_PGM_RSRC2:TGID_X_EN: 1
; COMPUTE_PGM_RSRC2:TGID_Y_EN: 0
; COMPUTE_PGM_RSRC2:TGID_Z_EN: 0
; COMPUTE_PGM_RSRC2:TIDIG_COMP_CNT: 0
; COMPUTE_PGM_RSRC3_GFX90A:ACCUM_OFFSET: 26
; COMPUTE_PGM_RSRC3_GFX90A:TG_SPLIT: 0
	.section	.text._ZN9rocsparseL18bsrxmvn_4x4_kernelILj128ELj64EfiifffEEvT3_20rocsparse_direction_NS_24const_host_device_scalarIT1_EES1_PKS1_PKT2_SA_S7_PKT4_PKT5_S5_PT6_21rocsparse_index_base_b,"axG",@progbits,_ZN9rocsparseL18bsrxmvn_4x4_kernelILj128ELj64EfiifffEEvT3_20rocsparse_direction_NS_24const_host_device_scalarIT1_EES1_PKS1_PKT2_SA_S7_PKT4_PKT5_S5_PT6_21rocsparse_index_base_b,comdat
	.globl	_ZN9rocsparseL18bsrxmvn_4x4_kernelILj128ELj64EfiifffEEvT3_20rocsparse_direction_NS_24const_host_device_scalarIT1_EES1_PKS1_PKT2_SA_S7_PKT4_PKT5_S5_PT6_21rocsparse_index_base_b ; -- Begin function _ZN9rocsparseL18bsrxmvn_4x4_kernelILj128ELj64EfiifffEEvT3_20rocsparse_direction_NS_24const_host_device_scalarIT1_EES1_PKS1_PKT2_SA_S7_PKT4_PKT5_S5_PT6_21rocsparse_index_base_b
	.p2align	8
	.type	_ZN9rocsparseL18bsrxmvn_4x4_kernelILj128ELj64EfiifffEEvT3_20rocsparse_direction_NS_24const_host_device_scalarIT1_EES1_PKS1_PKT2_SA_S7_PKT4_PKT5_S5_PT6_21rocsparse_index_base_b,@function
_ZN9rocsparseL18bsrxmvn_4x4_kernelILj128ELj64EfiifffEEvT3_20rocsparse_direction_NS_24const_host_device_scalarIT1_EES1_PKS1_PKT2_SA_S7_PKT4_PKT5_S5_PT6_21rocsparse_index_base_b: ; @_ZN9rocsparseL18bsrxmvn_4x4_kernelILj128ELj64EfiifffEEvT3_20rocsparse_direction_NS_24const_host_device_scalarIT1_EES1_PKS1_PKT2_SA_S7_PKT4_PKT5_S5_PT6_21rocsparse_index_base_b
; %bb.0:
	s_load_dwordx2 s[20:21], s[4:5], 0x58
	s_load_dwordx2 s[16:17], s[4:5], 0x8
	s_load_dwordx2 s[18:19], s[4:5], 0x48
	s_waitcnt lgkmcnt(0)
	s_bitcmp1_b32 s21, 0
	s_cselect_b64 s[2:3], -1, 0
	s_xor_b64 s[0:1], s[2:3], -1
	s_and_b64 vcc, exec, s[2:3]
	s_cbranch_vccnz .LBB4_2
; %bb.1:
	s_load_dword s16, s[16:17], 0x0
.LBB4_2:
	s_andn2_b64 vcc, exec, s[0:1]
	s_cbranch_vccnz .LBB4_4
; %bb.3:
	s_load_dword s18, s[18:19], 0x0
.LBB4_4:
	s_waitcnt lgkmcnt(0)
	v_cmp_neq_f32_e64 s[0:1], s16, 0
	v_cmp_neq_f32_e64 s[2:3], s18, 1.0
	s_or_b64 s[0:1], s[0:1], s[2:3]
	s_andn2_b64 vcc, exec, s[0:1]
	s_cbranch_vccnz .LBB4_10
; %bb.5:
	s_load_dwordx2 s[8:9], s[4:5], 0x18
	s_load_dwordx2 s[0:1], s[4:5], 0x0
	v_lshrrev_b32_e32 v1, 6, v0
	v_lshl_or_b32 v16, s6, 1, v1
	s_mov_b64 s[2:3], 0
	s_waitcnt lgkmcnt(0)
	s_cmp_lg_u64 s[8:9], 0
	s_cbranch_scc0 .LBB4_11
; %bb.6:
	s_load_dword s6, s[4:5], 0x10
                                        ; implicit-def: $vgpr1
	s_waitcnt lgkmcnt(0)
	v_cmp_gt_i32_e32 vcc, s6, v16
	s_and_saveexec_b64 s[6:7], vcc
	s_xor_b64 s[6:7], exec, s[6:7]
	s_cbranch_execz .LBB4_8
; %bb.7:
	v_ashrrev_i32_e32 v17, 31, v16
	v_lshlrev_b64 v[2:3], 2, v[16:17]
	v_mov_b32_e32 v1, s9
	v_add_co_u32_e32 v2, vcc, s8, v2
	v_addc_co_u32_e32 v3, vcc, v1, v3, vcc
	global_load_dword v1, v[2:3], off
	s_mov_b64 s[2:3], exec
	s_waitcnt vmcnt(0)
	v_subrev_u32_e32 v1, s20, v1
.LBB4_8:
	s_or_b64 exec, exec, s[6:7]
	s_branch .LBB4_12
.LBB4_9:
	v_cmp_gt_i32_e32 vcc, s0, v16
	s_andn2_b64 s[2:3], s[2:3], exec
	s_and_b64 s[6:7], vcc, exec
	s_or_b64 s[2:3], s[2:3], s[6:7]
	s_and_saveexec_b64 s[6:7], s[2:3]
	s_cbranch_execnz .LBB4_13
.LBB4_10:
	s_endpgm
.LBB4_11:
                                        ; implicit-def: $vgpr1
	s_cbranch_execnz .LBB4_9
.LBB4_12:
	v_mov_b32_e32 v16, v1
	s_and_saveexec_b64 s[6:7], s[2:3]
	s_cbranch_execz .LBB4_10
.LBB4_13:
	s_load_dwordx8 s[8:15], s[4:5], 0x20
	v_ashrrev_i32_e32 v17, 31, v16
	v_lshlrev_b64 v[2:3], 2, v[16:17]
	v_and_b32_e32 v17, 63, v0
	s_load_dwordx2 s[6:7], s[4:5], 0x40
	s_waitcnt lgkmcnt(0)
	v_mov_b32_e32 v1, s9
	v_add_co_u32_e32 v4, vcc, s8, v2
	v_addc_co_u32_e32 v5, vcc, v1, v3, vcc
	v_add_co_u32_e32 v1, vcc, 4, v4
	global_load_dword v14, v[4:5], off
	v_addc_co_u32_e32 v4, vcc, 0, v5, vcc
	v_mov_b32_e32 v5, s11
	v_add_co_u32_e32 v2, vcc, s10, v2
	s_cmp_eq_u64 s[10:11], 0
	v_addc_co_u32_e32 v3, vcc, v5, v3, vcc
	s_cselect_b64 vcc, -1, 0
	v_cndmask_b32_e32 v3, v3, v4, vcc
	v_cndmask_b32_e32 v2, v2, v1, vcc
	global_load_dword v1, v[2:3], off
	v_mov_b32_e32 v2, s15
	s_cmp_eq_u32 s1, 1
	s_waitcnt vmcnt(1)
	v_subrev_u32_e32 v0, s20, v14
	v_add_u32_e32 v18, v0, v17
	v_ashrrev_i32_e32 v19, 31, v18
	s_waitcnt vmcnt(0)
	v_subrev_u32_e32 v26, s20, v1
	v_lshlrev_b64 v[0:1], 6, v[18:19]
	v_add_co_u32_e32 v20, vcc, s14, v0
	v_addc_co_u32_e32 v21, vcc, v2, v1, vcc
	v_cmp_lt_i32_e64 s[0:1], v18, v26
	s_cbranch_scc1 .LBB4_25
; %bb.14:
	s_mov_b32 s2, 0
	v_mov_b32_e32 v23, 0
	v_mov_b32_e32 v22, 0
	;; [unrolled: 1-line block ×4, first 2 shown]
	s_and_saveexec_b64 s[8:9], s[0:1]
	s_cbranch_execz .LBB4_24
; %bb.15:
	v_add_u32_e32 v0, v14, v17
	v_subrev_u32_e32 v0, s20, v0
	v_add_u32_e32 v0, 64, v0
	v_max_i32_e32 v0, v0, v26
	v_not_b32_e32 v1, v14
	v_add3_u32 v0, v0, s20, v1
	v_sub_u32_e32 v0, v0, v17
	v_lshrrev_b32_e32 v1, 6, v0
	v_add_u32_e32 v1, 1, v1
	v_and_b32_e32 v1, 3, v1
	s_mov_b32 s3, s2
	v_cmp_ne_u32_e32 vcc, 0, v1
	v_pk_mov_b32 v[24:25], s[2:3], s[2:3] op_sel:[0,1]
	v_pk_mov_b32 v[22:23], s[2:3], s[2:3] op_sel:[0,1]
	v_mov_b32_e32 v8, v18
	v_pk_mov_b32 v[10:11], v[20:21], v[20:21] op_sel:[0,1]
	s_and_saveexec_b64 s[2:3], vcc
	s_cbranch_execz .LBB4_19
; %bb.16:
	v_mov_b32_e32 v22, 0
	v_lshlrev_b32_e32 v1, 6, v1
	s_mov_b64 s[10:11], 0
	v_mov_b32_e32 v2, s13
	v_mov_b32_e32 v3, s7
	v_pk_mov_b32 v[10:11], v[20:21], v[20:21] op_sel:[0,1]
	v_mov_b32_e32 v8, v18
	v_mov_b32_e32 v23, v22
	;; [unrolled: 1-line block ×4, first 2 shown]
.LBB4_17:                               ; =>This Inner Loop Header: Depth=1
	v_ashrrev_i32_e32 v9, 31, v8
	v_lshlrev_b64 v[4:5], 2, v[8:9]
	v_add_co_u32_e32 v12, vcc, s12, v4
	v_addc_co_u32_e32 v13, vcc, v2, v5, vcc
	global_load_dword v9, v[12:13], off
	global_load_dwordx4 v[4:7], v[10:11], off
	global_load_dwordx4 v[28:31], v[10:11], off offset:16
	global_load_dwordx4 v[32:35], v[10:11], off offset:48
	;; [unrolled: 1-line block ×3, first 2 shown]
	v_subrev_u32_e32 v1, 64, v1
	v_add_u32_e32 v8, 64, v8
	s_waitcnt vmcnt(4)
	v_subrev_u32_e32 v9, s20, v9
	v_lshlrev_b32_e32 v12, 2, v9
	v_ashrrev_i32_e32 v13, 31, v12
	v_lshlrev_b64 v[12:13], 2, v[12:13]
	v_add_co_u32_e32 v12, vcc, s6, v12
	v_addc_co_u32_e32 v13, vcc, v3, v13, vcc
	global_load_dwordx4 v[40:43], v[12:13], off
	s_waitcnt vmcnt(4)
	v_mov_b32_e32 v12, v4
	s_waitcnt vmcnt(3)
	v_mov_b32_e32 v13, v28
	v_mov_b32_e32 v28, v5
	;; [unrolled: 1-line block ×5, first 2 shown]
	s_waitcnt vmcnt(1)
	v_mov_b32_e32 v6, v36
	v_mov_b32_e32 v7, v32
	v_add_co_u32_e32 v10, vcc, 0x1000, v10
	v_mov_b32_e32 v32, v37
	v_addc_co_u32_e32 v11, vcc, 0, v11, vcc
	v_mov_b32_e32 v36, v38
	v_mov_b32_e32 v37, v34
	v_cmp_eq_u32_e32 vcc, 0, v1
	v_mov_b32_e32 v34, v39
	s_or_b64 s[10:11], vcc, s[10:11]
	s_waitcnt vmcnt(0)
	v_pk_fma_f32 v[12:13], v[12:13], v[40:41], v[24:25] op_sel_hi:[1,0,1]
	v_pk_fma_f32 v[6:7], v[6:7], v[40:41], v[22:23] op_sel_hi:[1,0,1]
	v_pk_fma_f32 v[12:13], v[28:29], v[40:41], v[12:13] op_sel:[0,1,0]
	v_pk_fma_f32 v[6:7], v[32:33], v[40:41], v[6:7] op_sel:[0,1,0]
	v_mov_b32_e32 v38, v43
	v_pk_fma_f32 v[4:5], v[4:5], v[42:43], v[12:13] op_sel_hi:[1,0,1]
	v_pk_fma_f32 v[6:7], v[36:37], v[42:43], v[6:7] op_sel_hi:[1,0,1]
	;; [unrolled: 1-line block ×4, first 2 shown]
	s_andn2_b64 exec, exec, s[10:11]
	s_cbranch_execnz .LBB4_17
; %bb.18:
	s_or_b64 exec, exec, s[10:11]
.LBB4_19:
	s_or_b64 exec, exec, s[2:3]
	s_movk_i32 s2, 0xbf
	v_cmp_lt_u32_e32 vcc, s2, v0
	s_and_saveexec_b64 s[10:11], vcc
	s_cbranch_execz .LBB4_23
; %bb.20:
	s_mov_b64 s[14:15], 0
	v_mov_b32_e32 v15, s13
	v_mov_b32_e32 v19, s7
	s_movk_i32 s17, 0x1000
	s_movk_i32 s19, 0x2000
	;; [unrolled: 1-line block ×3, first 2 shown]
.LBB4_21:                               ; =>This Inner Loop Header: Depth=1
	v_add_co_u32_e32 v12, vcc, s17, v10
	v_addc_co_u32_e32 v13, vcc, 0, v11, vcc
	v_add_co_u32_e32 v84, vcc, s19, v10
	v_addc_co_u32_e32 v85, vcc, 0, v11, vcc
	v_ashrrev_i32_e32 v9, 31, v8
	v_add_co_u32_e32 v86, vcc, s21, v10
	v_addc_co_u32_e32 v87, vcc, 0, v11, vcc
	v_lshlrev_b64 v[40:41], 2, v[8:9]
	v_add_co_u32_e32 v40, vcc, s12, v40
	v_addc_co_u32_e32 v41, vcc, v15, v41, vcc
	global_load_dwordx4 v[0:3], v[10:11], off offset:48
	global_load_dwordx4 v[28:31], v[10:11], off offset:32
	;; [unrolled: 1-line block ×3, first 2 shown]
	global_load_dwordx4 v[32:35], v[10:11], off
	global_load_dwordx4 v[36:39], v[84:85], off offset:48
	global_load_dword v9, v[40:41], off
	global_load_dword v27, v[40:41], off offset:256
	global_load_dword v88, v[40:41], off offset:512
	;; [unrolled: 1-line block ×3, first 2 shown]
	s_nop 0
	global_load_dwordx4 v[40:43], v[12:13], off offset:48
	global_load_dwordx4 v[44:47], v[12:13], off offset:32
	;; [unrolled: 1-line block ×3, first 2 shown]
	global_load_dwordx4 v[52:55], v[84:85], off offset:-4096
	global_load_dwordx4 v[56:59], v[84:85], off
	global_load_dwordx4 v[60:63], v[84:85], off offset:32
	global_load_dwordx4 v[64:67], v[84:85], off offset:16
	global_load_dwordx4 v[68:71], v[86:87], off offset:48
	global_load_dwordx4 v[72:75], v[86:87], off offset:32
	global_load_dwordx4 v[76:79], v[86:87], off
	global_load_dwordx4 v[80:83], v[86:87], off offset:16
	v_add_co_u32_e32 v10, vcc, 0x4000, v10
	v_addc_co_u32_e32 v11, vcc, 0, v11, vcc
	v_add_u32_e32 v8, 0x100, v8
	v_cmp_ge_i32_e64 s[2:3], v8, v26
	s_or_b64 s[14:15], s[2:3], s[14:15]
	s_waitcnt vmcnt(14)
	v_subrev_u32_e32 v9, s20, v9
	v_lshlrev_b32_e32 v84, 2, v9
	s_waitcnt vmcnt(13)
	v_subrev_u32_e32 v13, s20, v27
	v_ashrrev_i32_e32 v85, 31, v84
	v_lshlrev_b32_e32 v86, 2, v13
	v_lshlrev_b64 v[84:85], 2, v[84:85]
	s_waitcnt vmcnt(12)
	v_subrev_u32_e32 v27, s20, v88
	v_ashrrev_i32_e32 v87, 31, v86
	v_add_co_u32_e32 v100, vcc, s6, v84
	v_lshlrev_b32_e32 v88, 2, v27
	v_lshlrev_b64 v[86:87], 2, v[86:87]
	v_addc_co_u32_e32 v101, vcc, v19, v85, vcc
	v_mov_b32_e32 v12, v32
	s_waitcnt vmcnt(11)
	v_subrev_u32_e32 v32, s20, v89
	v_ashrrev_i32_e32 v89, 31, v88
	v_add_co_u32_e32 v102, vcc, s6, v86
	v_lshlrev_b32_e32 v90, 2, v32
	v_lshlrev_b64 v[88:89], 2, v[88:89]
	v_addc_co_u32_e32 v103, vcc, v19, v87, vcc
	v_ashrrev_i32_e32 v91, 31, v90
	v_add_co_u32_e32 v104, vcc, s6, v88
	v_lshlrev_b64 v[90:91], 2, v[90:91]
	v_addc_co_u32_e32 v105, vcc, v19, v89, vcc
	v_add_co_u32_e32 v106, vcc, s6, v90
	v_addc_co_u32_e32 v107, vcc, v19, v91, vcc
	global_load_dwordx4 v[84:87], v[100:101], off
	global_load_dwordx4 v[88:91], v[102:103], off
	;; [unrolled: 1-line block ×4, first 2 shown]
	v_mov_b32_e32 v13, v4
	v_mov_b32_e32 v100, v28
	;; [unrolled: 1-line block ×11, first 2 shown]
	s_waitcnt vmcnt(11)
	v_mov_b32_e32 v30, v52
	v_mov_b32_e32 v31, v48
	;; [unrolled: 1-line block ×12, first 2 shown]
	s_waitcnt vmcnt(10)
	v_mov_b32_e32 v46, v56
	s_waitcnt vmcnt(9)
	v_mov_b32_e32 v56, v60
	;; [unrolled: 2-line block ×3, first 2 shown]
	v_mov_b32_e32 v76, v72
	v_mov_b32_e32 v72, v74
	;; [unrolled: 1-line block ×13, first 2 shown]
	s_waitcnt vmcnt(4)
	v_mov_b32_e32 v61, v80
	v_mov_b32_e32 v80, v77
	;; [unrolled: 1-line block ×8, first 2 shown]
	s_waitcnt vmcnt(3)
	v_pk_fma_f32 v[12:13], v[12:13], v[84:85], v[24:25] op_sel_hi:[1,0,1]
	v_pk_fma_f32 v[22:23], v[100:101], v[84:85], v[22:23] op_sel_hi:[1,0,1]
	v_pk_fma_f32 v[4:5], v[4:5], v[84:85], v[12:13] op_sel:[0,1,0]
	v_pk_fma_f32 v[0:1], v[0:1], v[84:85], v[22:23] op_sel:[0,1,0]
	v_mov_b32_e32 v24, v87
	v_pk_fma_f32 v[4:5], v[32:33], v[86:87], v[4:5] op_sel_hi:[1,0,1]
	v_pk_fma_f32 v[0:1], v[28:29], v[86:87], v[0:1] op_sel_hi:[1,0,1]
	v_pk_fma_f32 v[4:5], v[6:7], v[24:25], v[4:5] op_sel_hi:[1,0,1]
	v_pk_fma_f32 v[0:1], v[2:3], v[24:25], v[0:1] op_sel_hi:[1,0,1]
	s_waitcnt vmcnt(2)
	v_pk_fma_f32 v[2:3], v[30:31], v[88:89], v[4:5] op_sel_hi:[1,0,1]
	v_pk_fma_f32 v[0:1], v[52:53], v[88:89], v[0:1] op_sel_hi:[1,0,1]
	v_pk_fma_f32 v[2:3], v[48:49], v[88:89], v[2:3] op_sel:[0,1,0]
	v_pk_fma_f32 v[0:1], v[40:41], v[88:89], v[0:1] op_sel:[0,1,0]
	v_mov_b32_e32 v74, v91
	v_pk_fma_f32 v[2:3], v[34:35], v[90:91], v[2:3] op_sel_hi:[1,0,1]
	v_pk_fma_f32 v[0:1], v[44:45], v[90:91], v[0:1] op_sel_hi:[1,0,1]
	v_pk_fma_f32 v[2:3], v[50:51], v[74:75], v[2:3] op_sel_hi:[1,0,1]
	v_pk_fma_f32 v[0:1], v[42:43], v[74:75], v[0:1] op_sel_hi:[1,0,1]
	;; [unrolled: 10-line block ×4, first 2 shown]
	s_andn2_b64 exec, exec, s[14:15]
	s_cbranch_execnz .LBB4_21
; %bb.22:
	s_or_b64 exec, exec, s[14:15]
.LBB4_23:
	s_or_b64 exec, exec, s[10:11]
.LBB4_24:
	s_or_b64 exec, exec, s[8:9]
	s_cbranch_execz .LBB4_26
	s_branch .LBB4_37
.LBB4_25:
                                        ; implicit-def: $vgpr23
                                        ; implicit-def: $vgpr25
.LBB4_26:
	s_mov_b32 s8, 0
	v_mov_b32_e32 v23, 0
	v_mov_b32_e32 v22, 0
	;; [unrolled: 1-line block ×4, first 2 shown]
	s_and_saveexec_b64 s[2:3], s[0:1]
	s_cbranch_execz .LBB4_36
; %bb.27:
	v_add_u32_e32 v0, v14, v17
	v_subrev_u32_e32 v0, s20, v0
	v_add_u32_e32 v0, 64, v0
	v_max_i32_e32 v0, v0, v26
	v_not_b32_e32 v1, v14
	v_add3_u32 v0, v0, s20, v1
	v_sub_u32_e32 v0, v0, v17
	v_lshrrev_b32_e32 v1, 6, v0
	v_add_u32_e32 v1, 1, v1
	v_and_b32_e32 v1, 3, v1
	s_mov_b32 s9, s8
	v_cmp_ne_u32_e32 vcc, 0, v1
	v_pk_mov_b32 v[24:25], s[8:9], s[8:9] op_sel:[0,1]
	v_pk_mov_b32 v[22:23], s[8:9], s[8:9] op_sel:[0,1]
	s_and_saveexec_b64 s[0:1], vcc
	s_cbranch_execz .LBB4_31
; %bb.28:
	v_mov_b32_e32 v22, 0
	v_lshlrev_b32_e32 v1, 6, v1
	s_mov_b64 s[8:9], 0
	v_mov_b32_e32 v2, s13
	v_mov_b32_e32 v3, s7
	;; [unrolled: 1-line block ×5, first 2 shown]
.LBB4_29:                               ; =>This Inner Loop Header: Depth=1
	v_ashrrev_i32_e32 v19, 31, v18
	v_lshlrev_b64 v[4:5], 2, v[18:19]
	v_add_co_u32_e32 v12, vcc, s12, v4
	v_addc_co_u32_e32 v13, vcc, v2, v5, vcc
	global_load_dword v14, v[12:13], off
	global_load_dwordx4 v[4:7], v[20:21], off offset:16
	global_load_dwordx4 v[8:11], v[20:21], off
	v_subrev_u32_e32 v1, 64, v1
	v_add_u32_e32 v18, 64, v18
	s_waitcnt vmcnt(2)
	v_subrev_u32_e32 v12, s20, v14
	v_lshlrev_b32_e32 v12, 2, v12
	v_ashrrev_i32_e32 v13, 31, v12
	v_lshlrev_b64 v[12:13], 2, v[12:13]
	v_add_co_u32_e32 v36, vcc, s6, v12
	v_addc_co_u32_e32 v37, vcc, v3, v13, vcc
	global_load_dwordx4 v[12:15], v[36:37], off
	global_load_dwordx4 v[28:31], v[20:21], off offset:32
	global_load_dwordx4 v[32:35], v[20:21], off offset:48
	v_add_co_u32_e32 v20, vcc, 0x1000, v20
	v_addc_co_u32_e32 v21, vcc, 0, v21, vcc
	v_cmp_eq_u32_e32 vcc, 0, v1
	s_or_b64 s[8:9], vcc, s[8:9]
	s_waitcnt vmcnt(2)
	v_pk_fma_f32 v[8:9], v[8:9], v[12:13], v[24:25] op_sel_hi:[1,0,1]
	v_pk_fma_f32 v[10:11], v[10:11], v[12:13], v[22:23] op_sel_hi:[1,0,1]
	v_pk_fma_f32 v[4:5], v[4:5], v[12:13], v[8:9] op_sel:[0,1,0]
	v_pk_fma_f32 v[6:7], v[6:7], v[12:13], v[10:11] op_sel:[0,1,0]
	v_mov_b32_e32 v22, v15
	s_waitcnt vmcnt(1)
	v_pk_fma_f32 v[4:5], v[28:29], v[14:15], v[4:5] op_sel_hi:[1,0,1]
	v_pk_fma_f32 v[6:7], v[30:31], v[14:15], v[6:7] op_sel_hi:[1,0,1]
	s_waitcnt vmcnt(0)
	v_pk_fma_f32 v[24:25], v[32:33], v[22:23], v[4:5] op_sel_hi:[1,0,1]
	v_pk_fma_f32 v[22:23], v[34:35], v[22:23], v[6:7] op_sel_hi:[1,0,1]
	s_andn2_b64 exec, exec, s[8:9]
	s_cbranch_execnz .LBB4_29
; %bb.30:
	s_or_b64 exec, exec, s[8:9]
.LBB4_31:
	s_or_b64 exec, exec, s[0:1]
	s_movk_i32 s0, 0xbf
	v_cmp_lt_u32_e32 vcc, s0, v0
	s_and_saveexec_b64 s[8:9], vcc
	s_cbranch_execz .LBB4_35
; %bb.32:
	s_mov_b64 s[10:11], 0
	v_mov_b32_e32 v27, s13
	v_mov_b32_e32 v28, s7
	s_movk_i32 s7, 0x1000
	s_movk_i32 s13, 0x2000
	;; [unrolled: 1-line block ×3, first 2 shown]
.LBB4_33:                               ; =>This Inner Loop Header: Depth=1
	v_ashrrev_i32_e32 v19, 31, v18
	v_lshlrev_b64 v[30:31], 2, v[18:19]
	v_add_co_u32_e64 v30, s[0:1], s12, v30
	v_addc_co_u32_e64 v31, s[0:1], v27, v31, s[0:1]
	global_load_dwordx4 v[0:3], v[20:21], off offset:48
	global_load_dwordx4 v[4:7], v[20:21], off offset:32
	;; [unrolled: 1-line block ×3, first 2 shown]
	global_load_dwordx4 v[12:15], v[20:21], off
	global_load_dword v19, v[30:31], off
	global_load_dword v29, v[30:31], off offset:256
	global_load_dword v74, v[30:31], off offset:512
	global_load_dword v75, v[30:31], off offset:768
	v_add_co_u32_e32 v70, vcc, s7, v20
	v_addc_co_u32_e32 v71, vcc, 0, v21, vcc
	v_add_co_u32_e32 v72, vcc, s13, v20
	v_addc_co_u32_e32 v73, vcc, 0, v21, vcc
	;; [unrolled: 2-line block ×3, first 2 shown]
	global_load_dwordx4 v[30:33], v[70:71], off offset:48
	global_load_dwordx4 v[34:37], v[70:71], off offset:32
	;; [unrolled: 1-line block ×3, first 2 shown]
	global_load_dwordx4 v[42:45], v[72:73], off offset:-4096
	global_load_dwordx4 v[46:49], v[72:73], off
	global_load_dwordx4 v[50:53], v[72:73], off offset:48
	global_load_dwordx4 v[54:57], v[72:73], off offset:32
	;; [unrolled: 1-line block ×3, first 2 shown]
	global_load_dwordx4 v[62:65], v[94:95], off
	global_load_dwordx4 v[66:69], v[94:95], off offset:16
	v_add_u32_e32 v18, 0x100, v18
	s_waitcnt vmcnt(13)
	v_subrev_u32_e32 v19, s20, v19
	v_lshlrev_b32_e32 v70, 2, v19
	s_waitcnt vmcnt(11)
	v_subrev_u32_e32 v71, s20, v74
	v_subrev_u32_e32 v29, s20, v29
	v_lshlrev_b32_e32 v74, 2, v71
	v_ashrrev_i32_e32 v71, 31, v70
	s_waitcnt vmcnt(10)
	v_subrev_u32_e32 v73, s20, v75
	v_lshlrev_b32_e32 v72, 2, v29
	v_lshlrev_b64 v[70:71], 2, v[70:71]
	v_lshlrev_b32_e32 v76, 2, v73
	v_ashrrev_i32_e32 v73, 31, v72
	v_add_co_u32_e32 v96, vcc, s6, v70
	v_lshlrev_b64 v[72:73], 2, v[72:73]
	v_addc_co_u32_e32 v97, vcc, v28, v71, vcc
	v_ashrrev_i32_e32 v75, 31, v74
	v_add_co_u32_e32 v98, vcc, s6, v72
	v_lshlrev_b64 v[74:75], 2, v[74:75]
	v_addc_co_u32_e32 v99, vcc, v28, v73, vcc
	;; [unrolled: 4-line block ×3, first 2 shown]
	v_add_co_u32_e32 v102, vcc, s6, v76
	v_addc_co_u32_e32 v103, vcc, v28, v77, vcc
	global_load_dwordx4 v[70:73], v[96:97], off
	global_load_dwordx4 v[74:77], v[98:99], off
	;; [unrolled: 1-line block ×4, first 2 shown]
	global_load_dwordx4 v[86:89], v[94:95], off offset:32
	global_load_dwordx4 v[90:93], v[94:95], off offset:48
	v_add_co_u32_e32 v20, vcc, 0x4000, v20
	v_addc_co_u32_e32 v21, vcc, 0, v21, vcc
	v_cmp_ge_i32_e32 vcc, v18, v26
	s_or_b64 s[10:11], vcc, s[10:11]
	s_waitcnt vmcnt(5)
	v_pk_fma_f32 v[12:13], v[12:13], v[70:71], v[24:25] op_sel_hi:[1,0,1]
	v_pk_fma_f32 v[14:15], v[14:15], v[70:71], v[22:23] op_sel_hi:[1,0,1]
	v_pk_fma_f32 v[8:9], v[8:9], v[70:71], v[12:13] op_sel:[0,1,0]
	v_pk_fma_f32 v[10:11], v[10:11], v[70:71], v[14:15] op_sel:[0,1,0]
	v_mov_b32_e32 v22, v73
	v_pk_fma_f32 v[4:5], v[4:5], v[72:73], v[8:9] op_sel_hi:[1,0,1]
	v_pk_fma_f32 v[6:7], v[6:7], v[72:73], v[10:11] op_sel_hi:[1,0,1]
	v_pk_fma_f32 v[0:1], v[0:1], v[22:23], v[4:5] op_sel_hi:[1,0,1]
	v_pk_fma_f32 v[2:3], v[2:3], v[22:23], v[6:7] op_sel_hi:[1,0,1]
	s_waitcnt vmcnt(4)
	v_pk_fma_f32 v[0:1], v[42:43], v[74:75], v[0:1] op_sel_hi:[1,0,1]
	v_pk_fma_f32 v[2:3], v[44:45], v[74:75], v[2:3] op_sel_hi:[1,0,1]
	v_pk_fma_f32 v[0:1], v[38:39], v[74:75], v[0:1] op_sel:[0,1,0]
	v_pk_fma_f32 v[2:3], v[40:41], v[74:75], v[2:3] op_sel:[0,1,0]
	v_mov_b32_e32 v24, v77
	v_pk_fma_f32 v[0:1], v[34:35], v[76:77], v[0:1] op_sel_hi:[1,0,1]
	v_pk_fma_f32 v[2:3], v[36:37], v[76:77], v[2:3] op_sel_hi:[1,0,1]
	v_pk_fma_f32 v[0:1], v[30:31], v[24:25], v[0:1] op_sel_hi:[1,0,1]
	v_pk_fma_f32 v[2:3], v[32:33], v[24:25], v[2:3] op_sel_hi:[1,0,1]
	;; [unrolled: 10-line block ×3, first 2 shown]
	s_waitcnt vmcnt(2)
	v_pk_fma_f32 v[0:1], v[62:63], v[82:83], v[0:1] op_sel_hi:[1,0,1]
	v_pk_fma_f32 v[2:3], v[64:65], v[82:83], v[2:3] op_sel_hi:[1,0,1]
	v_pk_fma_f32 v[0:1], v[66:67], v[82:83], v[0:1] op_sel:[0,1,0]
	v_pk_fma_f32 v[2:3], v[68:69], v[82:83], v[2:3] op_sel:[0,1,0]
	v_mov_b32_e32 v96, v85
	s_waitcnt vmcnt(1)
	v_pk_fma_f32 v[0:1], v[86:87], v[84:85], v[0:1] op_sel_hi:[1,0,1]
	v_pk_fma_f32 v[2:3], v[88:89], v[84:85], v[2:3] op_sel_hi:[1,0,1]
	s_waitcnt vmcnt(0)
	v_pk_fma_f32 v[24:25], v[90:91], v[96:97], v[0:1] op_sel_hi:[1,0,1]
	v_pk_fma_f32 v[22:23], v[92:93], v[96:97], v[2:3] op_sel_hi:[1,0,1]
	s_andn2_b64 exec, exec, s[10:11]
	s_cbranch_execnz .LBB4_33
; %bb.34:
	s_or_b64 exec, exec, s[10:11]
.LBB4_35:
	s_or_b64 exec, exec, s[8:9]
.LBB4_36:
	s_or_b64 exec, exec, s[2:3]
.LBB4_37:
	v_mov_b32_dpp v0, v24 row_shr:1 row_mask:0xf bank_mask:0xf
	v_mov_b32_dpp v1, v25 row_shr:1 row_mask:0xf bank_mask:0xf
	;; [unrolled: 1-line block ×4, first 2 shown]
	v_pk_add_f32 v[0:1], v[24:25], v[0:1]
	v_pk_add_f32 v[4:5], v[22:23], v[4:5]
	v_cmp_eq_u32_e32 vcc, 63, v17
	v_mov_b32_dpp v2, v0 row_shr:2 row_mask:0xf bank_mask:0xf
	v_mov_b32_dpp v3, v1 row_shr:2 row_mask:0xf bank_mask:0xf
	v_mov_b32_dpp v6, v4 row_shr:2 row_mask:0xf bank_mask:0xf
	v_mov_b32_dpp v7, v5 row_shr:2 row_mask:0xf bank_mask:0xf
	v_pk_add_f32 v[0:1], v[0:1], v[2:3]
	v_pk_add_f32 v[4:5], v[4:5], v[6:7]
	s_nop 0
	v_mov_b32_dpp v2, v0 row_shr:4 row_mask:0xf bank_mask:0xe
	v_mov_b32_dpp v3, v1 row_shr:4 row_mask:0xf bank_mask:0xe
	v_mov_b32_dpp v6, v4 row_shr:4 row_mask:0xf bank_mask:0xe
	v_mov_b32_dpp v7, v5 row_shr:4 row_mask:0xf bank_mask:0xe
	v_pk_add_f32 v[0:1], v[0:1], v[2:3]
	v_pk_add_f32 v[4:5], v[4:5], v[6:7]
	s_nop 0
	;; [unrolled: 7-line block ×3, first 2 shown]
	v_mov_b32_dpp v2, v0 row_bcast:15 row_mask:0xa bank_mask:0xf
	v_mov_b32_dpp v3, v1 row_bcast:15 row_mask:0xa bank_mask:0xf
	;; [unrolled: 1-line block ×4, first 2 shown]
	v_pk_add_f32 v[0:1], v[0:1], v[2:3]
	v_pk_add_f32 v[4:5], v[4:5], v[6:7]
	s_nop 0
	v_mov_b32_dpp v2, v0 row_bcast:31 row_mask:0xc bank_mask:0xf
	v_mov_b32_dpp v3, v1 row_bcast:31 row_mask:0xc bank_mask:0xf
	;; [unrolled: 1-line block ×4, first 2 shown]
	s_and_b64 exec, exec, vcc
	s_cbranch_execz .LBB4_10
; %bb.38:
	s_load_dwordx2 s[0:1], s[4:5], 0x50
	v_cmp_eq_f32_e64 s[2:3], s18, 0
	v_pk_add_f32 v[2:3], v[0:1], v[2:3]
	v_pk_add_f32 v[0:1], v[4:5], v[6:7]
	s_and_b64 vcc, exec, s[2:3]
	v_lshlrev_b32_e32 v4, 2, v16
	s_cbranch_vccz .LBB4_40
; %bb.39:
	v_ashrrev_i32_e32 v5, 31, v4
	v_lshlrev_b64 v[6:7], 2, v[4:5]
	s_waitcnt lgkmcnt(0)
	v_mov_b32_e32 v5, s1
	v_add_co_u32_e32 v10, vcc, s0, v6
	v_addc_co_u32_e32 v11, vcc, v5, v7, vcc
	v_pk_mul_f32 v[6:7], s[16:17], v[2:3] op_sel_hi:[0,1]
	v_pk_mul_f32 v[8:9], s[16:17], v[0:1] op_sel_hi:[0,1]
	global_store_dwordx4 v[10:11], v[6:9], off
	s_cbranch_execnz .LBB4_10
	s_branch .LBB4_41
.LBB4_40:
.LBB4_41:
	v_ashrrev_i32_e32 v5, 31, v4
	v_lshlrev_b64 v[4:5], 2, v[4:5]
	s_waitcnt lgkmcnt(0)
	v_mov_b32_e32 v6, s1
	v_add_co_u32_e32 v8, vcc, s0, v4
	v_addc_co_u32_e32 v9, vcc, v6, v5, vcc
	global_load_dwordx4 v[4:7], v[8:9], off
	v_pk_mul_f32 v[2:3], s[16:17], v[2:3] op_sel_hi:[0,1]
	v_pk_mul_f32 v[10:11], s[16:17], v[0:1] op_sel_hi:[0,1]
	s_waitcnt vmcnt(0)
	v_pk_fma_f32 v[0:1], s[18:19], v[4:5], v[2:3] op_sel_hi:[0,1,1]
	v_pk_fma_f32 v[2:3], s[18:19], v[6:7], v[10:11] op_sel_hi:[0,1,1]
	global_store_dwordx4 v[8:9], v[0:3], off
	s_endpgm
	.section	.rodata,"a",@progbits
	.p2align	6, 0x0
	.amdhsa_kernel _ZN9rocsparseL18bsrxmvn_4x4_kernelILj128ELj64EfiifffEEvT3_20rocsparse_direction_NS_24const_host_device_scalarIT1_EES1_PKS1_PKT2_SA_S7_PKT4_PKT5_S5_PT6_21rocsparse_index_base_b
		.amdhsa_group_segment_fixed_size 0
		.amdhsa_private_segment_fixed_size 0
		.amdhsa_kernarg_size 96
		.amdhsa_user_sgpr_count 6
		.amdhsa_user_sgpr_private_segment_buffer 1
		.amdhsa_user_sgpr_dispatch_ptr 0
		.amdhsa_user_sgpr_queue_ptr 0
		.amdhsa_user_sgpr_kernarg_segment_ptr 1
		.amdhsa_user_sgpr_dispatch_id 0
		.amdhsa_user_sgpr_flat_scratch_init 0
		.amdhsa_user_sgpr_kernarg_preload_length 0
		.amdhsa_user_sgpr_kernarg_preload_offset 0
		.amdhsa_user_sgpr_private_segment_size 0
		.amdhsa_uses_dynamic_stack 0
		.amdhsa_system_sgpr_private_segment_wavefront_offset 0
		.amdhsa_system_sgpr_workgroup_id_x 1
		.amdhsa_system_sgpr_workgroup_id_y 0
		.amdhsa_system_sgpr_workgroup_id_z 0
		.amdhsa_system_sgpr_workgroup_info 0
		.amdhsa_system_vgpr_workitem_id 0
		.amdhsa_next_free_vgpr 108
		.amdhsa_next_free_sgpr 22
		.amdhsa_accum_offset 108
		.amdhsa_reserve_vcc 1
		.amdhsa_reserve_flat_scratch 0
		.amdhsa_float_round_mode_32 0
		.amdhsa_float_round_mode_16_64 0
		.amdhsa_float_denorm_mode_32 3
		.amdhsa_float_denorm_mode_16_64 3
		.amdhsa_dx10_clamp 1
		.amdhsa_ieee_mode 1
		.amdhsa_fp16_overflow 0
		.amdhsa_tg_split 0
		.amdhsa_exception_fp_ieee_invalid_op 0
		.amdhsa_exception_fp_denorm_src 0
		.amdhsa_exception_fp_ieee_div_zero 0
		.amdhsa_exception_fp_ieee_overflow 0
		.amdhsa_exception_fp_ieee_underflow 0
		.amdhsa_exception_fp_ieee_inexact 0
		.amdhsa_exception_int_div_zero 0
	.end_amdhsa_kernel
	.section	.text._ZN9rocsparseL18bsrxmvn_4x4_kernelILj128ELj64EfiifffEEvT3_20rocsparse_direction_NS_24const_host_device_scalarIT1_EES1_PKS1_PKT2_SA_S7_PKT4_PKT5_S5_PT6_21rocsparse_index_base_b,"axG",@progbits,_ZN9rocsparseL18bsrxmvn_4x4_kernelILj128ELj64EfiifffEEvT3_20rocsparse_direction_NS_24const_host_device_scalarIT1_EES1_PKS1_PKT2_SA_S7_PKT4_PKT5_S5_PT6_21rocsparse_index_base_b,comdat
.Lfunc_end4:
	.size	_ZN9rocsparseL18bsrxmvn_4x4_kernelILj128ELj64EfiifffEEvT3_20rocsparse_direction_NS_24const_host_device_scalarIT1_EES1_PKS1_PKT2_SA_S7_PKT4_PKT5_S5_PT6_21rocsparse_index_base_b, .Lfunc_end4-_ZN9rocsparseL18bsrxmvn_4x4_kernelILj128ELj64EfiifffEEvT3_20rocsparse_direction_NS_24const_host_device_scalarIT1_EES1_PKS1_PKT2_SA_S7_PKT4_PKT5_S5_PT6_21rocsparse_index_base_b
                                        ; -- End function
	.section	.AMDGPU.csdata,"",@progbits
; Kernel info:
; codeLenInByte = 3436
; NumSgprs: 26
; NumVgprs: 108
; NumAgprs: 0
; TotalNumVgprs: 108
; ScratchSize: 0
; MemoryBound: 1
; FloatMode: 240
; IeeeMode: 1
; LDSByteSize: 0 bytes/workgroup (compile time only)
; SGPRBlocks: 3
; VGPRBlocks: 13
; NumSGPRsForWavesPerEU: 26
; NumVGPRsForWavesPerEU: 108
; AccumOffset: 108
; Occupancy: 4
; WaveLimiterHint : 1
; COMPUTE_PGM_RSRC2:SCRATCH_EN: 0
; COMPUTE_PGM_RSRC2:USER_SGPR: 6
; COMPUTE_PGM_RSRC2:TRAP_HANDLER: 0
; COMPUTE_PGM_RSRC2:TGID_X_EN: 1
; COMPUTE_PGM_RSRC2:TGID_Y_EN: 0
; COMPUTE_PGM_RSRC2:TGID_Z_EN: 0
; COMPUTE_PGM_RSRC2:TIDIG_COMP_CNT: 0
; COMPUTE_PGM_RSRC3_GFX90A:ACCUM_OFFSET: 26
; COMPUTE_PGM_RSRC3_GFX90A:TG_SPLIT: 0
	.section	.text._ZN9rocsparseL18bsrxmvn_4x4_kernelILj128ELj4EdiidddEEvT3_20rocsparse_direction_NS_24const_host_device_scalarIT1_EES1_PKS1_PKT2_SA_S7_PKT4_PKT5_S5_PT6_21rocsparse_index_base_b,"axG",@progbits,_ZN9rocsparseL18bsrxmvn_4x4_kernelILj128ELj4EdiidddEEvT3_20rocsparse_direction_NS_24const_host_device_scalarIT1_EES1_PKS1_PKT2_SA_S7_PKT4_PKT5_S5_PT6_21rocsparse_index_base_b,comdat
	.globl	_ZN9rocsparseL18bsrxmvn_4x4_kernelILj128ELj4EdiidddEEvT3_20rocsparse_direction_NS_24const_host_device_scalarIT1_EES1_PKS1_PKT2_SA_S7_PKT4_PKT5_S5_PT6_21rocsparse_index_base_b ; -- Begin function _ZN9rocsparseL18bsrxmvn_4x4_kernelILj128ELj4EdiidddEEvT3_20rocsparse_direction_NS_24const_host_device_scalarIT1_EES1_PKS1_PKT2_SA_S7_PKT4_PKT5_S5_PT6_21rocsparse_index_base_b
	.p2align	8
	.type	_ZN9rocsparseL18bsrxmvn_4x4_kernelILj128ELj4EdiidddEEvT3_20rocsparse_direction_NS_24const_host_device_scalarIT1_EES1_PKS1_PKT2_SA_S7_PKT4_PKT5_S5_PT6_21rocsparse_index_base_b,@function
_ZN9rocsparseL18bsrxmvn_4x4_kernelILj128ELj4EdiidddEEvT3_20rocsparse_direction_NS_24const_host_device_scalarIT1_EES1_PKS1_PKT2_SA_S7_PKT4_PKT5_S5_PT6_21rocsparse_index_base_b: ; @_ZN9rocsparseL18bsrxmvn_4x4_kernelILj128ELj4EdiidddEEvT3_20rocsparse_direction_NS_24const_host_device_scalarIT1_EES1_PKS1_PKT2_SA_S7_PKT4_PKT5_S5_PT6_21rocsparse_index_base_b
; %bb.0:
	s_load_dwordx2 s[2:3], s[4:5], 0x58
	s_load_dwordx2 s[10:11], s[4:5], 0x8
	;; [unrolled: 1-line block ×3, first 2 shown]
	s_waitcnt lgkmcnt(0)
	s_bitcmp1_b32 s3, 0
	s_cselect_b64 s[12:13], -1, 0
	s_xor_b64 s[8:9], s[12:13], -1
	s_and_b64 vcc, exec, s[12:13]
	v_pk_mov_b32 v[54:55], s[10:11], s[10:11] op_sel:[0,1]
	s_cbranch_vccnz .LBB5_2
; %bb.1:
	v_pk_mov_b32 v[2:3], s[10:11], s[10:11] op_sel:[0,1]
	flat_load_dwordx2 v[54:55], v[2:3]
.LBB5_2:
	s_andn2_b64 vcc, exec, s[8:9]
	v_pk_mov_b32 v[52:53], s[0:1], s[0:1] op_sel:[0,1]
	s_cbranch_vccnz .LBB5_4
; %bb.3:
	v_pk_mov_b32 v[2:3], s[0:1], s[0:1] op_sel:[0,1]
	flat_load_dwordx2 v[52:53], v[2:3]
.LBB5_4:
	s_waitcnt vmcnt(0) lgkmcnt(0)
	v_cmp_neq_f64_e32 vcc, 0, v[54:55]
	v_cmp_neq_f64_e64 s[0:1], 1.0, v[52:53]
	s_mov_b64 s[8:9], 0
	s_or_b64 s[0:1], vcc, s[0:1]
	s_and_saveexec_b64 s[10:11], s[0:1]
	s_cbranch_execz .LBB5_10
; %bb.5:
	s_load_dwordx2 s[10:11], s[4:5], 0x18
	s_load_dwordx2 s[0:1], s[4:5], 0x0
	v_lshrrev_b32_e32 v1, 2, v0
	v_lshl_or_b32 v56, s6, 5, v1
	s_mov_b64 s[6:7], 0
	s_waitcnt lgkmcnt(0)
	s_cmp_lg_u64 s[10:11], 0
	s_cbranch_scc0 .LBB5_11
; %bb.6:
	s_load_dword s3, s[4:5], 0x10
                                        ; implicit-def: $vgpr1
	s_waitcnt lgkmcnt(0)
	v_cmp_gt_i32_e32 vcc, s3, v56
	s_and_saveexec_b64 s[8:9], vcc
	s_xor_b64 s[8:9], exec, s[8:9]
	s_cbranch_execz .LBB5_8
; %bb.7:
	v_ashrrev_i32_e32 v57, 31, v56
	v_lshlrev_b64 v[2:3], 2, v[56:57]
	v_mov_b32_e32 v1, s11
	v_add_co_u32_e32 v2, vcc, s10, v2
	v_addc_co_u32_e32 v3, vcc, v1, v3, vcc
	global_load_dword v1, v[2:3], off
	s_mov_b64 s[6:7], exec
	s_waitcnt vmcnt(0)
	v_subrev_u32_e32 v1, s2, v1
.LBB5_8:
	s_or_b64 exec, exec, s[8:9]
	s_mov_b64 s[8:9], s[6:7]
	s_branch .LBB5_12
.LBB5_9:
	v_cmp_gt_i32_e32 vcc, s0, v56
	s_andn2_b64 s[6:7], s[8:9], exec
	s_and_b64 s[8:9], vcc, exec
	s_or_b64 s[8:9], s[6:7], s[8:9]
	s_and_b64 exec, exec, s[8:9]
	s_cbranch_execnz .LBB5_13
.LBB5_10:
	s_endpgm
.LBB5_11:
                                        ; implicit-def: $vgpr1
	s_cbranch_execnz .LBB5_9
.LBB5_12:
	v_mov_b32_e32 v56, v1
	s_and_b64 exec, exec, s[8:9]
	s_cbranch_execz .LBB5_10
.LBB5_13:
	s_load_dwordx8 s[8:15], s[4:5], 0x20
	v_ashrrev_i32_e32 v57, 31, v56
	v_lshlrev_b64 v[2:3], 2, v[56:57]
	v_and_b32_e32 v57, 3, v0
	s_load_dwordx2 s[6:7], s[4:5], 0x40
	s_waitcnt lgkmcnt(0)
	v_mov_b32_e32 v1, s9
	v_add_co_u32_e32 v4, vcc, s8, v2
	v_addc_co_u32_e32 v5, vcc, v1, v3, vcc
	v_add_co_u32_e32 v1, vcc, 4, v4
	global_load_dword v75, v[4:5], off
	v_addc_co_u32_e32 v4, vcc, 0, v5, vcc
	v_mov_b32_e32 v5, s11
	v_add_co_u32_e32 v2, vcc, s10, v2
	s_cmp_eq_u64 s[10:11], 0
	v_addc_co_u32_e32 v3, vcc, v5, v3, vcc
	s_cselect_b64 vcc, -1, 0
	v_cndmask_b32_e32 v3, v3, v4, vcc
	v_cndmask_b32_e32 v2, v2, v1, vcc
	global_load_dword v1, v[2:3], off
	v_mov_b32_e32 v2, s15
	s_cmp_eq_u32 s1, 1
	s_waitcnt vmcnt(1)
	v_subrev_u32_e32 v0, s2, v75
	v_add_u32_e32 v58, v0, v57
	v_ashrrev_i32_e32 v59, 31, v58
	s_waitcnt vmcnt(0)
	v_subrev_u32_e32 v74, s2, v1
	v_lshlrev_b64 v[0:1], 7, v[58:59]
	v_add_co_u32_e32 v62, vcc, s14, v0
	v_addc_co_u32_e32 v63, vcc, v2, v1, vcc
	v_cmp_lt_i32_e64 s[0:1], v58, v74
	s_cbranch_scc1 .LBB5_25
; %bb.14:
	v_pk_mov_b32 v[60:61], 0, 0
	s_mov_b64 s[8:9], 0
	v_pk_mov_b32 v[64:65], v[60:61], v[60:61] op_sel:[0,1]
	v_pk_mov_b32 v[66:67], v[60:61], v[60:61] op_sel:[0,1]
	;; [unrolled: 1-line block ×3, first 2 shown]
	s_and_saveexec_b64 s[10:11], s[0:1]
	s_cbranch_execz .LBB5_24
; %bb.15:
	v_add_u32_e32 v0, v75, v57
	v_subrev_u32_e32 v0, s2, v0
	v_add_u32_e32 v0, 4, v0
	v_max_i32_e32 v0, v0, v74
	v_not_b32_e32 v1, v75
	v_add3_u32 v0, v0, s2, v1
	v_sub_u32_e32 v0, v0, v57
	v_lshrrev_b32_e32 v1, 2, v0
	v_add_u32_e32 v1, 1, v1
	v_and_b32_e32 v1, 3, v1
	v_pk_mov_b32 v[68:69], 0, 0
	v_cmp_ne_u32_e32 vcc, 0, v1
	v_pk_mov_b32 v[66:67], v[68:69], v[68:69] op_sel:[0,1]
	v_pk_mov_b32 v[64:65], v[68:69], v[68:69] op_sel:[0,1]
	;; [unrolled: 1-line block ×3, first 2 shown]
	v_mov_b32_e32 v70, v58
	v_pk_mov_b32 v[72:73], v[62:63], v[62:63] op_sel:[0,1]
	s_and_saveexec_b64 s[14:15], vcc
	s_cbranch_execz .LBB5_19
; %bb.16:
	v_pk_mov_b32 v[60:61], 0, 0
	v_lshlrev_b32_e32 v1, 7, v1
	s_mov_b64 s[16:17], 0
	v_mov_b32_e32 v2, s13
	v_mov_b32_e32 v3, s7
	v_pk_mov_b32 v[72:73], v[62:63], v[62:63] op_sel:[0,1]
	v_mov_b32_e32 v70, v58
	v_pk_mov_b32 v[64:65], v[60:61], v[60:61] op_sel:[0,1]
	v_pk_mov_b32 v[66:67], v[60:61], v[60:61] op_sel:[0,1]
	;; [unrolled: 1-line block ×3, first 2 shown]
.LBB5_17:                               ; =>This Inner Loop Header: Depth=1
	v_ashrrev_i32_e32 v71, 31, v70
	v_lshlrev_b64 v[4:5], 2, v[70:71]
	v_add_co_u32_e32 v36, vcc, s12, v4
	v_addc_co_u32_e32 v37, vcc, v2, v5, vcc
	global_load_dword v38, v[36:37], off
	global_load_dwordx4 v[4:7], v[72:73], off offset:48
	global_load_dwordx4 v[8:11], v[72:73], off offset:32
	;; [unrolled: 1-line block ×3, first 2 shown]
	global_load_dwordx4 v[16:19], v[72:73], off
	global_load_dwordx4 v[20:23], v[72:73], off offset:112
	global_load_dwordx4 v[24:27], v[72:73], off offset:96
	;; [unrolled: 1-line block ×4, first 2 shown]
	v_add_u32_e32 v1, 0xffffff80, v1
	v_add_u32_e32 v70, 4, v70
	s_waitcnt vmcnt(8)
	v_subrev_u32_e32 v36, s2, v38
	v_lshlrev_b32_e32 v36, 2, v36
	v_ashrrev_i32_e32 v37, 31, v36
	v_lshlrev_b64 v[36:37], 3, v[36:37]
	v_add_co_u32_e32 v44, vcc, s6, v36
	v_addc_co_u32_e32 v45, vcc, v3, v37, vcc
	global_load_dwordx4 v[36:39], v[44:45], off
	global_load_dwordx4 v[40:43], v[44:45], off offset:16
	v_add_co_u32_e32 v72, vcc, 0x200, v72
	v_addc_co_u32_e32 v73, vcc, 0, v73, vcc
	v_cmp_eq_u32_e32 vcc, 0, v1
	s_or_b64 s[16:17], vcc, s[16:17]
	s_waitcnt vmcnt(1)
	v_fmac_f64_e32 v[68:69], v[16:17], v[36:37]
	v_fmac_f64_e32 v[66:67], v[8:9], v[36:37]
	;; [unrolled: 1-line block ×8, first 2 shown]
	s_waitcnt vmcnt(0)
	v_fmac_f64_e32 v[68:69], v[12:13], v[40:41]
	v_fmac_f64_e32 v[66:67], v[4:5], v[40:41]
	;; [unrolled: 1-line block ×8, first 2 shown]
	s_andn2_b64 exec, exec, s[16:17]
	s_cbranch_execnz .LBB5_17
; %bb.18:
	s_or_b64 exec, exec, s[16:17]
.LBB5_19:
	s_or_b64 exec, exec, s[14:15]
	v_cmp_lt_u32_e32 vcc, 11, v0
	s_and_saveexec_b64 s[14:15], vcc
	s_cbranch_execz .LBB5_23
; %bb.20:
	s_mov_b64 s[16:17], 0
	v_mov_b32_e32 v59, s13
	v_mov_b32_e32 v76, s7
.LBB5_21:                               ; =>This Inner Loop Header: Depth=1
	v_ashrrev_i32_e32 v71, 31, v70
	v_lshlrev_b64 v[90:91], 2, v[70:71]
	v_add_co_u32_e32 v90, vcc, s12, v90
	v_addc_co_u32_e32 v91, vcc, v59, v91, vcc
	global_load_dwordx4 v[0:3], v[72:73], off offset:48
	global_load_dwordx4 v[8:11], v[72:73], off offset:32
	;; [unrolled: 1-line block ×3, first 2 shown]
	global_load_dwordx4 v[12:15], v[72:73], off
	global_load_dwordx4 v[16:19], v[72:73], off offset:112
	global_load_dwordx4 v[28:31], v[72:73], off offset:96
	;; [unrolled: 1-line block ×12, first 2 shown]
	global_load_dword v71, v[90:91], off
	global_load_dword v77, v[90:91], off offset:16
	global_load_dword v100, v[90:91], off offset:32
	;; [unrolled: 1-line block ×3, first 2 shown]
	v_add_u32_e32 v70, 16, v70
	s_waitcnt vmcnt(3)
	v_subrev_u32_e32 v71, s2, v71
	v_lshlrev_b32_e32 v90, 2, v71
	v_ashrrev_i32_e32 v91, 31, v90
	v_lshlrev_b64 v[90:91], 3, v[90:91]
	v_add_co_u32_e32 v98, vcc, s6, v90
	v_addc_co_u32_e32 v99, vcc, v76, v91, vcc
	global_load_dwordx4 v[90:93], v[98:99], off
	global_load_dwordx4 v[94:97], v[98:99], off offset:16
	s_waitcnt vmcnt(4)
	v_subrev_u32_e32 v71, s2, v77
	s_waitcnt vmcnt(2)
	v_subrev_u32_e32 v77, s2, v101
	s_waitcnt vmcnt(1)
	v_fmac_f64_e32 v[68:69], v[12:13], v[90:91]
	v_fmac_f64_e32 v[66:67], v[8:9], v[90:91]
	;; [unrolled: 1-line block ×4, first 2 shown]
	v_lshlrev_b32_e32 v90, 2, v71
	v_ashrrev_i32_e32 v91, 31, v90
	v_lshlrev_b64 v[90:91], 3, v[90:91]
	v_fmac_f64_e32 v[68:69], v[14:15], v[92:93]
	v_fmac_f64_e32 v[66:67], v[10:11], v[92:93]
	v_fmac_f64_e32 v[64:65], v[38:39], v[92:93]
	v_fmac_f64_e32 v[60:61], v[30:31], v[92:93]
	v_add_co_u32_e32 v98, vcc, s6, v90
	v_addc_co_u32_e32 v99, vcc, v76, v91, vcc
	s_waitcnt vmcnt(0)
	v_fmac_f64_e32 v[68:69], v[4:5], v[94:95]
	v_fmac_f64_e32 v[66:67], v[0:1], v[94:95]
	;; [unrolled: 1-line block ×4, first 2 shown]
	global_load_dwordx4 v[12:15], v[72:73], off offset:1072
	global_load_dwordx4 v[8:11], v[72:73], off offset:1056
	;; [unrolled: 1-line block ×5, first 2 shown]
	v_fmac_f64_e32 v[68:69], v[6:7], v[96:97]
	global_load_dwordx4 v[4:7], v[72:73], off offset:1120
	v_fmac_f64_e32 v[66:67], v[2:3], v[96:97]
	global_load_dwordx4 v[0:3], v[72:73], off offset:1104
	;; [unrolled: 2-line block ×3, first 2 shown]
	v_fmac_f64_e32 v[60:61], v[18:19], v[96:97]
	global_load_dwordx4 v[16:19], v[98:99], off
	global_load_dwordx4 v[94:97], v[98:99], off offset:16
	v_subrev_u32_e32 v71, s2, v100
	s_waitcnt vmcnt(1)
	v_fmac_f64_e32 v[60:61], v[82:83], v[16:17]
	v_lshlrev_b32_e32 v82, 2, v71
	v_ashrrev_i32_e32 v83, 31, v82
	v_fmac_f64_e32 v[60:61], v[84:85], v[18:19]
	v_lshlrev_b32_e32 v84, 2, v77
	v_lshlrev_b64 v[82:83], 3, v[82:83]
	v_fmac_f64_e32 v[68:69], v[78:79], v[16:17]
	v_fmac_f64_e32 v[66:67], v[40:41], v[16:17]
	;; [unrolled: 1-line block ×3, first 2 shown]
	v_ashrrev_i32_e32 v85, 31, v84
	v_add_co_u32_e32 v98, vcc, s6, v82
	v_fmac_f64_e32 v[68:69], v[80:81], v[18:19]
	v_fmac_f64_e32 v[66:67], v[42:43], v[18:19]
	;; [unrolled: 1-line block ×3, first 2 shown]
	v_lshlrev_b64 v[84:85], 3, v[84:85]
	v_addc_co_u32_e32 v99, vcc, v76, v83, vcc
	v_add_co_u32_e32 v102, vcc, s6, v84
	s_waitcnt vmcnt(0)
	v_fmac_f64_e32 v[68:69], v[32:33], v[94:95]
	v_fmac_f64_e32 v[66:67], v[24:25], v[94:95]
	;; [unrolled: 1-line block ×4, first 2 shown]
	global_load_dwordx4 v[78:81], v[72:73], off offset:1584
	global_load_dwordx4 v[40:43], v[72:73], off offset:1568
	;; [unrolled: 1-line block ×4, first 2 shown]
	v_addc_co_u32_e32 v103, vcc, v76, v85, vcc
	global_load_dwordx4 v[82:85], v[72:73], off offset:1648
	v_fmac_f64_e32 v[68:69], v[34:35], v[96:97]
	global_load_dwordx4 v[32:35], v[72:73], off offset:1632
	v_fmac_f64_e32 v[66:67], v[26:27], v[96:97]
	;; [unrolled: 2-line block ×4, first 2 shown]
	global_load_dwordx4 v[44:47], v[98:99], off
	global_load_dwordx4 v[94:97], v[98:99], off offset:16
	v_add_co_u32_e32 v72, vcc, 0x800, v72
	v_addc_co_u32_e32 v73, vcc, 0, v73, vcc
	v_cmp_ge_i32_e32 vcc, v70, v74
	s_or_b64 s[16:17], vcc, s[16:17]
	s_waitcnt vmcnt(1)
	v_fmac_f64_e32 v[68:69], v[28:29], v[44:45]
	v_fmac_f64_e32 v[68:69], v[30:31], v[46:47]
	global_load_dwordx4 v[28:31], v[102:103], off
	global_load_dwordx4 v[98:101], v[102:103], off offset:16
	v_fmac_f64_e32 v[66:67], v[8:9], v[44:45]
	v_fmac_f64_e32 v[64:65], v[20:21], v[44:45]
	v_fmac_f64_e32 v[60:61], v[4:5], v[44:45]
	v_fmac_f64_e32 v[66:67], v[10:11], v[46:47]
	v_fmac_f64_e32 v[64:65], v[22:23], v[46:47]
	v_fmac_f64_e32 v[60:61], v[6:7], v[46:47]
	s_waitcnt vmcnt(2)
	v_fmac_f64_e32 v[68:69], v[36:37], v[94:95]
	v_fmac_f64_e32 v[66:67], v[12:13], v[94:95]
	v_fmac_f64_e32 v[64:65], v[0:1], v[94:95]
	v_fmac_f64_e32 v[60:61], v[90:91], v[94:95]
	v_fmac_f64_e32 v[68:69], v[38:39], v[96:97]
	v_fmac_f64_e32 v[66:67], v[14:15], v[96:97]
	v_fmac_f64_e32 v[64:65], v[2:3], v[96:97]
	v_fmac_f64_e32 v[60:61], v[92:93], v[96:97]
	s_waitcnt vmcnt(1)
	v_fmac_f64_e32 v[68:69], v[16:17], v[28:29]
	v_fmac_f64_e32 v[66:67], v[40:41], v[28:29]
	;; [unrolled: 9-line block ×3, first 2 shown]
	v_fmac_f64_e32 v[64:65], v[24:25], v[98:99]
	v_fmac_f64_e32 v[60:61], v[82:83], v[98:99]
	;; [unrolled: 1-line block ×6, first 2 shown]
	s_andn2_b64 exec, exec, s[16:17]
	s_cbranch_execnz .LBB5_21
; %bb.22:
	s_or_b64 exec, exec, s[16:17]
.LBB5_23:
	s_or_b64 exec, exec, s[14:15]
.LBB5_24:
	s_or_b64 exec, exec, s[10:11]
	s_andn2_b64 vcc, exec, s[8:9]
	s_cbranch_vccz .LBB5_26
	s_branch .LBB5_37
.LBB5_25:
                                        ; implicit-def: $vgpr60_vgpr61
                                        ; implicit-def: $vgpr64_vgpr65
                                        ; implicit-def: $vgpr66_vgpr67
                                        ; implicit-def: $vgpr68_vgpr69
.LBB5_26:
	v_pk_mov_b32 v[60:61], 0, 0
	v_pk_mov_b32 v[64:65], v[60:61], v[60:61] op_sel:[0,1]
	v_pk_mov_b32 v[66:67], v[60:61], v[60:61] op_sel:[0,1]
	v_pk_mov_b32 v[68:69], v[60:61], v[60:61] op_sel:[0,1]
	s_and_saveexec_b64 s[8:9], s[0:1]
	s_cbranch_execz .LBB5_36
; %bb.27:
	v_add_u32_e32 v0, v75, v57
	v_subrev_u32_e32 v0, s2, v0
	v_add_u32_e32 v0, 4, v0
	v_max_i32_e32 v0, v0, v74
	v_not_b32_e32 v1, v75
	v_add3_u32 v0, v0, s2, v1
	v_sub_u32_e32 v0, v0, v57
	v_lshrrev_b32_e32 v1, 2, v0
	v_add_u32_e32 v1, 1, v1
	v_and_b32_e32 v1, 3, v1
	v_pk_mov_b32 v[68:69], 0, 0
	v_cmp_ne_u32_e32 vcc, 0, v1
	v_pk_mov_b32 v[66:67], v[68:69], v[68:69] op_sel:[0,1]
	v_pk_mov_b32 v[64:65], v[68:69], v[68:69] op_sel:[0,1]
	;; [unrolled: 1-line block ×3, first 2 shown]
	s_and_saveexec_b64 s[0:1], vcc
	s_cbranch_execz .LBB5_31
; %bb.28:
	v_pk_mov_b32 v[60:61], 0, 0
	v_lshlrev_b32_e32 v1, 7, v1
	s_mov_b64 s[10:11], 0
	v_mov_b32_e32 v2, s13
	v_mov_b32_e32 v3, s7
	v_pk_mov_b32 v[64:65], v[60:61], v[60:61] op_sel:[0,1]
	v_pk_mov_b32 v[66:67], v[60:61], v[60:61] op_sel:[0,1]
	v_pk_mov_b32 v[68:69], v[60:61], v[60:61] op_sel:[0,1]
.LBB5_29:                               ; =>This Inner Loop Header: Depth=1
	v_ashrrev_i32_e32 v59, 31, v58
	v_lshlrev_b64 v[4:5], 2, v[58:59]
	v_add_co_u32_e32 v28, vcc, s12, v4
	v_addc_co_u32_e32 v29, vcc, v2, v5, vcc
	global_load_dword v30, v[28:29], off
	global_load_dwordx4 v[4:7], v[62:63], off offset:48
	global_load_dwordx4 v[8:11], v[62:63], off offset:32
	global_load_dwordx4 v[12:15], v[62:63], off offset:16
	global_load_dwordx4 v[16:19], v[62:63], off
	global_load_dwordx4 v[20:23], v[62:63], off offset:80
	global_load_dwordx4 v[24:27], v[62:63], off offset:64
	v_add_u32_e32 v1, 0xffffff80, v1
	v_add_u32_e32 v58, 4, v58
	s_waitcnt vmcnt(6)
	v_subrev_u32_e32 v28, s2, v30
	v_lshlrev_b32_e32 v28, 2, v28
	v_ashrrev_i32_e32 v29, 31, v28
	v_lshlrev_b64 v[28:29], 3, v[28:29]
	v_add_co_u32_e32 v44, vcc, s6, v28
	v_addc_co_u32_e32 v45, vcc, v3, v29, vcc
	global_load_dwordx4 v[28:31], v[44:45], off
	global_load_dwordx4 v[32:35], v[44:45], off offset:16
	global_load_dwordx4 v[36:39], v[62:63], off offset:96
	;; [unrolled: 1-line block ×3, first 2 shown]
	v_add_co_u32_e32 v62, vcc, 0x200, v62
	v_addc_co_u32_e32 v63, vcc, 0, v63, vcc
	v_cmp_eq_u32_e32 vcc, 0, v1
	s_or_b64 s[10:11], vcc, s[10:11]
	s_waitcnt vmcnt(3)
	v_fmac_f64_e32 v[68:69], v[16:17], v[28:29]
	v_fmac_f64_e32 v[66:67], v[18:19], v[28:29]
	;; [unrolled: 1-line block ×8, first 2 shown]
	s_waitcnt vmcnt(2)
	v_fmac_f64_e32 v[68:69], v[24:25], v[32:33]
	v_fmac_f64_e32 v[66:67], v[26:27], v[32:33]
	;; [unrolled: 1-line block ×4, first 2 shown]
	s_waitcnt vmcnt(1)
	v_fmac_f64_e32 v[68:69], v[36:37], v[34:35]
	v_fmac_f64_e32 v[66:67], v[38:39], v[34:35]
	s_waitcnt vmcnt(0)
	v_fmac_f64_e32 v[64:65], v[40:41], v[34:35]
	v_fmac_f64_e32 v[60:61], v[42:43], v[34:35]
	s_andn2_b64 exec, exec, s[10:11]
	s_cbranch_execnz .LBB5_29
; %bb.30:
	s_or_b64 exec, exec, s[10:11]
.LBB5_31:
	s_or_b64 exec, exec, s[0:1]
	v_cmp_lt_u32_e32 vcc, 11, v0
	s_and_saveexec_b64 s[0:1], vcc
	s_cbranch_execz .LBB5_35
; %bb.32:
	s_mov_b64 s[10:11], 0
	v_mov_b32_e32 v44, s13
	v_mov_b32_e32 v45, s7
.LBB5_33:                               ; =>This Inner Loop Header: Depth=1
	v_ashrrev_i32_e32 v59, 31, v58
	v_lshlrev_b64 v[50:51], 2, v[58:59]
	v_add_co_u32_e32 v50, vcc, s12, v50
	v_addc_co_u32_e32 v51, vcc, v44, v51, vcc
	global_load_dwordx4 v[0:3], v[62:63], off offset:48
	global_load_dwordx4 v[4:7], v[62:63], off offset:32
	;; [unrolled: 1-line block ×3, first 2 shown]
	global_load_dwordx4 v[12:15], v[62:63], off
	global_load_dwordx4 v[16:19], v[62:63], off offset:112
	global_load_dwordx4 v[20:23], v[62:63], off offset:96
	;; [unrolled: 1-line block ×8, first 2 shown]
	global_load_dword v59, v[50:51], off
	global_load_dword v75, v[50:51], off offset:16
	global_load_dword v80, v[50:51], off offset:32
	;; [unrolled: 1-line block ×3, first 2 shown]
	v_add_u32_e32 v58, 16, v58
	s_waitcnt vmcnt(3)
	v_subrev_u32_e32 v50, s2, v59
	v_lshlrev_b32_e32 v50, 2, v50
	v_ashrrev_i32_e32 v51, 31, v50
	v_lshlrev_b64 v[50:51], 3, v[50:51]
	v_add_co_u32_e32 v50, vcc, s6, v50
	v_addc_co_u32_e32 v51, vcc, v45, v51, vcc
	global_load_dwordx4 v[70:73], v[50:51], off
	global_load_dwordx4 v[76:79], v[50:51], off offset:16
	s_waitcnt vmcnt(4)
	v_subrev_u32_e32 v50, s2, v75
	v_lshlrev_b32_e32 v50, 2, v50
	v_ashrrev_i32_e32 v51, 31, v50
	v_lshlrev_b64 v[50:51], 3, v[50:51]
	v_add_co_u32_e32 v50, vcc, s6, v50
	v_addc_co_u32_e32 v51, vcc, v45, v51, vcc
	s_waitcnt vmcnt(1)
	v_fmac_f64_e32 v[68:69], v[12:13], v[70:71]
	v_fmac_f64_e32 v[66:67], v[14:15], v[70:71]
	;; [unrolled: 1-line block ×8, first 2 shown]
	s_waitcnt vmcnt(0)
	v_fmac_f64_e32 v[68:69], v[28:29], v[76:77]
	v_fmac_f64_e32 v[66:67], v[30:31], v[76:77]
	;; [unrolled: 1-line block ×4, first 2 shown]
	global_load_dwordx4 v[12:15], v[62:63], off offset:624
	global_load_dwordx4 v[8:11], v[62:63], off offset:608
	;; [unrolled: 1-line block ×7, first 2 shown]
	v_fmac_f64_e32 v[68:69], v[20:21], v[78:79]
	v_fmac_f64_e32 v[66:67], v[22:23], v[78:79]
	global_load_dwordx4 v[20:23], v[62:63], off offset:1024
	v_fmac_f64_e32 v[64:65], v[16:17], v[78:79]
	v_fmac_f64_e32 v[60:61], v[18:19], v[78:79]
	global_load_dwordx4 v[16:19], v[50:51], off
	global_load_dwordx4 v[76:79], v[50:51], off offset:16
	v_subrev_u32_e32 v50, s2, v80
	v_lshlrev_b32_e32 v50, 2, v50
	v_ashrrev_i32_e32 v51, 31, v50
	v_lshlrev_b64 v[50:51], 3, v[50:51]
	v_add_co_u32_e32 v50, vcc, s6, v50
	v_addc_co_u32_e32 v51, vcc, v45, v51, vcc
	s_waitcnt vmcnt(1)
	v_fmac_f64_e32 v[68:69], v[46:47], v[16:17]
	v_fmac_f64_e32 v[66:67], v[48:49], v[16:17]
	;; [unrolled: 1-line block ×8, first 2 shown]
	s_waitcnt vmcnt(0)
	v_fmac_f64_e32 v[68:69], v[0:1], v[76:77]
	v_fmac_f64_e32 v[66:67], v[2:3], v[76:77]
	;; [unrolled: 1-line block ×4, first 2 shown]
	global_load_dwordx4 v[46:49], v[62:63], off offset:1136
	global_load_dwordx4 v[40:43], v[62:63], off offset:1120
	;; [unrolled: 1-line block ×7, first 2 shown]
	v_fmac_f64_e32 v[68:69], v[8:9], v[78:79]
	v_fmac_f64_e32 v[66:67], v[10:11], v[78:79]
	global_load_dwordx4 v[8:11], v[62:63], off offset:1536
	v_fmac_f64_e32 v[64:65], v[12:13], v[78:79]
	v_fmac_f64_e32 v[60:61], v[14:15], v[78:79]
	global_load_dwordx4 v[12:15], v[62:63], off offset:1632
	global_load_dwordx4 v[76:79], v[50:51], off
	global_load_dwordx4 v[80:83], v[50:51], off offset:16
	v_subrev_u32_e32 v50, s2, v84
	s_waitcnt vmcnt(1)
	v_fmac_f64_e32 v[68:69], v[20:21], v[76:77]
	v_fmac_f64_e32 v[68:69], v[28:29], v[78:79]
	v_lshlrev_b32_e32 v28, 2, v50
	v_ashrrev_i32_e32 v29, 31, v28
	v_lshlrev_b64 v[28:29], 3, v[28:29]
	v_add_co_u32_e32 v50, vcc, s6, v28
	v_fmac_f64_e32 v[66:67], v[22:23], v[76:77]
	v_fmac_f64_e32 v[64:65], v[24:25], v[76:77]
	;; [unrolled: 1-line block ×3, first 2 shown]
	v_addc_co_u32_e32 v51, vcc, v45, v29, vcc
	global_load_dwordx4 v[20:23], v[62:63], off offset:1616
	global_load_dwordx4 v[24:27], v[62:63], off offset:1600
	v_fmac_f64_e32 v[66:67], v[30:31], v[78:79]
	v_fmac_f64_e32 v[64:65], v[70:71], v[78:79]
	;; [unrolled: 1-line block ×3, first 2 shown]
	global_load_dwordx4 v[28:31], v[50:51], off
	global_load_dwordx4 v[70:73], v[50:51], off offset:16
	global_load_dwordx4 v[76:79], v[62:63], off offset:1648
	s_waitcnt vmcnt(5)
	v_fmac_f64_e32 v[68:69], v[16:17], v[80:81]
	v_fmac_f64_e32 v[66:67], v[18:19], v[80:81]
	;; [unrolled: 1-line block ×8, first 2 shown]
	v_add_co_u32_e32 v62, vcc, 0x800, v62
	v_addc_co_u32_e32 v63, vcc, 0, v63, vcc
	v_cmp_ge_i32_e32 vcc, v58, v74
	s_or_b64 s[10:11], vcc, s[10:11]
	s_waitcnt vmcnt(2)
	v_fmac_f64_e32 v[68:69], v[8:9], v[28:29]
	v_fmac_f64_e32 v[66:67], v[10:11], v[28:29]
	;; [unrolled: 1-line block ×8, first 2 shown]
	s_waitcnt vmcnt(1)
	v_fmac_f64_e32 v[68:69], v[24:25], v[70:71]
	v_fmac_f64_e32 v[66:67], v[26:27], v[70:71]
	v_fmac_f64_e32 v[64:65], v[20:21], v[70:71]
	v_fmac_f64_e32 v[60:61], v[22:23], v[70:71]
	v_fmac_f64_e32 v[68:69], v[12:13], v[72:73]
	v_fmac_f64_e32 v[66:67], v[14:15], v[72:73]
	s_waitcnt vmcnt(0)
	v_fmac_f64_e32 v[64:65], v[76:77], v[72:73]
	v_fmac_f64_e32 v[60:61], v[78:79], v[72:73]
	s_andn2_b64 exec, exec, s[10:11]
	s_cbranch_execnz .LBB5_33
; %bb.34:
	s_or_b64 exec, exec, s[10:11]
.LBB5_35:
	s_or_b64 exec, exec, s[0:1]
.LBB5_36:
	s_or_b64 exec, exec, s[8:9]
.LBB5_37:
	v_mov_b32_dpp v0, v68 row_shr:1 row_mask:0xf bank_mask:0xf
	v_mov_b32_dpp v1, v69 row_shr:1 row_mask:0xf bank_mask:0xf
	;; [unrolled: 1-line block ×8, first 2 shown]
	v_add_f64 v[0:1], v[68:69], v[0:1]
	v_add_f64 v[4:5], v[66:67], v[4:5]
	;; [unrolled: 1-line block ×4, first 2 shown]
	v_mov_b32_dpp v2, v0 row_shr:2 row_mask:0xf bank_mask:0xf
	v_mov_b32_dpp v3, v1 row_shr:2 row_mask:0xf bank_mask:0xf
	;; [unrolled: 1-line block ×8, first 2 shown]
	v_cmp_eq_u32_e32 vcc, 3, v57
	s_and_b64 exec, exec, vcc
	s_cbranch_execz .LBB5_10
; %bb.38:
	s_load_dwordx2 s[0:1], s[4:5], 0x50
	v_add_f64 v[0:1], v[0:1], v[2:3]
	v_add_f64 v[2:3], v[4:5], v[6:7]
	;; [unrolled: 1-line block ×4, first 2 shown]
	v_cmp_eq_f64_e32 vcc, 0, v[52:53]
	v_mul_f64 v[4:5], v[54:55], v[0:1]
	v_mul_f64 v[6:7], v[54:55], v[2:3]
	;; [unrolled: 1-line block ×4, first 2 shown]
	v_lshlrev_b32_e32 v8, 2, v56
	s_and_saveexec_b64 s[2:3], vcc
	s_xor_b64 s[2:3], exec, s[2:3]
	s_cbranch_execz .LBB5_40
; %bb.39:
	v_ashrrev_i32_e32 v9, 31, v8
	v_lshlrev_b64 v[8:9], 3, v[8:9]
	s_waitcnt lgkmcnt(0)
	v_mov_b32_e32 v10, s1
	v_add_co_u32_e32 v8, vcc, s0, v8
	v_addc_co_u32_e32 v9, vcc, v10, v9, vcc
	global_store_dwordx4 v[8:9], v[4:7], off
	global_store_dwordx4 v[8:9], v[0:3], off offset:16
                                        ; implicit-def: $vgpr8
                                        ; implicit-def: $vgpr52_vgpr53
                                        ; implicit-def: $vgpr4_vgpr5
                                        ; implicit-def: $vgpr0_vgpr1
.LBB5_40:
	s_andn2_saveexec_b64 s[2:3], s[2:3]
	s_cbranch_execz .LBB5_10
; %bb.41:
	v_ashrrev_i32_e32 v9, 31, v8
	v_lshlrev_b64 v[8:9], 3, v[8:9]
	s_waitcnt lgkmcnt(0)
	v_mov_b32_e32 v10, s1
	v_add_co_u32_e32 v16, vcc, s0, v8
	v_addc_co_u32_e32 v17, vcc, v10, v9, vcc
	global_load_dwordx4 v[8:11], v[16:17], off
	global_load_dwordx4 v[12:15], v[16:17], off offset:16
	s_waitcnt vmcnt(1)
	v_fmac_f64_e32 v[4:5], v[52:53], v[8:9]
	v_fmac_f64_e32 v[6:7], v[52:53], v[10:11]
	s_waitcnt vmcnt(0)
	v_fmac_f64_e32 v[0:1], v[52:53], v[12:13]
	v_fmac_f64_e32 v[2:3], v[52:53], v[14:15]
	global_store_dwordx4 v[16:17], v[4:7], off
	global_store_dwordx4 v[16:17], v[0:3], off offset:16
	s_endpgm
	.section	.rodata,"a",@progbits
	.p2align	6, 0x0
	.amdhsa_kernel _ZN9rocsparseL18bsrxmvn_4x4_kernelILj128ELj4EdiidddEEvT3_20rocsparse_direction_NS_24const_host_device_scalarIT1_EES1_PKS1_PKT2_SA_S7_PKT4_PKT5_S5_PT6_21rocsparse_index_base_b
		.amdhsa_group_segment_fixed_size 0
		.amdhsa_private_segment_fixed_size 0
		.amdhsa_kernarg_size 96
		.amdhsa_user_sgpr_count 6
		.amdhsa_user_sgpr_private_segment_buffer 1
		.amdhsa_user_sgpr_dispatch_ptr 0
		.amdhsa_user_sgpr_queue_ptr 0
		.amdhsa_user_sgpr_kernarg_segment_ptr 1
		.amdhsa_user_sgpr_dispatch_id 0
		.amdhsa_user_sgpr_flat_scratch_init 0
		.amdhsa_user_sgpr_kernarg_preload_length 0
		.amdhsa_user_sgpr_kernarg_preload_offset 0
		.amdhsa_user_sgpr_private_segment_size 0
		.amdhsa_uses_dynamic_stack 0
		.amdhsa_system_sgpr_private_segment_wavefront_offset 0
		.amdhsa_system_sgpr_workgroup_id_x 1
		.amdhsa_system_sgpr_workgroup_id_y 0
		.amdhsa_system_sgpr_workgroup_id_z 0
		.amdhsa_system_sgpr_workgroup_info 0
		.amdhsa_system_vgpr_workitem_id 0
		.amdhsa_next_free_vgpr 104
		.amdhsa_next_free_sgpr 18
		.amdhsa_accum_offset 104
		.amdhsa_reserve_vcc 1
		.amdhsa_reserve_flat_scratch 0
		.amdhsa_float_round_mode_32 0
		.amdhsa_float_round_mode_16_64 0
		.amdhsa_float_denorm_mode_32 3
		.amdhsa_float_denorm_mode_16_64 3
		.amdhsa_dx10_clamp 1
		.amdhsa_ieee_mode 1
		.amdhsa_fp16_overflow 0
		.amdhsa_tg_split 0
		.amdhsa_exception_fp_ieee_invalid_op 0
		.amdhsa_exception_fp_denorm_src 0
		.amdhsa_exception_fp_ieee_div_zero 0
		.amdhsa_exception_fp_ieee_overflow 0
		.amdhsa_exception_fp_ieee_underflow 0
		.amdhsa_exception_fp_ieee_inexact 0
		.amdhsa_exception_int_div_zero 0
	.end_amdhsa_kernel
	.section	.text._ZN9rocsparseL18bsrxmvn_4x4_kernelILj128ELj4EdiidddEEvT3_20rocsparse_direction_NS_24const_host_device_scalarIT1_EES1_PKS1_PKT2_SA_S7_PKT4_PKT5_S5_PT6_21rocsparse_index_base_b,"axG",@progbits,_ZN9rocsparseL18bsrxmvn_4x4_kernelILj128ELj4EdiidddEEvT3_20rocsparse_direction_NS_24const_host_device_scalarIT1_EES1_PKS1_PKT2_SA_S7_PKT4_PKT5_S5_PT6_21rocsparse_index_base_b,comdat
.Lfunc_end5:
	.size	_ZN9rocsparseL18bsrxmvn_4x4_kernelILj128ELj4EdiidddEEvT3_20rocsparse_direction_NS_24const_host_device_scalarIT1_EES1_PKS1_PKT2_SA_S7_PKT4_PKT5_S5_PT6_21rocsparse_index_base_b, .Lfunc_end5-_ZN9rocsparseL18bsrxmvn_4x4_kernelILj128ELj4EdiidddEEvT3_20rocsparse_direction_NS_24const_host_device_scalarIT1_EES1_PKS1_PKT2_SA_S7_PKT4_PKT5_S5_PT6_21rocsparse_index_base_b
                                        ; -- End function
	.section	.AMDGPU.csdata,"",@progbits
; Kernel info:
; codeLenInByte = 3496
; NumSgprs: 22
; NumVgprs: 104
; NumAgprs: 0
; TotalNumVgprs: 104
; ScratchSize: 0
; MemoryBound: 1
; FloatMode: 240
; IeeeMode: 1
; LDSByteSize: 0 bytes/workgroup (compile time only)
; SGPRBlocks: 2
; VGPRBlocks: 12
; NumSGPRsForWavesPerEU: 22
; NumVGPRsForWavesPerEU: 104
; AccumOffset: 104
; Occupancy: 4
; WaveLimiterHint : 1
; COMPUTE_PGM_RSRC2:SCRATCH_EN: 0
; COMPUTE_PGM_RSRC2:USER_SGPR: 6
; COMPUTE_PGM_RSRC2:TRAP_HANDLER: 0
; COMPUTE_PGM_RSRC2:TGID_X_EN: 1
; COMPUTE_PGM_RSRC2:TGID_Y_EN: 0
; COMPUTE_PGM_RSRC2:TGID_Z_EN: 0
; COMPUTE_PGM_RSRC2:TIDIG_COMP_CNT: 0
; COMPUTE_PGM_RSRC3_GFX90A:ACCUM_OFFSET: 25
; COMPUTE_PGM_RSRC3_GFX90A:TG_SPLIT: 0
	.section	.text._ZN9rocsparseL18bsrxmvn_4x4_kernelILj128ELj8EdiidddEEvT3_20rocsparse_direction_NS_24const_host_device_scalarIT1_EES1_PKS1_PKT2_SA_S7_PKT4_PKT5_S5_PT6_21rocsparse_index_base_b,"axG",@progbits,_ZN9rocsparseL18bsrxmvn_4x4_kernelILj128ELj8EdiidddEEvT3_20rocsparse_direction_NS_24const_host_device_scalarIT1_EES1_PKS1_PKT2_SA_S7_PKT4_PKT5_S5_PT6_21rocsparse_index_base_b,comdat
	.globl	_ZN9rocsparseL18bsrxmvn_4x4_kernelILj128ELj8EdiidddEEvT3_20rocsparse_direction_NS_24const_host_device_scalarIT1_EES1_PKS1_PKT2_SA_S7_PKT4_PKT5_S5_PT6_21rocsparse_index_base_b ; -- Begin function _ZN9rocsparseL18bsrxmvn_4x4_kernelILj128ELj8EdiidddEEvT3_20rocsparse_direction_NS_24const_host_device_scalarIT1_EES1_PKS1_PKT2_SA_S7_PKT4_PKT5_S5_PT6_21rocsparse_index_base_b
	.p2align	8
	.type	_ZN9rocsparseL18bsrxmvn_4x4_kernelILj128ELj8EdiidddEEvT3_20rocsparse_direction_NS_24const_host_device_scalarIT1_EES1_PKS1_PKT2_SA_S7_PKT4_PKT5_S5_PT6_21rocsparse_index_base_b,@function
_ZN9rocsparseL18bsrxmvn_4x4_kernelILj128ELj8EdiidddEEvT3_20rocsparse_direction_NS_24const_host_device_scalarIT1_EES1_PKS1_PKT2_SA_S7_PKT4_PKT5_S5_PT6_21rocsparse_index_base_b: ; @_ZN9rocsparseL18bsrxmvn_4x4_kernelILj128ELj8EdiidddEEvT3_20rocsparse_direction_NS_24const_host_device_scalarIT1_EES1_PKS1_PKT2_SA_S7_PKT4_PKT5_S5_PT6_21rocsparse_index_base_b
; %bb.0:
	s_load_dwordx2 s[2:3], s[4:5], 0x58
	s_load_dwordx2 s[10:11], s[4:5], 0x8
	;; [unrolled: 1-line block ×3, first 2 shown]
	s_waitcnt lgkmcnt(0)
	s_bitcmp1_b32 s3, 0
	s_cselect_b64 s[12:13], -1, 0
	s_xor_b64 s[8:9], s[12:13], -1
	s_and_b64 vcc, exec, s[12:13]
	v_pk_mov_b32 v[54:55], s[10:11], s[10:11] op_sel:[0,1]
	s_cbranch_vccnz .LBB6_2
; %bb.1:
	v_pk_mov_b32 v[2:3], s[10:11], s[10:11] op_sel:[0,1]
	flat_load_dwordx2 v[54:55], v[2:3]
.LBB6_2:
	s_andn2_b64 vcc, exec, s[8:9]
	v_pk_mov_b32 v[52:53], s[0:1], s[0:1] op_sel:[0,1]
	s_cbranch_vccnz .LBB6_4
; %bb.3:
	v_pk_mov_b32 v[2:3], s[0:1], s[0:1] op_sel:[0,1]
	flat_load_dwordx2 v[52:53], v[2:3]
.LBB6_4:
	s_waitcnt vmcnt(0) lgkmcnt(0)
	v_cmp_neq_f64_e32 vcc, 0, v[54:55]
	v_cmp_neq_f64_e64 s[0:1], 1.0, v[52:53]
	s_mov_b64 s[8:9], 0
	s_or_b64 s[0:1], vcc, s[0:1]
	s_and_saveexec_b64 s[10:11], s[0:1]
	s_cbranch_execz .LBB6_10
; %bb.5:
	s_load_dwordx2 s[10:11], s[4:5], 0x18
	s_load_dwordx2 s[0:1], s[4:5], 0x0
	v_lshrrev_b32_e32 v1, 3, v0
	v_lshl_or_b32 v56, s6, 4, v1
	s_mov_b64 s[6:7], 0
	s_waitcnt lgkmcnt(0)
	s_cmp_lg_u64 s[10:11], 0
	s_cbranch_scc0 .LBB6_11
; %bb.6:
	s_load_dword s3, s[4:5], 0x10
                                        ; implicit-def: $vgpr1
	s_waitcnt lgkmcnt(0)
	v_cmp_gt_i32_e32 vcc, s3, v56
	s_and_saveexec_b64 s[8:9], vcc
	s_xor_b64 s[8:9], exec, s[8:9]
	s_cbranch_execz .LBB6_8
; %bb.7:
	v_ashrrev_i32_e32 v57, 31, v56
	v_lshlrev_b64 v[2:3], 2, v[56:57]
	v_mov_b32_e32 v1, s11
	v_add_co_u32_e32 v2, vcc, s10, v2
	v_addc_co_u32_e32 v3, vcc, v1, v3, vcc
	global_load_dword v1, v[2:3], off
	s_mov_b64 s[6:7], exec
	s_waitcnt vmcnt(0)
	v_subrev_u32_e32 v1, s2, v1
.LBB6_8:
	s_or_b64 exec, exec, s[8:9]
	s_mov_b64 s[8:9], s[6:7]
	s_branch .LBB6_12
.LBB6_9:
	v_cmp_gt_i32_e32 vcc, s0, v56
	s_andn2_b64 s[6:7], s[8:9], exec
	s_and_b64 s[8:9], vcc, exec
	s_or_b64 s[8:9], s[6:7], s[8:9]
	s_and_b64 exec, exec, s[8:9]
	s_cbranch_execnz .LBB6_13
.LBB6_10:
	s_endpgm
.LBB6_11:
                                        ; implicit-def: $vgpr1
	s_cbranch_execnz .LBB6_9
.LBB6_12:
	v_mov_b32_e32 v56, v1
	s_and_b64 exec, exec, s[8:9]
	s_cbranch_execz .LBB6_10
.LBB6_13:
	s_load_dwordx8 s[8:15], s[4:5], 0x20
	v_ashrrev_i32_e32 v57, 31, v56
	v_lshlrev_b64 v[2:3], 2, v[56:57]
	v_and_b32_e32 v57, 7, v0
	s_load_dwordx2 s[6:7], s[4:5], 0x40
	s_waitcnt lgkmcnt(0)
	v_mov_b32_e32 v1, s9
	v_add_co_u32_e32 v4, vcc, s8, v2
	v_addc_co_u32_e32 v5, vcc, v1, v3, vcc
	v_add_co_u32_e32 v1, vcc, 4, v4
	global_load_dword v75, v[4:5], off
	v_addc_co_u32_e32 v4, vcc, 0, v5, vcc
	v_mov_b32_e32 v5, s11
	v_add_co_u32_e32 v2, vcc, s10, v2
	s_cmp_eq_u64 s[10:11], 0
	v_addc_co_u32_e32 v3, vcc, v5, v3, vcc
	s_cselect_b64 vcc, -1, 0
	v_cndmask_b32_e32 v3, v3, v4, vcc
	v_cndmask_b32_e32 v2, v2, v1, vcc
	global_load_dword v1, v[2:3], off
	v_mov_b32_e32 v2, s15
	s_cmp_eq_u32 s1, 1
	s_waitcnt vmcnt(1)
	v_subrev_u32_e32 v0, s2, v75
	v_add_u32_e32 v60, v0, v57
	v_ashrrev_i32_e32 v61, 31, v60
	s_waitcnt vmcnt(0)
	v_subrev_u32_e32 v74, s2, v1
	v_lshlrev_b64 v[0:1], 7, v[60:61]
	v_add_co_u32_e32 v62, vcc, s14, v0
	v_addc_co_u32_e32 v63, vcc, v2, v1, vcc
	v_cmp_lt_i32_e64 s[0:1], v60, v74
	s_cbranch_scc1 .LBB6_25
; %bb.14:
	v_pk_mov_b32 v[58:59], 0, 0
	s_mov_b64 s[8:9], 0
	v_pk_mov_b32 v[64:65], v[58:59], v[58:59] op_sel:[0,1]
	v_pk_mov_b32 v[66:67], v[58:59], v[58:59] op_sel:[0,1]
	;; [unrolled: 1-line block ×3, first 2 shown]
	s_and_saveexec_b64 s[10:11], s[0:1]
	s_cbranch_execz .LBB6_24
; %bb.15:
	v_add_u32_e32 v0, v75, v57
	v_subrev_u32_e32 v0, s2, v0
	v_add_u32_e32 v0, 8, v0
	v_max_i32_e32 v0, v0, v74
	v_not_b32_e32 v1, v75
	v_add3_u32 v0, v0, s2, v1
	v_sub_u32_e32 v0, v0, v57
	v_lshrrev_b32_e32 v1, 3, v0
	v_add_u32_e32 v1, 1, v1
	v_and_b32_e32 v1, 3, v1
	v_pk_mov_b32 v[68:69], 0, 0
	v_cmp_ne_u32_e32 vcc, 0, v1
	v_pk_mov_b32 v[66:67], v[68:69], v[68:69] op_sel:[0,1]
	v_pk_mov_b32 v[64:65], v[68:69], v[68:69] op_sel:[0,1]
	;; [unrolled: 1-line block ×3, first 2 shown]
	v_mov_b32_e32 v70, v60
	v_pk_mov_b32 v[72:73], v[62:63], v[62:63] op_sel:[0,1]
	s_and_saveexec_b64 s[14:15], vcc
	s_cbranch_execz .LBB6_19
; %bb.16:
	v_pk_mov_b32 v[58:59], 0, 0
	v_lshlrev_b32_e32 v1, 7, v1
	s_mov_b64 s[16:17], 0
	v_mov_b32_e32 v2, s13
	v_mov_b32_e32 v3, s7
	v_pk_mov_b32 v[72:73], v[62:63], v[62:63] op_sel:[0,1]
	v_mov_b32_e32 v70, v60
	v_pk_mov_b32 v[64:65], v[58:59], v[58:59] op_sel:[0,1]
	v_pk_mov_b32 v[66:67], v[58:59], v[58:59] op_sel:[0,1]
	;; [unrolled: 1-line block ×3, first 2 shown]
.LBB6_17:                               ; =>This Inner Loop Header: Depth=1
	v_ashrrev_i32_e32 v71, 31, v70
	v_lshlrev_b64 v[4:5], 2, v[70:71]
	v_add_co_u32_e32 v36, vcc, s12, v4
	v_addc_co_u32_e32 v37, vcc, v2, v5, vcc
	global_load_dword v38, v[36:37], off
	global_load_dwordx4 v[4:7], v[72:73], off offset:48
	global_load_dwordx4 v[8:11], v[72:73], off offset:32
	;; [unrolled: 1-line block ×3, first 2 shown]
	global_load_dwordx4 v[16:19], v[72:73], off
	global_load_dwordx4 v[20:23], v[72:73], off offset:112
	global_load_dwordx4 v[24:27], v[72:73], off offset:96
	;; [unrolled: 1-line block ×4, first 2 shown]
	v_add_u32_e32 v1, 0xffffff80, v1
	v_add_u32_e32 v70, 8, v70
	s_waitcnt vmcnt(8)
	v_subrev_u32_e32 v36, s2, v38
	v_lshlrev_b32_e32 v36, 2, v36
	v_ashrrev_i32_e32 v37, 31, v36
	v_lshlrev_b64 v[36:37], 3, v[36:37]
	v_add_co_u32_e32 v44, vcc, s6, v36
	v_addc_co_u32_e32 v45, vcc, v3, v37, vcc
	global_load_dwordx4 v[36:39], v[44:45], off
	global_load_dwordx4 v[40:43], v[44:45], off offset:16
	v_add_co_u32_e32 v72, vcc, 0x400, v72
	v_addc_co_u32_e32 v73, vcc, 0, v73, vcc
	v_cmp_eq_u32_e32 vcc, 0, v1
	s_or_b64 s[16:17], vcc, s[16:17]
	s_waitcnt vmcnt(1)
	v_fmac_f64_e32 v[68:69], v[16:17], v[36:37]
	v_fmac_f64_e32 v[66:67], v[8:9], v[36:37]
	;; [unrolled: 1-line block ×8, first 2 shown]
	s_waitcnt vmcnt(0)
	v_fmac_f64_e32 v[68:69], v[12:13], v[40:41]
	v_fmac_f64_e32 v[66:67], v[4:5], v[40:41]
	;; [unrolled: 1-line block ×8, first 2 shown]
	s_andn2_b64 exec, exec, s[16:17]
	s_cbranch_execnz .LBB6_17
; %bb.18:
	s_or_b64 exec, exec, s[16:17]
.LBB6_19:
	s_or_b64 exec, exec, s[14:15]
	v_cmp_lt_u32_e32 vcc, 23, v0
	s_and_saveexec_b64 s[14:15], vcc
	s_cbranch_execz .LBB6_23
; %bb.20:
	s_mov_b64 s[16:17], 0
	v_mov_b32_e32 v61, s13
	v_mov_b32_e32 v76, s7
.LBB6_21:                               ; =>This Inner Loop Header: Depth=1
	v_ashrrev_i32_e32 v71, 31, v70
	v_lshlrev_b64 v[90:91], 2, v[70:71]
	v_add_co_u32_e32 v90, vcc, s12, v90
	v_addc_co_u32_e32 v91, vcc, v61, v91, vcc
	global_load_dwordx4 v[0:3], v[72:73], off offset:48
	global_load_dwordx4 v[8:11], v[72:73], off offset:32
	global_load_dwordx4 v[4:7], v[72:73], off offset:16
	global_load_dwordx4 v[12:15], v[72:73], off
	global_load_dwordx4 v[16:19], v[72:73], off offset:112
	global_load_dwordx4 v[28:31], v[72:73], off offset:96
	;; [unrolled: 1-line block ×12, first 2 shown]
	global_load_dword v71, v[90:91], off
	global_load_dword v77, v[90:91], off offset:32
	global_load_dword v100, v[90:91], off offset:64
	;; [unrolled: 1-line block ×3, first 2 shown]
	v_add_u32_e32 v70, 32, v70
	s_waitcnt vmcnt(3)
	v_subrev_u32_e32 v71, s2, v71
	v_lshlrev_b32_e32 v90, 2, v71
	v_ashrrev_i32_e32 v91, 31, v90
	v_lshlrev_b64 v[90:91], 3, v[90:91]
	v_add_co_u32_e32 v98, vcc, s6, v90
	v_addc_co_u32_e32 v99, vcc, v76, v91, vcc
	global_load_dwordx4 v[90:93], v[98:99], off
	global_load_dwordx4 v[94:97], v[98:99], off offset:16
	s_waitcnt vmcnt(4)
	v_subrev_u32_e32 v71, s2, v77
	s_waitcnt vmcnt(2)
	v_subrev_u32_e32 v77, s2, v101
	s_waitcnt vmcnt(1)
	v_fmac_f64_e32 v[68:69], v[12:13], v[90:91]
	v_fmac_f64_e32 v[66:67], v[8:9], v[90:91]
	;; [unrolled: 1-line block ×4, first 2 shown]
	v_lshlrev_b32_e32 v90, 2, v71
	v_ashrrev_i32_e32 v91, 31, v90
	v_lshlrev_b64 v[90:91], 3, v[90:91]
	v_fmac_f64_e32 v[68:69], v[14:15], v[92:93]
	v_fmac_f64_e32 v[66:67], v[10:11], v[92:93]
	v_fmac_f64_e32 v[64:65], v[38:39], v[92:93]
	v_fmac_f64_e32 v[58:59], v[30:31], v[92:93]
	v_add_co_u32_e32 v98, vcc, s6, v90
	v_addc_co_u32_e32 v99, vcc, v76, v91, vcc
	s_waitcnt vmcnt(0)
	v_fmac_f64_e32 v[68:69], v[4:5], v[94:95]
	v_fmac_f64_e32 v[66:67], v[0:1], v[94:95]
	;; [unrolled: 1-line block ×4, first 2 shown]
	global_load_dwordx4 v[12:15], v[72:73], off offset:2096
	global_load_dwordx4 v[8:11], v[72:73], off offset:2080
	;; [unrolled: 1-line block ×5, first 2 shown]
	v_fmac_f64_e32 v[68:69], v[6:7], v[96:97]
	global_load_dwordx4 v[4:7], v[72:73], off offset:2144
	v_fmac_f64_e32 v[66:67], v[2:3], v[96:97]
	global_load_dwordx4 v[0:3], v[72:73], off offset:2128
	;; [unrolled: 2-line block ×3, first 2 shown]
	v_fmac_f64_e32 v[58:59], v[18:19], v[96:97]
	global_load_dwordx4 v[16:19], v[98:99], off
	global_load_dwordx4 v[94:97], v[98:99], off offset:16
	v_subrev_u32_e32 v71, s2, v100
	s_waitcnt vmcnt(1)
	v_fmac_f64_e32 v[58:59], v[82:83], v[16:17]
	v_lshlrev_b32_e32 v82, 2, v71
	v_ashrrev_i32_e32 v83, 31, v82
	v_fmac_f64_e32 v[58:59], v[84:85], v[18:19]
	v_lshlrev_b32_e32 v84, 2, v77
	v_lshlrev_b64 v[82:83], 3, v[82:83]
	v_fmac_f64_e32 v[68:69], v[78:79], v[16:17]
	v_fmac_f64_e32 v[66:67], v[40:41], v[16:17]
	;; [unrolled: 1-line block ×3, first 2 shown]
	v_ashrrev_i32_e32 v85, 31, v84
	v_add_co_u32_e32 v98, vcc, s6, v82
	v_fmac_f64_e32 v[68:69], v[80:81], v[18:19]
	v_fmac_f64_e32 v[66:67], v[42:43], v[18:19]
	;; [unrolled: 1-line block ×3, first 2 shown]
	v_lshlrev_b64 v[84:85], 3, v[84:85]
	v_addc_co_u32_e32 v99, vcc, v76, v83, vcc
	v_add_co_u32_e32 v102, vcc, s6, v84
	s_waitcnt vmcnt(0)
	v_fmac_f64_e32 v[68:69], v[32:33], v[94:95]
	v_fmac_f64_e32 v[66:67], v[24:25], v[94:95]
	;; [unrolled: 1-line block ×4, first 2 shown]
	global_load_dwordx4 v[78:81], v[72:73], off offset:3120
	global_load_dwordx4 v[40:43], v[72:73], off offset:3104
	;; [unrolled: 1-line block ×4, first 2 shown]
	v_addc_co_u32_e32 v103, vcc, v76, v85, vcc
	global_load_dwordx4 v[82:85], v[72:73], off offset:3184
	v_fmac_f64_e32 v[68:69], v[34:35], v[96:97]
	global_load_dwordx4 v[32:35], v[72:73], off offset:3168
	v_fmac_f64_e32 v[66:67], v[26:27], v[96:97]
	;; [unrolled: 2-line block ×4, first 2 shown]
	global_load_dwordx4 v[44:47], v[98:99], off
	global_load_dwordx4 v[94:97], v[98:99], off offset:16
	v_add_co_u32_e32 v72, vcc, 0x1000, v72
	v_addc_co_u32_e32 v73, vcc, 0, v73, vcc
	v_cmp_ge_i32_e32 vcc, v70, v74
	s_or_b64 s[16:17], vcc, s[16:17]
	s_waitcnt vmcnt(1)
	v_fmac_f64_e32 v[68:69], v[28:29], v[44:45]
	v_fmac_f64_e32 v[68:69], v[30:31], v[46:47]
	global_load_dwordx4 v[28:31], v[102:103], off
	global_load_dwordx4 v[98:101], v[102:103], off offset:16
	v_fmac_f64_e32 v[66:67], v[8:9], v[44:45]
	v_fmac_f64_e32 v[64:65], v[20:21], v[44:45]
	v_fmac_f64_e32 v[58:59], v[4:5], v[44:45]
	v_fmac_f64_e32 v[66:67], v[10:11], v[46:47]
	v_fmac_f64_e32 v[64:65], v[22:23], v[46:47]
	v_fmac_f64_e32 v[58:59], v[6:7], v[46:47]
	s_waitcnt vmcnt(2)
	v_fmac_f64_e32 v[68:69], v[36:37], v[94:95]
	v_fmac_f64_e32 v[66:67], v[12:13], v[94:95]
	v_fmac_f64_e32 v[64:65], v[0:1], v[94:95]
	v_fmac_f64_e32 v[58:59], v[90:91], v[94:95]
	v_fmac_f64_e32 v[68:69], v[38:39], v[96:97]
	v_fmac_f64_e32 v[66:67], v[14:15], v[96:97]
	v_fmac_f64_e32 v[64:65], v[2:3], v[96:97]
	v_fmac_f64_e32 v[58:59], v[92:93], v[96:97]
	s_waitcnt vmcnt(1)
	v_fmac_f64_e32 v[68:69], v[16:17], v[28:29]
	v_fmac_f64_e32 v[66:67], v[40:41], v[28:29]
	;; [unrolled: 9-line block ×3, first 2 shown]
	v_fmac_f64_e32 v[64:65], v[24:25], v[98:99]
	v_fmac_f64_e32 v[58:59], v[82:83], v[98:99]
	;; [unrolled: 1-line block ×6, first 2 shown]
	s_andn2_b64 exec, exec, s[16:17]
	s_cbranch_execnz .LBB6_21
; %bb.22:
	s_or_b64 exec, exec, s[16:17]
.LBB6_23:
	s_or_b64 exec, exec, s[14:15]
.LBB6_24:
	s_or_b64 exec, exec, s[10:11]
	s_andn2_b64 vcc, exec, s[8:9]
	s_cbranch_vccz .LBB6_26
	s_branch .LBB6_37
.LBB6_25:
                                        ; implicit-def: $vgpr58_vgpr59
                                        ; implicit-def: $vgpr64_vgpr65
                                        ; implicit-def: $vgpr66_vgpr67
                                        ; implicit-def: $vgpr68_vgpr69
.LBB6_26:
	v_pk_mov_b32 v[58:59], 0, 0
	v_pk_mov_b32 v[64:65], v[58:59], v[58:59] op_sel:[0,1]
	v_pk_mov_b32 v[66:67], v[58:59], v[58:59] op_sel:[0,1]
	;; [unrolled: 1-line block ×3, first 2 shown]
	s_and_saveexec_b64 s[8:9], s[0:1]
	s_cbranch_execz .LBB6_36
; %bb.27:
	v_add_u32_e32 v0, v75, v57
	v_subrev_u32_e32 v0, s2, v0
	v_add_u32_e32 v0, 8, v0
	v_max_i32_e32 v0, v0, v74
	v_not_b32_e32 v1, v75
	v_add3_u32 v0, v0, s2, v1
	v_sub_u32_e32 v0, v0, v57
	v_lshrrev_b32_e32 v1, 3, v0
	v_add_u32_e32 v1, 1, v1
	v_and_b32_e32 v1, 3, v1
	v_pk_mov_b32 v[68:69], 0, 0
	v_cmp_ne_u32_e32 vcc, 0, v1
	v_pk_mov_b32 v[66:67], v[68:69], v[68:69] op_sel:[0,1]
	v_pk_mov_b32 v[64:65], v[68:69], v[68:69] op_sel:[0,1]
	v_pk_mov_b32 v[58:59], v[68:69], v[68:69] op_sel:[0,1]
	s_and_saveexec_b64 s[0:1], vcc
	s_cbranch_execz .LBB6_31
; %bb.28:
	v_pk_mov_b32 v[58:59], 0, 0
	v_lshlrev_b32_e32 v1, 7, v1
	s_mov_b64 s[10:11], 0
	v_mov_b32_e32 v2, s13
	v_mov_b32_e32 v3, s7
	v_pk_mov_b32 v[64:65], v[58:59], v[58:59] op_sel:[0,1]
	v_pk_mov_b32 v[66:67], v[58:59], v[58:59] op_sel:[0,1]
	;; [unrolled: 1-line block ×3, first 2 shown]
.LBB6_29:                               ; =>This Inner Loop Header: Depth=1
	v_ashrrev_i32_e32 v61, 31, v60
	v_lshlrev_b64 v[4:5], 2, v[60:61]
	v_add_co_u32_e32 v28, vcc, s12, v4
	v_addc_co_u32_e32 v29, vcc, v2, v5, vcc
	global_load_dword v30, v[28:29], off
	global_load_dwordx4 v[4:7], v[62:63], off offset:48
	global_load_dwordx4 v[8:11], v[62:63], off offset:32
	;; [unrolled: 1-line block ×3, first 2 shown]
	global_load_dwordx4 v[16:19], v[62:63], off
	global_load_dwordx4 v[20:23], v[62:63], off offset:80
	global_load_dwordx4 v[24:27], v[62:63], off offset:64
	v_add_u32_e32 v1, 0xffffff80, v1
	v_add_u32_e32 v60, 8, v60
	s_waitcnt vmcnt(6)
	v_subrev_u32_e32 v28, s2, v30
	v_lshlrev_b32_e32 v28, 2, v28
	v_ashrrev_i32_e32 v29, 31, v28
	v_lshlrev_b64 v[28:29], 3, v[28:29]
	v_add_co_u32_e32 v44, vcc, s6, v28
	v_addc_co_u32_e32 v45, vcc, v3, v29, vcc
	global_load_dwordx4 v[28:31], v[44:45], off
	global_load_dwordx4 v[32:35], v[44:45], off offset:16
	global_load_dwordx4 v[36:39], v[62:63], off offset:96
	;; [unrolled: 1-line block ×3, first 2 shown]
	v_add_co_u32_e32 v62, vcc, 0x400, v62
	v_addc_co_u32_e32 v63, vcc, 0, v63, vcc
	v_cmp_eq_u32_e32 vcc, 0, v1
	s_or_b64 s[10:11], vcc, s[10:11]
	s_waitcnt vmcnt(3)
	v_fmac_f64_e32 v[68:69], v[16:17], v[28:29]
	v_fmac_f64_e32 v[66:67], v[18:19], v[28:29]
	;; [unrolled: 1-line block ×8, first 2 shown]
	s_waitcnt vmcnt(2)
	v_fmac_f64_e32 v[68:69], v[24:25], v[32:33]
	v_fmac_f64_e32 v[66:67], v[26:27], v[32:33]
	;; [unrolled: 1-line block ×4, first 2 shown]
	s_waitcnt vmcnt(1)
	v_fmac_f64_e32 v[68:69], v[36:37], v[34:35]
	v_fmac_f64_e32 v[66:67], v[38:39], v[34:35]
	s_waitcnt vmcnt(0)
	v_fmac_f64_e32 v[64:65], v[40:41], v[34:35]
	v_fmac_f64_e32 v[58:59], v[42:43], v[34:35]
	s_andn2_b64 exec, exec, s[10:11]
	s_cbranch_execnz .LBB6_29
; %bb.30:
	s_or_b64 exec, exec, s[10:11]
.LBB6_31:
	s_or_b64 exec, exec, s[0:1]
	v_cmp_lt_u32_e32 vcc, 23, v0
	s_and_saveexec_b64 s[0:1], vcc
	s_cbranch_execz .LBB6_35
; %bb.32:
	s_mov_b64 s[10:11], 0
	v_mov_b32_e32 v44, s13
	v_mov_b32_e32 v45, s7
.LBB6_33:                               ; =>This Inner Loop Header: Depth=1
	v_ashrrev_i32_e32 v61, 31, v60
	v_lshlrev_b64 v[50:51], 2, v[60:61]
	v_add_co_u32_e32 v50, vcc, s12, v50
	v_addc_co_u32_e32 v51, vcc, v44, v51, vcc
	global_load_dwordx4 v[0:3], v[62:63], off offset:48
	global_load_dwordx4 v[4:7], v[62:63], off offset:32
	;; [unrolled: 1-line block ×3, first 2 shown]
	global_load_dwordx4 v[12:15], v[62:63], off
	global_load_dwordx4 v[16:19], v[62:63], off offset:112
	global_load_dwordx4 v[20:23], v[62:63], off offset:96
	;; [unrolled: 1-line block ×8, first 2 shown]
	global_load_dword v61, v[50:51], off
	global_load_dword v75, v[50:51], off offset:32
	global_load_dword v80, v[50:51], off offset:64
	;; [unrolled: 1-line block ×3, first 2 shown]
	v_add_u32_e32 v60, 32, v60
	s_waitcnt vmcnt(3)
	v_subrev_u32_e32 v50, s2, v61
	v_lshlrev_b32_e32 v50, 2, v50
	v_ashrrev_i32_e32 v51, 31, v50
	v_lshlrev_b64 v[50:51], 3, v[50:51]
	v_add_co_u32_e32 v50, vcc, s6, v50
	v_addc_co_u32_e32 v51, vcc, v45, v51, vcc
	global_load_dwordx4 v[70:73], v[50:51], off
	global_load_dwordx4 v[76:79], v[50:51], off offset:16
	s_waitcnt vmcnt(4)
	v_subrev_u32_e32 v50, s2, v75
	v_lshlrev_b32_e32 v50, 2, v50
	v_ashrrev_i32_e32 v51, 31, v50
	v_lshlrev_b64 v[50:51], 3, v[50:51]
	v_add_co_u32_e32 v50, vcc, s6, v50
	v_addc_co_u32_e32 v51, vcc, v45, v51, vcc
	s_waitcnt vmcnt(1)
	v_fmac_f64_e32 v[68:69], v[12:13], v[70:71]
	v_fmac_f64_e32 v[66:67], v[14:15], v[70:71]
	;; [unrolled: 1-line block ×8, first 2 shown]
	s_waitcnt vmcnt(0)
	v_fmac_f64_e32 v[68:69], v[28:29], v[76:77]
	v_fmac_f64_e32 v[66:67], v[30:31], v[76:77]
	;; [unrolled: 1-line block ×4, first 2 shown]
	global_load_dwordx4 v[12:15], v[62:63], off offset:1136
	global_load_dwordx4 v[8:11], v[62:63], off offset:1120
	;; [unrolled: 1-line block ×7, first 2 shown]
	v_fmac_f64_e32 v[68:69], v[20:21], v[78:79]
	v_fmac_f64_e32 v[66:67], v[22:23], v[78:79]
	global_load_dwordx4 v[20:23], v[62:63], off offset:2048
	v_fmac_f64_e32 v[64:65], v[16:17], v[78:79]
	v_fmac_f64_e32 v[58:59], v[18:19], v[78:79]
	global_load_dwordx4 v[16:19], v[50:51], off
	global_load_dwordx4 v[76:79], v[50:51], off offset:16
	v_subrev_u32_e32 v50, s2, v80
	v_lshlrev_b32_e32 v50, 2, v50
	v_ashrrev_i32_e32 v51, 31, v50
	v_lshlrev_b64 v[50:51], 3, v[50:51]
	v_add_co_u32_e32 v50, vcc, s6, v50
	v_addc_co_u32_e32 v51, vcc, v45, v51, vcc
	s_waitcnt vmcnt(1)
	v_fmac_f64_e32 v[68:69], v[46:47], v[16:17]
	v_fmac_f64_e32 v[66:67], v[48:49], v[16:17]
	;; [unrolled: 1-line block ×8, first 2 shown]
	s_waitcnt vmcnt(0)
	v_fmac_f64_e32 v[68:69], v[0:1], v[76:77]
	v_fmac_f64_e32 v[66:67], v[2:3], v[76:77]
	;; [unrolled: 1-line block ×4, first 2 shown]
	global_load_dwordx4 v[46:49], v[62:63], off offset:2160
	global_load_dwordx4 v[40:43], v[62:63], off offset:2144
	;; [unrolled: 1-line block ×7, first 2 shown]
	v_fmac_f64_e32 v[68:69], v[8:9], v[78:79]
	v_fmac_f64_e32 v[66:67], v[10:11], v[78:79]
	global_load_dwordx4 v[8:11], v[62:63], off offset:3072
	v_fmac_f64_e32 v[64:65], v[12:13], v[78:79]
	v_fmac_f64_e32 v[58:59], v[14:15], v[78:79]
	global_load_dwordx4 v[12:15], v[62:63], off offset:3168
	global_load_dwordx4 v[76:79], v[50:51], off
	global_load_dwordx4 v[80:83], v[50:51], off offset:16
	v_subrev_u32_e32 v50, s2, v84
	s_waitcnt vmcnt(1)
	v_fmac_f64_e32 v[68:69], v[20:21], v[76:77]
	v_fmac_f64_e32 v[68:69], v[28:29], v[78:79]
	v_lshlrev_b32_e32 v28, 2, v50
	v_ashrrev_i32_e32 v29, 31, v28
	v_lshlrev_b64 v[28:29], 3, v[28:29]
	v_add_co_u32_e32 v50, vcc, s6, v28
	v_fmac_f64_e32 v[66:67], v[22:23], v[76:77]
	v_fmac_f64_e32 v[64:65], v[24:25], v[76:77]
	v_fmac_f64_e32 v[58:59], v[26:27], v[76:77]
	v_addc_co_u32_e32 v51, vcc, v45, v29, vcc
	global_load_dwordx4 v[20:23], v[62:63], off offset:3152
	global_load_dwordx4 v[24:27], v[62:63], off offset:3136
	v_fmac_f64_e32 v[66:67], v[30:31], v[78:79]
	v_fmac_f64_e32 v[64:65], v[70:71], v[78:79]
	;; [unrolled: 1-line block ×3, first 2 shown]
	global_load_dwordx4 v[28:31], v[50:51], off
	global_load_dwordx4 v[70:73], v[50:51], off offset:16
	global_load_dwordx4 v[76:79], v[62:63], off offset:3184
	s_waitcnt vmcnt(5)
	v_fmac_f64_e32 v[68:69], v[16:17], v[80:81]
	v_fmac_f64_e32 v[66:67], v[18:19], v[80:81]
	;; [unrolled: 1-line block ×8, first 2 shown]
	v_add_co_u32_e32 v62, vcc, 0x1000, v62
	v_addc_co_u32_e32 v63, vcc, 0, v63, vcc
	v_cmp_ge_i32_e32 vcc, v60, v74
	s_or_b64 s[10:11], vcc, s[10:11]
	s_waitcnt vmcnt(2)
	v_fmac_f64_e32 v[68:69], v[8:9], v[28:29]
	v_fmac_f64_e32 v[66:67], v[10:11], v[28:29]
	;; [unrolled: 1-line block ×8, first 2 shown]
	s_waitcnt vmcnt(1)
	v_fmac_f64_e32 v[68:69], v[24:25], v[70:71]
	v_fmac_f64_e32 v[66:67], v[26:27], v[70:71]
	;; [unrolled: 1-line block ×6, first 2 shown]
	s_waitcnt vmcnt(0)
	v_fmac_f64_e32 v[64:65], v[76:77], v[72:73]
	v_fmac_f64_e32 v[58:59], v[78:79], v[72:73]
	s_andn2_b64 exec, exec, s[10:11]
	s_cbranch_execnz .LBB6_33
; %bb.34:
	s_or_b64 exec, exec, s[10:11]
.LBB6_35:
	s_or_b64 exec, exec, s[0:1]
.LBB6_36:
	s_or_b64 exec, exec, s[8:9]
.LBB6_37:
	v_mov_b32_dpp v0, v68 row_shr:1 row_mask:0xf bank_mask:0xf
	v_mov_b32_dpp v1, v69 row_shr:1 row_mask:0xf bank_mask:0xf
	;; [unrolled: 1-line block ×8, first 2 shown]
	v_add_f64 v[0:1], v[68:69], v[0:1]
	v_add_f64 v[4:5], v[66:67], v[4:5]
	;; [unrolled: 1-line block ×4, first 2 shown]
	v_mov_b32_dpp v2, v0 row_shr:2 row_mask:0xf bank_mask:0xf
	v_mov_b32_dpp v3, v1 row_shr:2 row_mask:0xf bank_mask:0xf
	;; [unrolled: 1-line block ×8, first 2 shown]
	v_add_f64 v[0:1], v[0:1], v[2:3]
	v_add_f64 v[4:5], v[4:5], v[6:7]
	;; [unrolled: 1-line block ×4, first 2 shown]
	v_mov_b32_dpp v2, v0 row_shr:4 row_mask:0xf bank_mask:0xe
	v_mov_b32_dpp v3, v1 row_shr:4 row_mask:0xf bank_mask:0xe
	;; [unrolled: 1-line block ×8, first 2 shown]
	v_cmp_eq_u32_e32 vcc, 7, v57
	s_and_b64 exec, exec, vcc
	s_cbranch_execz .LBB6_10
; %bb.38:
	s_load_dwordx2 s[0:1], s[4:5], 0x50
	v_add_f64 v[0:1], v[0:1], v[2:3]
	v_add_f64 v[2:3], v[4:5], v[6:7]
	;; [unrolled: 1-line block ×4, first 2 shown]
	v_cmp_eq_f64_e32 vcc, 0, v[52:53]
	v_mul_f64 v[4:5], v[54:55], v[0:1]
	v_mul_f64 v[6:7], v[54:55], v[2:3]
	;; [unrolled: 1-line block ×4, first 2 shown]
	v_lshlrev_b32_e32 v8, 2, v56
	s_and_saveexec_b64 s[2:3], vcc
	s_xor_b64 s[2:3], exec, s[2:3]
	s_cbranch_execz .LBB6_40
; %bb.39:
	v_ashrrev_i32_e32 v9, 31, v8
	v_lshlrev_b64 v[8:9], 3, v[8:9]
	s_waitcnt lgkmcnt(0)
	v_mov_b32_e32 v10, s1
	v_add_co_u32_e32 v8, vcc, s0, v8
	v_addc_co_u32_e32 v9, vcc, v10, v9, vcc
	global_store_dwordx4 v[8:9], v[4:7], off
	global_store_dwordx4 v[8:9], v[0:3], off offset:16
                                        ; implicit-def: $vgpr8
                                        ; implicit-def: $vgpr52_vgpr53
                                        ; implicit-def: $vgpr4_vgpr5
                                        ; implicit-def: $vgpr0_vgpr1
.LBB6_40:
	s_andn2_saveexec_b64 s[2:3], s[2:3]
	s_cbranch_execz .LBB6_10
; %bb.41:
	v_ashrrev_i32_e32 v9, 31, v8
	v_lshlrev_b64 v[8:9], 3, v[8:9]
	s_waitcnt lgkmcnt(0)
	v_mov_b32_e32 v10, s1
	v_add_co_u32_e32 v16, vcc, s0, v8
	v_addc_co_u32_e32 v17, vcc, v10, v9, vcc
	global_load_dwordx4 v[8:11], v[16:17], off
	global_load_dwordx4 v[12:15], v[16:17], off offset:16
	s_waitcnt vmcnt(1)
	v_fmac_f64_e32 v[4:5], v[52:53], v[8:9]
	v_fmac_f64_e32 v[6:7], v[52:53], v[10:11]
	s_waitcnt vmcnt(0)
	v_fmac_f64_e32 v[0:1], v[52:53], v[12:13]
	v_fmac_f64_e32 v[2:3], v[52:53], v[14:15]
	global_store_dwordx4 v[16:17], v[4:7], off
	global_store_dwordx4 v[16:17], v[0:3], off offset:16
	s_endpgm
	.section	.rodata,"a",@progbits
	.p2align	6, 0x0
	.amdhsa_kernel _ZN9rocsparseL18bsrxmvn_4x4_kernelILj128ELj8EdiidddEEvT3_20rocsparse_direction_NS_24const_host_device_scalarIT1_EES1_PKS1_PKT2_SA_S7_PKT4_PKT5_S5_PT6_21rocsparse_index_base_b
		.amdhsa_group_segment_fixed_size 0
		.amdhsa_private_segment_fixed_size 0
		.amdhsa_kernarg_size 96
		.amdhsa_user_sgpr_count 6
		.amdhsa_user_sgpr_private_segment_buffer 1
		.amdhsa_user_sgpr_dispatch_ptr 0
		.amdhsa_user_sgpr_queue_ptr 0
		.amdhsa_user_sgpr_kernarg_segment_ptr 1
		.amdhsa_user_sgpr_dispatch_id 0
		.amdhsa_user_sgpr_flat_scratch_init 0
		.amdhsa_user_sgpr_kernarg_preload_length 0
		.amdhsa_user_sgpr_kernarg_preload_offset 0
		.amdhsa_user_sgpr_private_segment_size 0
		.amdhsa_uses_dynamic_stack 0
		.amdhsa_system_sgpr_private_segment_wavefront_offset 0
		.amdhsa_system_sgpr_workgroup_id_x 1
		.amdhsa_system_sgpr_workgroup_id_y 0
		.amdhsa_system_sgpr_workgroup_id_z 0
		.amdhsa_system_sgpr_workgroup_info 0
		.amdhsa_system_vgpr_workitem_id 0
		.amdhsa_next_free_vgpr 104
		.amdhsa_next_free_sgpr 18
		.amdhsa_accum_offset 104
		.amdhsa_reserve_vcc 1
		.amdhsa_reserve_flat_scratch 0
		.amdhsa_float_round_mode_32 0
		.amdhsa_float_round_mode_16_64 0
		.amdhsa_float_denorm_mode_32 3
		.amdhsa_float_denorm_mode_16_64 3
		.amdhsa_dx10_clamp 1
		.amdhsa_ieee_mode 1
		.amdhsa_fp16_overflow 0
		.amdhsa_tg_split 0
		.amdhsa_exception_fp_ieee_invalid_op 0
		.amdhsa_exception_fp_denorm_src 0
		.amdhsa_exception_fp_ieee_div_zero 0
		.amdhsa_exception_fp_ieee_overflow 0
		.amdhsa_exception_fp_ieee_underflow 0
		.amdhsa_exception_fp_ieee_inexact 0
		.amdhsa_exception_int_div_zero 0
	.end_amdhsa_kernel
	.section	.text._ZN9rocsparseL18bsrxmvn_4x4_kernelILj128ELj8EdiidddEEvT3_20rocsparse_direction_NS_24const_host_device_scalarIT1_EES1_PKS1_PKT2_SA_S7_PKT4_PKT5_S5_PT6_21rocsparse_index_base_b,"axG",@progbits,_ZN9rocsparseL18bsrxmvn_4x4_kernelILj128ELj8EdiidddEEvT3_20rocsparse_direction_NS_24const_host_device_scalarIT1_EES1_PKS1_PKT2_SA_S7_PKT4_PKT5_S5_PT6_21rocsparse_index_base_b,comdat
.Lfunc_end6:
	.size	_ZN9rocsparseL18bsrxmvn_4x4_kernelILj128ELj8EdiidddEEvT3_20rocsparse_direction_NS_24const_host_device_scalarIT1_EES1_PKS1_PKT2_SA_S7_PKT4_PKT5_S5_PT6_21rocsparse_index_base_b, .Lfunc_end6-_ZN9rocsparseL18bsrxmvn_4x4_kernelILj128ELj8EdiidddEEvT3_20rocsparse_direction_NS_24const_host_device_scalarIT1_EES1_PKS1_PKT2_SA_S7_PKT4_PKT5_S5_PT6_21rocsparse_index_base_b
                                        ; -- End function
	.section	.AMDGPU.csdata,"",@progbits
; Kernel info:
; codeLenInByte = 3592
; NumSgprs: 22
; NumVgprs: 104
; NumAgprs: 0
; TotalNumVgprs: 104
; ScratchSize: 0
; MemoryBound: 1
; FloatMode: 240
; IeeeMode: 1
; LDSByteSize: 0 bytes/workgroup (compile time only)
; SGPRBlocks: 2
; VGPRBlocks: 12
; NumSGPRsForWavesPerEU: 22
; NumVGPRsForWavesPerEU: 104
; AccumOffset: 104
; Occupancy: 4
; WaveLimiterHint : 1
; COMPUTE_PGM_RSRC2:SCRATCH_EN: 0
; COMPUTE_PGM_RSRC2:USER_SGPR: 6
; COMPUTE_PGM_RSRC2:TRAP_HANDLER: 0
; COMPUTE_PGM_RSRC2:TGID_X_EN: 1
; COMPUTE_PGM_RSRC2:TGID_Y_EN: 0
; COMPUTE_PGM_RSRC2:TGID_Z_EN: 0
; COMPUTE_PGM_RSRC2:TIDIG_COMP_CNT: 0
; COMPUTE_PGM_RSRC3_GFX90A:ACCUM_OFFSET: 25
; COMPUTE_PGM_RSRC3_GFX90A:TG_SPLIT: 0
	.section	.text._ZN9rocsparseL18bsrxmvn_4x4_kernelILj128ELj16EdiidddEEvT3_20rocsparse_direction_NS_24const_host_device_scalarIT1_EES1_PKS1_PKT2_SA_S7_PKT4_PKT5_S5_PT6_21rocsparse_index_base_b,"axG",@progbits,_ZN9rocsparseL18bsrxmvn_4x4_kernelILj128ELj16EdiidddEEvT3_20rocsparse_direction_NS_24const_host_device_scalarIT1_EES1_PKS1_PKT2_SA_S7_PKT4_PKT5_S5_PT6_21rocsparse_index_base_b,comdat
	.globl	_ZN9rocsparseL18bsrxmvn_4x4_kernelILj128ELj16EdiidddEEvT3_20rocsparse_direction_NS_24const_host_device_scalarIT1_EES1_PKS1_PKT2_SA_S7_PKT4_PKT5_S5_PT6_21rocsparse_index_base_b ; -- Begin function _ZN9rocsparseL18bsrxmvn_4x4_kernelILj128ELj16EdiidddEEvT3_20rocsparse_direction_NS_24const_host_device_scalarIT1_EES1_PKS1_PKT2_SA_S7_PKT4_PKT5_S5_PT6_21rocsparse_index_base_b
	.p2align	8
	.type	_ZN9rocsparseL18bsrxmvn_4x4_kernelILj128ELj16EdiidddEEvT3_20rocsparse_direction_NS_24const_host_device_scalarIT1_EES1_PKS1_PKT2_SA_S7_PKT4_PKT5_S5_PT6_21rocsparse_index_base_b,@function
_ZN9rocsparseL18bsrxmvn_4x4_kernelILj128ELj16EdiidddEEvT3_20rocsparse_direction_NS_24const_host_device_scalarIT1_EES1_PKS1_PKT2_SA_S7_PKT4_PKT5_S5_PT6_21rocsparse_index_base_b: ; @_ZN9rocsparseL18bsrxmvn_4x4_kernelILj128ELj16EdiidddEEvT3_20rocsparse_direction_NS_24const_host_device_scalarIT1_EES1_PKS1_PKT2_SA_S7_PKT4_PKT5_S5_PT6_21rocsparse_index_base_b
; %bb.0:
	s_load_dwordx2 s[2:3], s[4:5], 0x58
	s_load_dwordx2 s[10:11], s[4:5], 0x8
	;; [unrolled: 1-line block ×3, first 2 shown]
	s_waitcnt lgkmcnt(0)
	s_bitcmp1_b32 s3, 0
	s_cselect_b64 s[12:13], -1, 0
	s_xor_b64 s[8:9], s[12:13], -1
	s_and_b64 vcc, exec, s[12:13]
	v_pk_mov_b32 v[50:51], s[10:11], s[10:11] op_sel:[0,1]
	s_cbranch_vccnz .LBB7_2
; %bb.1:
	v_pk_mov_b32 v[2:3], s[10:11], s[10:11] op_sel:[0,1]
	flat_load_dwordx2 v[50:51], v[2:3]
.LBB7_2:
	s_andn2_b64 vcc, exec, s[8:9]
	v_pk_mov_b32 v[48:49], s[0:1], s[0:1] op_sel:[0,1]
	s_cbranch_vccnz .LBB7_4
; %bb.3:
	v_pk_mov_b32 v[2:3], s[0:1], s[0:1] op_sel:[0,1]
	flat_load_dwordx2 v[48:49], v[2:3]
.LBB7_4:
	s_waitcnt vmcnt(0) lgkmcnt(0)
	v_cmp_neq_f64_e32 vcc, 0, v[50:51]
	v_cmp_neq_f64_e64 s[0:1], 1.0, v[48:49]
	s_mov_b64 s[8:9], 0
	s_or_b64 s[0:1], vcc, s[0:1]
	s_and_saveexec_b64 s[10:11], s[0:1]
	s_cbranch_execz .LBB7_10
; %bb.5:
	s_load_dwordx2 s[10:11], s[4:5], 0x18
	s_load_dwordx2 s[0:1], s[4:5], 0x0
	v_lshrrev_b32_e32 v1, 4, v0
	v_lshl_or_b32 v52, s6, 3, v1
	s_mov_b64 s[6:7], 0
	s_waitcnt lgkmcnt(0)
	s_cmp_lg_u64 s[10:11], 0
	s_cbranch_scc0 .LBB7_11
; %bb.6:
	s_load_dword s3, s[4:5], 0x10
                                        ; implicit-def: $vgpr1
	s_waitcnt lgkmcnt(0)
	v_cmp_gt_i32_e32 vcc, s3, v52
	s_and_saveexec_b64 s[8:9], vcc
	s_xor_b64 s[8:9], exec, s[8:9]
	s_cbranch_execz .LBB7_8
; %bb.7:
	v_ashrrev_i32_e32 v53, 31, v52
	v_lshlrev_b64 v[2:3], 2, v[52:53]
	v_mov_b32_e32 v1, s11
	v_add_co_u32_e32 v2, vcc, s10, v2
	v_addc_co_u32_e32 v3, vcc, v1, v3, vcc
	global_load_dword v1, v[2:3], off
	s_mov_b64 s[6:7], exec
	s_waitcnt vmcnt(0)
	v_subrev_u32_e32 v1, s2, v1
.LBB7_8:
	s_or_b64 exec, exec, s[8:9]
	s_mov_b64 s[8:9], s[6:7]
	s_branch .LBB7_12
.LBB7_9:
	v_cmp_gt_i32_e32 vcc, s0, v52
	s_andn2_b64 s[6:7], s[8:9], exec
	s_and_b64 s[8:9], vcc, exec
	s_or_b64 s[8:9], s[6:7], s[8:9]
	s_and_b64 exec, exec, s[8:9]
	s_cbranch_execnz .LBB7_13
.LBB7_10:
	s_endpgm
.LBB7_11:
                                        ; implicit-def: $vgpr1
	s_cbranch_execnz .LBB7_9
.LBB7_12:
	v_mov_b32_e32 v52, v1
	s_and_b64 exec, exec, s[8:9]
	s_cbranch_execz .LBB7_10
.LBB7_13:
	s_load_dwordx8 s[8:15], s[4:5], 0x20
	v_ashrrev_i32_e32 v53, 31, v52
	v_lshlrev_b64 v[2:3], 2, v[52:53]
	v_and_b32_e32 v53, 15, v0
	s_load_dwordx2 s[6:7], s[4:5], 0x40
	s_waitcnt lgkmcnt(0)
	v_mov_b32_e32 v1, s9
	v_add_co_u32_e32 v4, vcc, s8, v2
	v_addc_co_u32_e32 v5, vcc, v1, v3, vcc
	v_add_co_u32_e32 v1, vcc, 4, v4
	global_load_dword v71, v[4:5], off
	v_addc_co_u32_e32 v4, vcc, 0, v5, vcc
	v_mov_b32_e32 v5, s11
	v_add_co_u32_e32 v2, vcc, s10, v2
	s_cmp_eq_u64 s[10:11], 0
	v_addc_co_u32_e32 v3, vcc, v5, v3, vcc
	s_cselect_b64 vcc, -1, 0
	v_cndmask_b32_e32 v3, v3, v4, vcc
	v_cndmask_b32_e32 v2, v2, v1, vcc
	global_load_dword v1, v[2:3], off
	v_mov_b32_e32 v2, s15
	s_cmp_eq_u32 s1, 1
	s_waitcnt vmcnt(1)
	v_subrev_u32_e32 v0, s2, v71
	v_add_u32_e32 v56, v0, v53
	v_ashrrev_i32_e32 v57, 31, v56
	s_waitcnt vmcnt(0)
	v_subrev_u32_e32 v70, s2, v1
	v_lshlrev_b64 v[0:1], 7, v[56:57]
	v_add_co_u32_e32 v58, vcc, s14, v0
	v_addc_co_u32_e32 v59, vcc, v2, v1, vcc
	v_cmp_lt_i32_e64 s[0:1], v56, v70
	s_cbranch_scc1 .LBB7_25
; %bb.14:
	v_pk_mov_b32 v[54:55], 0, 0
	s_mov_b64 s[8:9], 0
	v_pk_mov_b32 v[60:61], v[54:55], v[54:55] op_sel:[0,1]
	v_pk_mov_b32 v[62:63], v[54:55], v[54:55] op_sel:[0,1]
	;; [unrolled: 1-line block ×3, first 2 shown]
	s_and_saveexec_b64 s[10:11], s[0:1]
	s_cbranch_execz .LBB7_24
; %bb.15:
	v_add_u32_e32 v0, v71, v53
	v_subrev_u32_e32 v0, s2, v0
	v_add_u32_e32 v0, 16, v0
	v_max_i32_e32 v0, v0, v70
	v_not_b32_e32 v1, v71
	v_add3_u32 v0, v0, s2, v1
	v_sub_u32_e32 v0, v0, v53
	v_lshrrev_b32_e32 v1, 4, v0
	v_add_u32_e32 v1, 1, v1
	v_and_b32_e32 v1, 3, v1
	v_pk_mov_b32 v[64:65], 0, 0
	v_cmp_ne_u32_e32 vcc, 0, v1
	v_pk_mov_b32 v[62:63], v[64:65], v[64:65] op_sel:[0,1]
	v_pk_mov_b32 v[60:61], v[64:65], v[64:65] op_sel:[0,1]
	;; [unrolled: 1-line block ×3, first 2 shown]
	v_mov_b32_e32 v66, v56
	v_pk_mov_b32 v[68:69], v[58:59], v[58:59] op_sel:[0,1]
	s_and_saveexec_b64 s[14:15], vcc
	s_cbranch_execz .LBB7_19
; %bb.16:
	v_pk_mov_b32 v[54:55], 0, 0
	v_lshlrev_b32_e32 v1, 7, v1
	s_mov_b64 s[16:17], 0
	v_mov_b32_e32 v2, s13
	v_mov_b32_e32 v3, s7
	v_pk_mov_b32 v[68:69], v[58:59], v[58:59] op_sel:[0,1]
	v_mov_b32_e32 v66, v56
	v_pk_mov_b32 v[60:61], v[54:55], v[54:55] op_sel:[0,1]
	v_pk_mov_b32 v[62:63], v[54:55], v[54:55] op_sel:[0,1]
	v_pk_mov_b32 v[64:65], v[54:55], v[54:55] op_sel:[0,1]
.LBB7_17:                               ; =>This Inner Loop Header: Depth=1
	v_ashrrev_i32_e32 v67, 31, v66
	v_lshlrev_b64 v[4:5], 2, v[66:67]
	v_add_co_u32_e32 v36, vcc, s12, v4
	v_addc_co_u32_e32 v37, vcc, v2, v5, vcc
	global_load_dword v38, v[36:37], off
	global_load_dwordx4 v[4:7], v[68:69], off offset:48
	global_load_dwordx4 v[8:11], v[68:69], off offset:32
	;; [unrolled: 1-line block ×3, first 2 shown]
	global_load_dwordx4 v[16:19], v[68:69], off
	global_load_dwordx4 v[20:23], v[68:69], off offset:112
	global_load_dwordx4 v[24:27], v[68:69], off offset:96
	;; [unrolled: 1-line block ×4, first 2 shown]
	v_add_u32_e32 v1, 0xffffff80, v1
	v_add_u32_e32 v66, 16, v66
	s_waitcnt vmcnt(8)
	v_subrev_u32_e32 v36, s2, v38
	v_lshlrev_b32_e32 v36, 2, v36
	v_ashrrev_i32_e32 v37, 31, v36
	v_lshlrev_b64 v[36:37], 3, v[36:37]
	v_add_co_u32_e32 v44, vcc, s6, v36
	v_addc_co_u32_e32 v45, vcc, v3, v37, vcc
	global_load_dwordx4 v[36:39], v[44:45], off
	global_load_dwordx4 v[40:43], v[44:45], off offset:16
	v_add_co_u32_e32 v68, vcc, 0x800, v68
	v_addc_co_u32_e32 v69, vcc, 0, v69, vcc
	v_cmp_eq_u32_e32 vcc, 0, v1
	s_or_b64 s[16:17], vcc, s[16:17]
	s_waitcnt vmcnt(1)
	v_fmac_f64_e32 v[64:65], v[16:17], v[36:37]
	v_fmac_f64_e32 v[62:63], v[8:9], v[36:37]
	;; [unrolled: 1-line block ×8, first 2 shown]
	s_waitcnt vmcnt(0)
	v_fmac_f64_e32 v[64:65], v[12:13], v[40:41]
	v_fmac_f64_e32 v[62:63], v[4:5], v[40:41]
	;; [unrolled: 1-line block ×8, first 2 shown]
	s_andn2_b64 exec, exec, s[16:17]
	s_cbranch_execnz .LBB7_17
; %bb.18:
	s_or_b64 exec, exec, s[16:17]
.LBB7_19:
	s_or_b64 exec, exec, s[14:15]
	v_cmp_lt_u32_e32 vcc, 47, v0
	s_and_saveexec_b64 s[14:15], vcc
	s_cbranch_execz .LBB7_23
; %bb.20:
	s_mov_b64 s[16:17], 0
	v_mov_b32_e32 v57, s13
	v_mov_b32_e32 v72, s7
	s_movk_i32 s3, 0x1000
.LBB7_21:                               ; =>This Inner Loop Header: Depth=1
	v_ashrrev_i32_e32 v67, 31, v66
	v_add_co_u32_e32 v98, vcc, s3, v68
	v_addc_co_u32_e32 v99, vcc, 0, v69, vcc
	v_lshlrev_b64 v[90:91], 2, v[66:67]
	v_add_co_u32_e32 v90, vcc, s12, v90
	v_addc_co_u32_e32 v91, vcc, v57, v91, vcc
	global_load_dwordx4 v[0:3], v[68:69], off offset:48
	global_load_dwordx4 v[8:11], v[68:69], off offset:32
	;; [unrolled: 1-line block ×3, first 2 shown]
	global_load_dwordx4 v[12:15], v[68:69], off
	global_load_dwordx4 v[16:19], v[68:69], off offset:112
	global_load_dwordx4 v[24:27], v[68:69], off offset:96
	;; [unrolled: 1-line block ×12, first 2 shown]
	global_load_dword v67, v[90:91], off
	global_load_dword v73, v[90:91], off offset:64
	global_load_dword v102, v[90:91], off offset:128
	global_load_dword v103, v[90:91], off offset:192
	v_add_u32_e32 v66, 64, v66
	s_waitcnt vmcnt(3)
	v_subrev_u32_e32 v67, s2, v67
	v_lshlrev_b32_e32 v90, 2, v67
	v_ashrrev_i32_e32 v91, 31, v90
	v_lshlrev_b64 v[90:91], 3, v[90:91]
	v_add_co_u32_e32 v100, vcc, s6, v90
	v_addc_co_u32_e32 v101, vcc, v72, v91, vcc
	global_load_dwordx4 v[90:93], v[100:101], off
	global_load_dwordx4 v[94:97], v[100:101], off offset:16
	s_waitcnt vmcnt(4)
	v_subrev_u32_e32 v67, s2, v73
	s_waitcnt vmcnt(2)
	v_subrev_u32_e32 v73, s2, v103
	s_waitcnt vmcnt(1)
	v_fmac_f64_e32 v[54:55], v[24:25], v[90:91]
	v_fmac_f64_e32 v[54:55], v[26:27], v[92:93]
	s_waitcnt vmcnt(0)
	v_fmac_f64_e32 v[54:55], v[16:17], v[94:95]
	v_lshlrev_b32_e32 v16, 2, v67
	v_ashrrev_i32_e32 v17, 31, v16
	v_fmac_f64_e32 v[64:65], v[12:13], v[90:91]
	v_fmac_f64_e32 v[62:63], v[8:9], v[90:91]
	;; [unrolled: 1-line block ×3, first 2 shown]
	v_lshlrev_b64 v[16:17], 3, v[16:17]
	v_fmac_f64_e32 v[64:65], v[14:15], v[92:93]
	v_fmac_f64_e32 v[62:63], v[10:11], v[92:93]
	v_fmac_f64_e32 v[60:61], v[34:35], v[92:93]
	v_add_co_u32_e32 v100, vcc, s6, v16
	v_fmac_f64_e32 v[64:65], v[4:5], v[94:95]
	v_fmac_f64_e32 v[62:63], v[0:1], v[94:95]
	;; [unrolled: 1-line block ×3, first 2 shown]
	v_addc_co_u32_e32 v101, vcc, v72, v17, vcc
	global_load_dwordx4 v[12:15], v[98:99], off offset:48
	global_load_dwordx4 v[8:11], v[98:99], off offset:32
	global_load_dwordx4 v[32:35], v[98:99], off
	global_load_dwordx4 v[24:27], v[98:99], off offset:16
	global_load_dwordx4 v[90:93], v[98:99], off offset:112
	v_fmac_f64_e32 v[64:65], v[6:7], v[96:97]
	global_load_dwordx4 v[4:7], v[98:99], off offset:96
	v_fmac_f64_e32 v[62:63], v[2:3], v[96:97]
	;; [unrolled: 2-line block ×4, first 2 shown]
	global_load_dwordx4 v[16:19], v[100:101], off
	global_load_dwordx4 v[94:97], v[100:101], off offset:16
	v_subrev_u32_e32 v67, s2, v102
	v_lshlrev_b32_e32 v100, 2, v67
	v_ashrrev_i32_e32 v101, 31, v100
	s_waitcnt vmcnt(1)
	v_fmac_f64_e32 v[60:61], v[86:87], v[16:17]
	v_fmac_f64_e32 v[60:61], v[88:89], v[18:19]
	s_waitcnt vmcnt(0)
	v_fmac_f64_e32 v[60:61], v[82:83], v[94:95]
	v_fmac_f64_e32 v[60:61], v[84:85], v[96:97]
	v_lshlrev_b32_e32 v82, 2, v73
	v_lshlrev_b64 v[84:85], 3, v[100:101]
	v_fmac_f64_e32 v[64:65], v[74:75], v[16:17]
	v_fmac_f64_e32 v[62:63], v[40:41], v[16:17]
	;; [unrolled: 1-line block ×3, first 2 shown]
	v_ashrrev_i32_e32 v83, 31, v82
	v_add_co_u32_e32 v100, vcc, s6, v84
	v_fmac_f64_e32 v[64:65], v[76:77], v[18:19]
	v_fmac_f64_e32 v[62:63], v[42:43], v[18:19]
	v_fmac_f64_e32 v[54:55], v[80:81], v[18:19]
	v_lshlrev_b64 v[82:83], 3, v[82:83]
	v_addc_co_u32_e32 v101, vcc, v72, v85, vcc
	v_fmac_f64_e32 v[64:65], v[36:37], v[94:95]
	v_fmac_f64_e32 v[62:63], v[28:29], v[94:95]
	v_add_co_u32_e32 v102, vcc, s6, v82
	v_fmac_f64_e32 v[54:55], v[44:45], v[94:95]
	global_load_dwordx4 v[74:77], v[98:99], off offset:2096
	global_load_dwordx4 v[40:43], v[98:99], off offset:2080
	;; [unrolled: 1-line block ×5, first 2 shown]
	v_fmac_f64_e32 v[64:65], v[38:39], v[96:97]
	global_load_dwordx4 v[36:39], v[98:99], off offset:2144
	v_fmac_f64_e32 v[62:63], v[30:31], v[96:97]
	global_load_dwordx4 v[28:31], v[98:99], off offset:2128
	v_addc_co_u32_e32 v103, vcc, v72, v83, vcc
	global_load_dwordx4 v[82:85], v[98:99], off offset:2112
	v_fmac_f64_e32 v[54:55], v[46:47], v[96:97]
	global_load_dwordx4 v[44:47], v[100:101], off
	global_load_dwordx4 v[94:97], v[100:101], off offset:16
	v_add_co_u32_e32 v68, vcc, 0x2000, v68
	v_addc_co_u32_e32 v69, vcc, 0, v69, vcc
	v_cmp_ge_i32_e32 vcc, v66, v70
	s_or_b64 s[16:17], vcc, s[16:17]
	s_waitcnt vmcnt(1)
	v_fmac_f64_e32 v[64:65], v[32:33], v[44:45]
	v_fmac_f64_e32 v[64:65], v[34:35], v[46:47]
	global_load_dwordx4 v[32:35], v[102:103], off
	global_load_dwordx4 v[98:101], v[102:103], off offset:16
	v_fmac_f64_e32 v[62:63], v[8:9], v[44:45]
	v_fmac_f64_e32 v[60:61], v[20:21], v[44:45]
	v_fmac_f64_e32 v[54:55], v[4:5], v[44:45]
	v_fmac_f64_e32 v[62:63], v[10:11], v[46:47]
	v_fmac_f64_e32 v[60:61], v[22:23], v[46:47]
	v_fmac_f64_e32 v[54:55], v[6:7], v[46:47]
	s_waitcnt vmcnt(2)
	v_fmac_f64_e32 v[64:65], v[24:25], v[94:95]
	v_fmac_f64_e32 v[62:63], v[12:13], v[94:95]
	v_fmac_f64_e32 v[60:61], v[0:1], v[94:95]
	v_fmac_f64_e32 v[54:55], v[90:91], v[94:95]
	v_fmac_f64_e32 v[64:65], v[26:27], v[96:97]
	v_fmac_f64_e32 v[62:63], v[14:15], v[96:97]
	v_fmac_f64_e32 v[60:61], v[2:3], v[96:97]
	v_fmac_f64_e32 v[54:55], v[92:93], v[96:97]
	s_waitcnt vmcnt(1)
	v_fmac_f64_e32 v[64:65], v[16:17], v[32:33]
	v_fmac_f64_e32 v[62:63], v[40:41], v[32:33]
	;; [unrolled: 9-line block ×3, first 2 shown]
	v_fmac_f64_e32 v[60:61], v[28:29], v[98:99]
	v_fmac_f64_e32 v[54:55], v[78:79], v[98:99]
	;; [unrolled: 1-line block ×6, first 2 shown]
	s_andn2_b64 exec, exec, s[16:17]
	s_cbranch_execnz .LBB7_21
; %bb.22:
	s_or_b64 exec, exec, s[16:17]
.LBB7_23:
	s_or_b64 exec, exec, s[14:15]
.LBB7_24:
	s_or_b64 exec, exec, s[10:11]
	s_andn2_b64 vcc, exec, s[8:9]
	s_cbranch_vccz .LBB7_26
	s_branch .LBB7_37
.LBB7_25:
                                        ; implicit-def: $vgpr54_vgpr55
                                        ; implicit-def: $vgpr60_vgpr61
                                        ; implicit-def: $vgpr62_vgpr63
                                        ; implicit-def: $vgpr64_vgpr65
.LBB7_26:
	v_pk_mov_b32 v[54:55], 0, 0
	v_pk_mov_b32 v[60:61], v[54:55], v[54:55] op_sel:[0,1]
	v_pk_mov_b32 v[62:63], v[54:55], v[54:55] op_sel:[0,1]
	;; [unrolled: 1-line block ×3, first 2 shown]
	s_and_saveexec_b64 s[8:9], s[0:1]
	s_cbranch_execz .LBB7_36
; %bb.27:
	v_add_u32_e32 v0, v71, v53
	v_subrev_u32_e32 v0, s2, v0
	v_add_u32_e32 v0, 16, v0
	v_max_i32_e32 v0, v0, v70
	v_not_b32_e32 v1, v71
	v_add3_u32 v0, v0, s2, v1
	v_sub_u32_e32 v0, v0, v53
	v_lshrrev_b32_e32 v1, 4, v0
	v_add_u32_e32 v1, 1, v1
	v_and_b32_e32 v1, 3, v1
	v_pk_mov_b32 v[64:65], 0, 0
	v_cmp_ne_u32_e32 vcc, 0, v1
	v_pk_mov_b32 v[62:63], v[64:65], v[64:65] op_sel:[0,1]
	v_pk_mov_b32 v[60:61], v[64:65], v[64:65] op_sel:[0,1]
	;; [unrolled: 1-line block ×3, first 2 shown]
	s_and_saveexec_b64 s[0:1], vcc
	s_cbranch_execz .LBB7_31
; %bb.28:
	v_pk_mov_b32 v[54:55], 0, 0
	v_lshlrev_b32_e32 v1, 7, v1
	s_mov_b64 s[10:11], 0
	v_mov_b32_e32 v2, s13
	v_mov_b32_e32 v3, s7
	v_pk_mov_b32 v[60:61], v[54:55], v[54:55] op_sel:[0,1]
	v_pk_mov_b32 v[62:63], v[54:55], v[54:55] op_sel:[0,1]
	;; [unrolled: 1-line block ×3, first 2 shown]
.LBB7_29:                               ; =>This Inner Loop Header: Depth=1
	v_ashrrev_i32_e32 v57, 31, v56
	v_lshlrev_b64 v[4:5], 2, v[56:57]
	v_add_co_u32_e32 v28, vcc, s12, v4
	v_addc_co_u32_e32 v29, vcc, v2, v5, vcc
	global_load_dword v30, v[28:29], off
	global_load_dwordx4 v[4:7], v[58:59], off offset:48
	global_load_dwordx4 v[8:11], v[58:59], off offset:32
	;; [unrolled: 1-line block ×3, first 2 shown]
	global_load_dwordx4 v[16:19], v[58:59], off
	global_load_dwordx4 v[20:23], v[58:59], off offset:80
	global_load_dwordx4 v[24:27], v[58:59], off offset:64
	v_add_u32_e32 v1, 0xffffff80, v1
	v_add_u32_e32 v56, 16, v56
	s_waitcnt vmcnt(6)
	v_subrev_u32_e32 v28, s2, v30
	v_lshlrev_b32_e32 v28, 2, v28
	v_ashrrev_i32_e32 v29, 31, v28
	v_lshlrev_b64 v[28:29], 3, v[28:29]
	v_add_co_u32_e32 v44, vcc, s6, v28
	v_addc_co_u32_e32 v45, vcc, v3, v29, vcc
	global_load_dwordx4 v[28:31], v[44:45], off
	global_load_dwordx4 v[32:35], v[44:45], off offset:16
	global_load_dwordx4 v[36:39], v[58:59], off offset:96
	;; [unrolled: 1-line block ×3, first 2 shown]
	v_add_co_u32_e32 v58, vcc, 0x800, v58
	v_addc_co_u32_e32 v59, vcc, 0, v59, vcc
	v_cmp_eq_u32_e32 vcc, 0, v1
	s_or_b64 s[10:11], vcc, s[10:11]
	s_waitcnt vmcnt(3)
	v_fmac_f64_e32 v[64:65], v[16:17], v[28:29]
	v_fmac_f64_e32 v[62:63], v[18:19], v[28:29]
	v_fmac_f64_e32 v[60:61], v[12:13], v[28:29]
	v_fmac_f64_e32 v[54:55], v[14:15], v[28:29]
	v_fmac_f64_e32 v[64:65], v[8:9], v[30:31]
	v_fmac_f64_e32 v[62:63], v[10:11], v[30:31]
	v_fmac_f64_e32 v[60:61], v[4:5], v[30:31]
	v_fmac_f64_e32 v[54:55], v[6:7], v[30:31]
	s_waitcnt vmcnt(2)
	v_fmac_f64_e32 v[64:65], v[24:25], v[32:33]
	v_fmac_f64_e32 v[62:63], v[26:27], v[32:33]
	;; [unrolled: 1-line block ×4, first 2 shown]
	s_waitcnt vmcnt(1)
	v_fmac_f64_e32 v[64:65], v[36:37], v[34:35]
	v_fmac_f64_e32 v[62:63], v[38:39], v[34:35]
	s_waitcnt vmcnt(0)
	v_fmac_f64_e32 v[60:61], v[40:41], v[34:35]
	v_fmac_f64_e32 v[54:55], v[42:43], v[34:35]
	s_andn2_b64 exec, exec, s[10:11]
	s_cbranch_execnz .LBB7_29
; %bb.30:
	s_or_b64 exec, exec, s[10:11]
.LBB7_31:
	s_or_b64 exec, exec, s[0:1]
	v_cmp_lt_u32_e32 vcc, 47, v0
	s_and_saveexec_b64 s[0:1], vcc
	s_cbranch_execz .LBB7_35
; %bb.32:
	s_mov_b64 s[10:11], 0
	v_mov_b32_e32 v44, s13
	v_mov_b32_e32 v45, s7
	s_movk_i32 s3, 0x1000
.LBB7_33:                               ; =>This Inner Loop Header: Depth=1
	v_ashrrev_i32_e32 v57, 31, v56
	v_lshlrev_b64 v[46:47], 2, v[56:57]
	v_add_co_u32_e32 v46, vcc, s12, v46
	v_addc_co_u32_e32 v47, vcc, v44, v47, vcc
	global_load_dwordx4 v[0:3], v[58:59], off offset:48
	global_load_dwordx4 v[4:7], v[58:59], off offset:32
	;; [unrolled: 1-line block ×3, first 2 shown]
	global_load_dwordx4 v[12:15], v[58:59], off
	global_load_dwordx4 v[16:19], v[58:59], off offset:112
	global_load_dwordx4 v[20:23], v[58:59], off offset:96
	;; [unrolled: 1-line block ×8, first 2 shown]
	global_load_dword v57, v[46:47], off
	global_load_dword v71, v[46:47], off offset:64
	global_load_dword v82, v[46:47], off offset:128
	;; [unrolled: 1-line block ×3, first 2 shown]
	v_add_u32_e32 v56, 64, v56
	s_waitcnt vmcnt(3)
	v_subrev_u32_e32 v46, s2, v57
	v_lshlrev_b32_e32 v46, 2, v46
	v_ashrrev_i32_e32 v47, 31, v46
	v_lshlrev_b64 v[46:47], 3, v[46:47]
	v_add_co_u32_e32 v46, vcc, s6, v46
	v_addc_co_u32_e32 v47, vcc, v45, v47, vcc
	global_load_dwordx4 v[72:75], v[46:47], off
	global_load_dwordx4 v[76:79], v[46:47], off offset:16
	s_waitcnt vmcnt(4)
	v_subrev_u32_e32 v57, s2, v71
	v_add_co_u32_e32 v46, vcc, s3, v58
	v_addc_co_u32_e32 v47, vcc, 0, v59, vcc
	s_waitcnt vmcnt(2)
	v_subrev_u32_e32 v71, s2, v83
	s_waitcnt vmcnt(1)
	v_fmac_f64_e32 v[60:61], v[8:9], v[72:73]
	v_fmac_f64_e32 v[60:61], v[0:1], v[74:75]
	s_waitcnt vmcnt(0)
	v_fmac_f64_e32 v[60:61], v[28:29], v[76:77]
	v_fmac_f64_e32 v[60:61], v[16:17], v[78:79]
	v_lshlrev_b32_e32 v16, 2, v57
	v_ashrrev_i32_e32 v17, 31, v16
	v_fmac_f64_e32 v[64:65], v[12:13], v[72:73]
	v_fmac_f64_e32 v[62:63], v[14:15], v[72:73]
	;; [unrolled: 1-line block ×3, first 2 shown]
	v_lshlrev_b64 v[16:17], 3, v[16:17]
	v_fmac_f64_e32 v[64:65], v[4:5], v[74:75]
	v_fmac_f64_e32 v[62:63], v[6:7], v[74:75]
	;; [unrolled: 1-line block ×3, first 2 shown]
	v_add_co_u32_e32 v80, vcc, s6, v16
	v_fmac_f64_e32 v[64:65], v[36:37], v[76:77]
	v_fmac_f64_e32 v[62:63], v[38:39], v[76:77]
	;; [unrolled: 1-line block ×3, first 2 shown]
	v_addc_co_u32_e32 v81, vcc, v45, v17, vcc
	global_load_dwordx4 v[12:15], v[58:59], off offset:2160
	global_load_dwordx4 v[8:11], v[58:59], off offset:2144
	;; [unrolled: 1-line block ×6, first 2 shown]
	global_load_dwordx4 v[28:31], v[46:47], off
	v_fmac_f64_e32 v[64:65], v[20:21], v[78:79]
	v_fmac_f64_e32 v[62:63], v[22:23], v[78:79]
	global_load_dwordx4 v[20:23], v[46:47], off offset:16
	v_fmac_f64_e32 v[54:55], v[18:19], v[78:79]
	global_load_dwordx4 v[16:19], v[80:81], off
	global_load_dwordx4 v[76:79], v[80:81], off offset:16
	v_subrev_u32_e32 v57, s2, v82
	s_waitcnt vmcnt(1)
	v_fmac_f64_e32 v[64:65], v[66:67], v[16:17]
	v_fmac_f64_e32 v[62:63], v[68:69], v[16:17]
	;; [unrolled: 1-line block ×8, first 2 shown]
	s_waitcnt vmcnt(0)
	v_fmac_f64_e32 v[64:65], v[0:1], v[76:77]
	v_fmac_f64_e32 v[62:63], v[2:3], v[76:77]
	;; [unrolled: 1-line block ×4, first 2 shown]
	v_lshlrev_b32_e32 v76, 2, v57
	v_ashrrev_i32_e32 v77, 31, v76
	v_fmac_f64_e32 v[60:61], v[12:13], v[78:79]
	v_fmac_f64_e32 v[54:55], v[14:15], v[78:79]
	v_lshlrev_b32_e32 v12, 2, v71
	v_lshlrev_b64 v[14:15], 3, v[76:77]
	v_ashrrev_i32_e32 v13, 31, v12
	v_add_co_u32_e32 v80, vcc, s6, v14
	v_lshlrev_b64 v[12:13], 3, v[12:13]
	v_addc_co_u32_e32 v81, vcc, v45, v15, vcc
	v_add_co_u32_e32 v84, vcc, s6, v12
	global_load_dwordx4 v[66:69], v[46:47], off offset:112
	global_load_dwordx4 v[40:43], v[46:47], off offset:96
	;; [unrolled: 1-line block ×7, first 2 shown]
	v_fmac_f64_e32 v[64:65], v[8:9], v[78:79]
	v_fmac_f64_e32 v[62:63], v[10:11], v[78:79]
	global_load_dwordx4 v[8:11], v[46:47], off offset:2048
	v_addc_co_u32_e32 v85, vcc, v45, v13, vcc
	global_load_dwordx4 v[12:15], v[80:81], off
	global_load_dwordx4 v[76:79], v[80:81], off offset:16
	v_add_co_u32_e32 v58, vcc, 0x2000, v58
	v_addc_co_u32_e32 v59, vcc, 0, v59, vcc
	v_cmp_ge_i32_e32 vcc, v56, v70
	s_or_b64 s[10:11], vcc, s[10:11]
	s_waitcnt vmcnt(1)
	v_fmac_f64_e32 v[64:65], v[28:29], v[12:13]
	v_fmac_f64_e32 v[62:63], v[30:31], v[12:13]
	;; [unrolled: 1-line block ×4, first 2 shown]
	global_load_dwordx4 v[28:31], v[46:47], off offset:2128
	global_load_dwordx4 v[20:23], v[46:47], off offset:2112
	v_fmac_f64_e32 v[64:65], v[36:37], v[14:15]
	v_fmac_f64_e32 v[62:63], v[38:39], v[14:15]
	global_load_dwordx4 v[36:39], v[46:47], off offset:2144
	v_fmac_f64_e32 v[60:61], v[72:73], v[14:15]
	v_fmac_f64_e32 v[54:55], v[74:75], v[14:15]
	global_load_dwordx4 v[12:15], v[84:85], off
	global_load_dwordx4 v[72:75], v[84:85], off offset:16
	global_load_dwordx4 v[80:83], v[46:47], off offset:2160
	s_waitcnt vmcnt(6)
	v_fmac_f64_e32 v[64:65], v[16:17], v[76:77]
	v_fmac_f64_e32 v[62:63], v[18:19], v[76:77]
	v_fmac_f64_e32 v[60:61], v[32:33], v[76:77]
	v_fmac_f64_e32 v[54:55], v[34:35], v[76:77]
	v_fmac_f64_e32 v[64:65], v[40:41], v[78:79]
	v_fmac_f64_e32 v[62:63], v[42:43], v[78:79]
	v_fmac_f64_e32 v[60:61], v[66:67], v[78:79]
	v_fmac_f64_e32 v[54:55], v[68:69], v[78:79]
	s_waitcnt vmcnt(2)
	v_fmac_f64_e32 v[64:65], v[8:9], v[12:13]
	v_fmac_f64_e32 v[62:63], v[10:11], v[12:13]
	;; [unrolled: 1-line block ×8, first 2 shown]
	s_waitcnt vmcnt(1)
	v_fmac_f64_e32 v[64:65], v[20:21], v[72:73]
	v_fmac_f64_e32 v[62:63], v[22:23], v[72:73]
	;; [unrolled: 1-line block ×6, first 2 shown]
	s_waitcnt vmcnt(0)
	v_fmac_f64_e32 v[60:61], v[80:81], v[74:75]
	v_fmac_f64_e32 v[54:55], v[82:83], v[74:75]
	s_andn2_b64 exec, exec, s[10:11]
	s_cbranch_execnz .LBB7_33
; %bb.34:
	s_or_b64 exec, exec, s[10:11]
.LBB7_35:
	s_or_b64 exec, exec, s[0:1]
.LBB7_36:
	s_or_b64 exec, exec, s[8:9]
.LBB7_37:
	v_mov_b32_dpp v0, v64 row_shr:1 row_mask:0xf bank_mask:0xf
	v_mov_b32_dpp v1, v65 row_shr:1 row_mask:0xf bank_mask:0xf
	v_mov_b32_dpp v4, v62 row_shr:1 row_mask:0xf bank_mask:0xf
	v_mov_b32_dpp v5, v63 row_shr:1 row_mask:0xf bank_mask:0xf
	v_mov_b32_dpp v8, v60 row_shr:1 row_mask:0xf bank_mask:0xf
	v_mov_b32_dpp v9, v61 row_shr:1 row_mask:0xf bank_mask:0xf
	v_mov_b32_dpp v12, v54 row_shr:1 row_mask:0xf bank_mask:0xf
	v_mov_b32_dpp v13, v55 row_shr:1 row_mask:0xf bank_mask:0xf
	v_add_f64 v[0:1], v[64:65], v[0:1]
	v_add_f64 v[4:5], v[62:63], v[4:5]
	v_add_f64 v[8:9], v[60:61], v[8:9]
	v_add_f64 v[12:13], v[54:55], v[12:13]
	v_mov_b32_dpp v2, v0 row_shr:2 row_mask:0xf bank_mask:0xf
	v_mov_b32_dpp v3, v1 row_shr:2 row_mask:0xf bank_mask:0xf
	v_mov_b32_dpp v6, v4 row_shr:2 row_mask:0xf bank_mask:0xf
	v_mov_b32_dpp v7, v5 row_shr:2 row_mask:0xf bank_mask:0xf
	v_mov_b32_dpp v10, v8 row_shr:2 row_mask:0xf bank_mask:0xf
	v_mov_b32_dpp v11, v9 row_shr:2 row_mask:0xf bank_mask:0xf
	v_mov_b32_dpp v14, v12 row_shr:2 row_mask:0xf bank_mask:0xf
	v_mov_b32_dpp v15, v13 row_shr:2 row_mask:0xf bank_mask:0xf
	v_add_f64 v[0:1], v[0:1], v[2:3]
	v_add_f64 v[4:5], v[4:5], v[6:7]
	v_add_f64 v[8:9], v[8:9], v[10:11]
	v_add_f64 v[12:13], v[12:13], v[14:15]
	;; [unrolled: 12-line block ×3, first 2 shown]
	v_mov_b32_dpp v2, v0 row_shr:8 row_mask:0xf bank_mask:0xc
	v_mov_b32_dpp v3, v1 row_shr:8 row_mask:0xf bank_mask:0xc
	;; [unrolled: 1-line block ×8, first 2 shown]
	v_cmp_eq_u32_e32 vcc, 15, v53
	s_and_b64 exec, exec, vcc
	s_cbranch_execz .LBB7_10
; %bb.38:
	s_load_dwordx2 s[0:1], s[4:5], 0x50
	v_add_f64 v[0:1], v[0:1], v[2:3]
	v_add_f64 v[2:3], v[4:5], v[6:7]
	;; [unrolled: 1-line block ×4, first 2 shown]
	v_cmp_eq_f64_e32 vcc, 0, v[48:49]
	v_mul_f64 v[4:5], v[50:51], v[0:1]
	v_mul_f64 v[6:7], v[50:51], v[2:3]
	;; [unrolled: 1-line block ×4, first 2 shown]
	v_lshlrev_b32_e32 v8, 2, v52
	s_and_saveexec_b64 s[2:3], vcc
	s_xor_b64 s[2:3], exec, s[2:3]
	s_cbranch_execz .LBB7_40
; %bb.39:
	v_ashrrev_i32_e32 v9, 31, v8
	v_lshlrev_b64 v[8:9], 3, v[8:9]
	s_waitcnt lgkmcnt(0)
	v_mov_b32_e32 v10, s1
	v_add_co_u32_e32 v8, vcc, s0, v8
	v_addc_co_u32_e32 v9, vcc, v10, v9, vcc
	global_store_dwordx4 v[8:9], v[4:7], off
	global_store_dwordx4 v[8:9], v[0:3], off offset:16
                                        ; implicit-def: $vgpr8
                                        ; implicit-def: $vgpr48_vgpr49
                                        ; implicit-def: $vgpr4_vgpr5
                                        ; implicit-def: $vgpr0_vgpr1
.LBB7_40:
	s_andn2_saveexec_b64 s[2:3], s[2:3]
	s_cbranch_execz .LBB7_10
; %bb.41:
	v_ashrrev_i32_e32 v9, 31, v8
	v_lshlrev_b64 v[8:9], 3, v[8:9]
	s_waitcnt lgkmcnt(0)
	v_mov_b32_e32 v10, s1
	v_add_co_u32_e32 v16, vcc, s0, v8
	v_addc_co_u32_e32 v17, vcc, v10, v9, vcc
	global_load_dwordx4 v[8:11], v[16:17], off
	global_load_dwordx4 v[12:15], v[16:17], off offset:16
	s_waitcnt vmcnt(1)
	v_fmac_f64_e32 v[4:5], v[48:49], v[8:9]
	v_fmac_f64_e32 v[6:7], v[48:49], v[10:11]
	s_waitcnt vmcnt(0)
	v_fmac_f64_e32 v[0:1], v[48:49], v[12:13]
	v_fmac_f64_e32 v[2:3], v[48:49], v[14:15]
	global_store_dwordx4 v[16:17], v[4:7], off
	global_store_dwordx4 v[16:17], v[0:3], off offset:16
	s_endpgm
	.section	.rodata,"a",@progbits
	.p2align	6, 0x0
	.amdhsa_kernel _ZN9rocsparseL18bsrxmvn_4x4_kernelILj128ELj16EdiidddEEvT3_20rocsparse_direction_NS_24const_host_device_scalarIT1_EES1_PKS1_PKT2_SA_S7_PKT4_PKT5_S5_PT6_21rocsparse_index_base_b
		.amdhsa_group_segment_fixed_size 0
		.amdhsa_private_segment_fixed_size 0
		.amdhsa_kernarg_size 96
		.amdhsa_user_sgpr_count 6
		.amdhsa_user_sgpr_private_segment_buffer 1
		.amdhsa_user_sgpr_dispatch_ptr 0
		.amdhsa_user_sgpr_queue_ptr 0
		.amdhsa_user_sgpr_kernarg_segment_ptr 1
		.amdhsa_user_sgpr_dispatch_id 0
		.amdhsa_user_sgpr_flat_scratch_init 0
		.amdhsa_user_sgpr_kernarg_preload_length 0
		.amdhsa_user_sgpr_kernarg_preload_offset 0
		.amdhsa_user_sgpr_private_segment_size 0
		.amdhsa_uses_dynamic_stack 0
		.amdhsa_system_sgpr_private_segment_wavefront_offset 0
		.amdhsa_system_sgpr_workgroup_id_x 1
		.amdhsa_system_sgpr_workgroup_id_y 0
		.amdhsa_system_sgpr_workgroup_id_z 0
		.amdhsa_system_sgpr_workgroup_info 0
		.amdhsa_system_vgpr_workitem_id 0
		.amdhsa_next_free_vgpr 104
		.amdhsa_next_free_sgpr 18
		.amdhsa_accum_offset 104
		.amdhsa_reserve_vcc 1
		.amdhsa_reserve_flat_scratch 0
		.amdhsa_float_round_mode_32 0
		.amdhsa_float_round_mode_16_64 0
		.amdhsa_float_denorm_mode_32 3
		.amdhsa_float_denorm_mode_16_64 3
		.amdhsa_dx10_clamp 1
		.amdhsa_ieee_mode 1
		.amdhsa_fp16_overflow 0
		.amdhsa_tg_split 0
		.amdhsa_exception_fp_ieee_invalid_op 0
		.amdhsa_exception_fp_denorm_src 0
		.amdhsa_exception_fp_ieee_div_zero 0
		.amdhsa_exception_fp_ieee_overflow 0
		.amdhsa_exception_fp_ieee_underflow 0
		.amdhsa_exception_fp_ieee_inexact 0
		.amdhsa_exception_int_div_zero 0
	.end_amdhsa_kernel
	.section	.text._ZN9rocsparseL18bsrxmvn_4x4_kernelILj128ELj16EdiidddEEvT3_20rocsparse_direction_NS_24const_host_device_scalarIT1_EES1_PKS1_PKT2_SA_S7_PKT4_PKT5_S5_PT6_21rocsparse_index_base_b,"axG",@progbits,_ZN9rocsparseL18bsrxmvn_4x4_kernelILj128ELj16EdiidddEEvT3_20rocsparse_direction_NS_24const_host_device_scalarIT1_EES1_PKS1_PKT2_SA_S7_PKT4_PKT5_S5_PT6_21rocsparse_index_base_b,comdat
.Lfunc_end7:
	.size	_ZN9rocsparseL18bsrxmvn_4x4_kernelILj128ELj16EdiidddEEvT3_20rocsparse_direction_NS_24const_host_device_scalarIT1_EES1_PKS1_PKT2_SA_S7_PKT4_PKT5_S5_PT6_21rocsparse_index_base_b, .Lfunc_end7-_ZN9rocsparseL18bsrxmvn_4x4_kernelILj128ELj16EdiidddEEvT3_20rocsparse_direction_NS_24const_host_device_scalarIT1_EES1_PKS1_PKT2_SA_S7_PKT4_PKT5_S5_PT6_21rocsparse_index_base_b
                                        ; -- End function
	.section	.AMDGPU.csdata,"",@progbits
; Kernel info:
; codeLenInByte = 3716
; NumSgprs: 22
; NumVgprs: 104
; NumAgprs: 0
; TotalNumVgprs: 104
; ScratchSize: 0
; MemoryBound: 1
; FloatMode: 240
; IeeeMode: 1
; LDSByteSize: 0 bytes/workgroup (compile time only)
; SGPRBlocks: 2
; VGPRBlocks: 12
; NumSGPRsForWavesPerEU: 22
; NumVGPRsForWavesPerEU: 104
; AccumOffset: 104
; Occupancy: 4
; WaveLimiterHint : 1
; COMPUTE_PGM_RSRC2:SCRATCH_EN: 0
; COMPUTE_PGM_RSRC2:USER_SGPR: 6
; COMPUTE_PGM_RSRC2:TRAP_HANDLER: 0
; COMPUTE_PGM_RSRC2:TGID_X_EN: 1
; COMPUTE_PGM_RSRC2:TGID_Y_EN: 0
; COMPUTE_PGM_RSRC2:TGID_Z_EN: 0
; COMPUTE_PGM_RSRC2:TIDIG_COMP_CNT: 0
; COMPUTE_PGM_RSRC3_GFX90A:ACCUM_OFFSET: 25
; COMPUTE_PGM_RSRC3_GFX90A:TG_SPLIT: 0
	.section	.text._ZN9rocsparseL18bsrxmvn_4x4_kernelILj128ELj32EdiidddEEvT3_20rocsparse_direction_NS_24const_host_device_scalarIT1_EES1_PKS1_PKT2_SA_S7_PKT4_PKT5_S5_PT6_21rocsparse_index_base_b,"axG",@progbits,_ZN9rocsparseL18bsrxmvn_4x4_kernelILj128ELj32EdiidddEEvT3_20rocsparse_direction_NS_24const_host_device_scalarIT1_EES1_PKS1_PKT2_SA_S7_PKT4_PKT5_S5_PT6_21rocsparse_index_base_b,comdat
	.globl	_ZN9rocsparseL18bsrxmvn_4x4_kernelILj128ELj32EdiidddEEvT3_20rocsparse_direction_NS_24const_host_device_scalarIT1_EES1_PKS1_PKT2_SA_S7_PKT4_PKT5_S5_PT6_21rocsparse_index_base_b ; -- Begin function _ZN9rocsparseL18bsrxmvn_4x4_kernelILj128ELj32EdiidddEEvT3_20rocsparse_direction_NS_24const_host_device_scalarIT1_EES1_PKS1_PKT2_SA_S7_PKT4_PKT5_S5_PT6_21rocsparse_index_base_b
	.p2align	8
	.type	_ZN9rocsparseL18bsrxmvn_4x4_kernelILj128ELj32EdiidddEEvT3_20rocsparse_direction_NS_24const_host_device_scalarIT1_EES1_PKS1_PKT2_SA_S7_PKT4_PKT5_S5_PT6_21rocsparse_index_base_b,@function
_ZN9rocsparseL18bsrxmvn_4x4_kernelILj128ELj32EdiidddEEvT3_20rocsparse_direction_NS_24const_host_device_scalarIT1_EES1_PKS1_PKT2_SA_S7_PKT4_PKT5_S5_PT6_21rocsparse_index_base_b: ; @_ZN9rocsparseL18bsrxmvn_4x4_kernelILj128ELj32EdiidddEEvT3_20rocsparse_direction_NS_24const_host_device_scalarIT1_EES1_PKS1_PKT2_SA_S7_PKT4_PKT5_S5_PT6_21rocsparse_index_base_b
; %bb.0:
	s_load_dwordx2 s[16:17], s[4:5], 0x58
	s_load_dwordx2 s[8:9], s[4:5], 0x8
	;; [unrolled: 1-line block ×3, first 2 shown]
	s_waitcnt lgkmcnt(0)
	s_bitcmp1_b32 s17, 0
	s_cselect_b64 s[10:11], -1, 0
	s_xor_b64 s[2:3], s[10:11], -1
	s_and_b64 vcc, exec, s[10:11]
	v_pk_mov_b32 v[54:55], s[8:9], s[8:9] op_sel:[0,1]
	s_cbranch_vccnz .LBB8_2
; %bb.1:
	v_pk_mov_b32 v[2:3], s[8:9], s[8:9] op_sel:[0,1]
	flat_load_dwordx2 v[54:55], v[2:3]
.LBB8_2:
	s_andn2_b64 vcc, exec, s[2:3]
	v_pk_mov_b32 v[52:53], s[0:1], s[0:1] op_sel:[0,1]
	s_cbranch_vccnz .LBB8_4
; %bb.3:
	v_pk_mov_b32 v[2:3], s[0:1], s[0:1] op_sel:[0,1]
	flat_load_dwordx2 v[52:53], v[2:3]
.LBB8_4:
	s_waitcnt vmcnt(0) lgkmcnt(0)
	v_cmp_neq_f64_e32 vcc, 0, v[54:55]
	v_cmp_neq_f64_e64 s[0:1], 1.0, v[52:53]
	s_mov_b64 s[2:3], 0
	s_or_b64 s[0:1], vcc, s[0:1]
	s_and_saveexec_b64 s[8:9], s[0:1]
	s_cbranch_execz .LBB8_10
; %bb.5:
	s_load_dwordx2 s[8:9], s[4:5], 0x18
	s_load_dwordx2 s[0:1], s[4:5], 0x0
	v_lshrrev_b32_e32 v1, 5, v0
	v_lshl_or_b32 v56, s6, 2, v1
	s_mov_b64 s[6:7], 0
	s_waitcnt lgkmcnt(0)
	s_cmp_lg_u64 s[8:9], 0
	s_cbranch_scc0 .LBB8_11
; %bb.6:
	s_load_dword s2, s[4:5], 0x10
                                        ; implicit-def: $vgpr1
	s_waitcnt lgkmcnt(0)
	v_cmp_gt_i32_e32 vcc, s2, v56
	s_and_saveexec_b64 s[2:3], vcc
	s_xor_b64 s[2:3], exec, s[2:3]
	s_cbranch_execz .LBB8_8
; %bb.7:
	v_ashrrev_i32_e32 v57, 31, v56
	v_lshlrev_b64 v[2:3], 2, v[56:57]
	v_mov_b32_e32 v1, s9
	v_add_co_u32_e32 v2, vcc, s8, v2
	v_addc_co_u32_e32 v3, vcc, v1, v3, vcc
	global_load_dword v1, v[2:3], off
	s_mov_b64 s[6:7], exec
	s_waitcnt vmcnt(0)
	v_subrev_u32_e32 v1, s16, v1
.LBB8_8:
	s_or_b64 exec, exec, s[2:3]
	s_mov_b64 s[2:3], s[6:7]
	s_branch .LBB8_12
.LBB8_9:
	v_cmp_gt_i32_e32 vcc, s0, v56
	s_andn2_b64 s[2:3], s[2:3], exec
	s_and_b64 s[6:7], vcc, exec
	s_or_b64 s[2:3], s[2:3], s[6:7]
	s_and_b64 exec, exec, s[2:3]
	s_cbranch_execnz .LBB8_13
.LBB8_10:
	s_endpgm
.LBB8_11:
                                        ; implicit-def: $vgpr1
	s_cbranch_execnz .LBB8_9
.LBB8_12:
	v_mov_b32_e32 v56, v1
	s_and_b64 exec, exec, s[2:3]
	s_cbranch_execz .LBB8_10
.LBB8_13:
	s_load_dwordx8 s[8:15], s[4:5], 0x20
	v_ashrrev_i32_e32 v57, 31, v56
	v_lshlrev_b64 v[2:3], 2, v[56:57]
	v_and_b32_e32 v57, 31, v0
	s_load_dwordx2 s[6:7], s[4:5], 0x40
	s_waitcnt lgkmcnt(0)
	v_mov_b32_e32 v1, s9
	v_add_co_u32_e32 v4, vcc, s8, v2
	v_addc_co_u32_e32 v5, vcc, v1, v3, vcc
	v_add_co_u32_e32 v1, vcc, 4, v4
	global_load_dword v79, v[4:5], off
	v_addc_co_u32_e32 v4, vcc, 0, v5, vcc
	v_mov_b32_e32 v5, s11
	v_add_co_u32_e32 v2, vcc, s10, v2
	s_cmp_eq_u64 s[10:11], 0
	v_addc_co_u32_e32 v3, vcc, v5, v3, vcc
	s_cselect_b64 vcc, -1, 0
	v_cndmask_b32_e32 v3, v3, v4, vcc
	v_cndmask_b32_e32 v2, v2, v1, vcc
	global_load_dword v1, v[2:3], off
	v_mov_b32_e32 v2, s15
	s_cmp_eq_u32 s1, 1
	s_waitcnt vmcnt(1)
	v_subrev_u32_e32 v0, s16, v79
	v_add_u32_e32 v62, v0, v57
	v_ashrrev_i32_e32 v63, 31, v62
	s_waitcnt vmcnt(0)
	v_subrev_u32_e32 v78, s16, v1
	v_lshlrev_b64 v[0:1], 7, v[62:63]
	v_add_co_u32_e32 v64, vcc, s14, v0
	v_addc_co_u32_e32 v65, vcc, v2, v1, vcc
	v_cmp_lt_i32_e64 s[0:1], v62, v78
	s_cbranch_scc1 .LBB8_25
; %bb.14:
	v_pk_mov_b32 v[58:59], 0, 0
	s_mov_b64 s[8:9], 0
	v_pk_mov_b32 v[60:61], v[58:59], v[58:59] op_sel:[0,1]
	v_pk_mov_b32 v[66:67], v[58:59], v[58:59] op_sel:[0,1]
	;; [unrolled: 1-line block ×3, first 2 shown]
	s_and_saveexec_b64 s[10:11], s[0:1]
	s_cbranch_execz .LBB8_24
; %bb.15:
	v_add_u32_e32 v0, v79, v57
	v_subrev_u32_e32 v0, s16, v0
	v_add_u32_e32 v0, 32, v0
	v_max_i32_e32 v0, v0, v78
	v_not_b32_e32 v1, v79
	v_add3_u32 v0, v0, s16, v1
	v_sub_u32_e32 v0, v0, v57
	v_lshrrev_b32_e32 v1, 5, v0
	v_add_u32_e32 v1, 1, v1
	v_and_b32_e32 v1, 3, v1
	v_pk_mov_b32 v[68:69], 0, 0
	v_cmp_ne_u32_e32 vcc, 0, v1
	v_pk_mov_b32 v[66:67], v[68:69], v[68:69] op_sel:[0,1]
	v_pk_mov_b32 v[60:61], v[68:69], v[68:69] op_sel:[0,1]
	;; [unrolled: 1-line block ×3, first 2 shown]
	v_mov_b32_e32 v70, v62
	v_pk_mov_b32 v[72:73], v[64:65], v[64:65] op_sel:[0,1]
	s_and_saveexec_b64 s[2:3], vcc
	s_cbranch_execz .LBB8_19
; %bb.16:
	v_pk_mov_b32 v[58:59], 0, 0
	v_lshlrev_b32_e32 v1, 7, v1
	s_mov_b64 s[14:15], 0
	v_mov_b32_e32 v2, s13
	v_mov_b32_e32 v3, s7
	v_pk_mov_b32 v[72:73], v[64:65], v[64:65] op_sel:[0,1]
	v_mov_b32_e32 v70, v62
	v_pk_mov_b32 v[60:61], v[58:59], v[58:59] op_sel:[0,1]
	v_pk_mov_b32 v[66:67], v[58:59], v[58:59] op_sel:[0,1]
	;; [unrolled: 1-line block ×3, first 2 shown]
.LBB8_17:                               ; =>This Inner Loop Header: Depth=1
	v_ashrrev_i32_e32 v71, 31, v70
	v_lshlrev_b64 v[4:5], 2, v[70:71]
	v_add_co_u32_e32 v36, vcc, s12, v4
	v_addc_co_u32_e32 v37, vcc, v2, v5, vcc
	global_load_dword v38, v[36:37], off
	global_load_dwordx4 v[4:7], v[72:73], off offset:48
	global_load_dwordx4 v[8:11], v[72:73], off offset:32
	;; [unrolled: 1-line block ×3, first 2 shown]
	global_load_dwordx4 v[16:19], v[72:73], off
	global_load_dwordx4 v[20:23], v[72:73], off offset:112
	global_load_dwordx4 v[24:27], v[72:73], off offset:96
	;; [unrolled: 1-line block ×4, first 2 shown]
	v_add_u32_e32 v1, 0xffffff80, v1
	v_add_u32_e32 v70, 32, v70
	s_waitcnt vmcnt(8)
	v_subrev_u32_e32 v36, s16, v38
	v_lshlrev_b32_e32 v36, 2, v36
	v_ashrrev_i32_e32 v37, 31, v36
	v_lshlrev_b64 v[36:37], 3, v[36:37]
	v_add_co_u32_e32 v44, vcc, s6, v36
	v_addc_co_u32_e32 v45, vcc, v3, v37, vcc
	global_load_dwordx4 v[36:39], v[44:45], off
	global_load_dwordx4 v[40:43], v[44:45], off offset:16
	v_add_co_u32_e32 v72, vcc, 0x1000, v72
	v_addc_co_u32_e32 v73, vcc, 0, v73, vcc
	v_cmp_eq_u32_e32 vcc, 0, v1
	s_or_b64 s[14:15], vcc, s[14:15]
	s_waitcnt vmcnt(1)
	v_fmac_f64_e32 v[68:69], v[16:17], v[36:37]
	v_fmac_f64_e32 v[66:67], v[8:9], v[36:37]
	;; [unrolled: 1-line block ×8, first 2 shown]
	s_waitcnt vmcnt(0)
	v_fmac_f64_e32 v[68:69], v[12:13], v[40:41]
	v_fmac_f64_e32 v[66:67], v[4:5], v[40:41]
	;; [unrolled: 1-line block ×8, first 2 shown]
	s_andn2_b64 exec, exec, s[14:15]
	s_cbranch_execnz .LBB8_17
; %bb.18:
	s_or_b64 exec, exec, s[14:15]
.LBB8_19:
	s_or_b64 exec, exec, s[2:3]
	s_movk_i32 s2, 0x5f
	v_cmp_lt_u32_e32 vcc, s2, v0
	s_and_saveexec_b64 s[14:15], vcc
	s_cbranch_execz .LBB8_23
; %bb.20:
	s_mov_b64 s[18:19], 0
	v_mov_b32_e32 v63, s13
	v_mov_b32_e32 v80, s7
	s_movk_i32 s17, 0x1000
	s_movk_i32 s20, 0x2000
	;; [unrolled: 1-line block ×3, first 2 shown]
.LBB8_21:                               ; =>This Inner Loop Header: Depth=1
	v_add_co_u32_e32 v74, vcc, s17, v72
	v_addc_co_u32_e32 v75, vcc, 0, v73, vcc
	v_add_co_u32_e32 v102, vcc, s20, v72
	v_addc_co_u32_e32 v103, vcc, 0, v73, vcc
	v_ashrrev_i32_e32 v71, 31, v70
	v_add_co_u32_e32 v76, vcc, s21, v72
	v_addc_co_u32_e32 v77, vcc, 0, v73, vcc
	v_lshlrev_b64 v[90:91], 2, v[70:71]
	v_add_co_u32_e32 v90, vcc, s12, v90
	v_addc_co_u32_e32 v91, vcc, v63, v91, vcc
	global_load_dwordx4 v[4:7], v[72:73], off offset:32
	global_load_dwordx4 v[0:3], v[72:73], off offset:16
	global_load_dwordx4 v[8:11], v[72:73], off
	global_load_dwordx4 v[12:15], v[72:73], off offset:112
	global_load_dwordx4 v[24:27], v[72:73], off offset:96
	;; [unrolled: 1-line block ×12, first 2 shown]
	global_load_dword v71, v[90:91], off
	global_load_dword v81, v[90:91], off offset:128
	global_load_dword v104, v[90:91], off offset:256
	;; [unrolled: 1-line block ×3, first 2 shown]
	v_add_u32_e32 v70, 0x80, v70
	v_cmp_ge_i32_e64 s[2:3], v70, v78
	s_or_b64 s[18:19], s[2:3], s[18:19]
	s_waitcnt vmcnt(3)
	v_subrev_u32_e32 v71, s16, v71
	v_lshlrev_b32_e32 v90, 2, v71
	v_ashrrev_i32_e32 v91, 31, v90
	v_lshlrev_b64 v[90:91], 3, v[90:91]
	v_add_co_u32_e32 v98, vcc, s6, v90
	v_addc_co_u32_e32 v99, vcc, v80, v91, vcc
	global_load_dwordx4 v[90:93], v[98:99], off
	global_load_dwordx4 v[94:97], v[98:99], off offset:16
	s_waitcnt vmcnt(4)
	v_subrev_u32_e32 v71, s16, v81
	s_waitcnt vmcnt(1)
	v_fmac_f64_e32 v[58:59], v[24:25], v[90:91]
	v_fmac_f64_e32 v[58:59], v[26:27], v[92:93]
	s_waitcnt vmcnt(0)
	v_fmac_f64_e32 v[58:59], v[12:13], v[94:95]
	v_lshlrev_b32_e32 v12, 2, v71
	v_ashrrev_i32_e32 v13, 31, v12
	v_fmac_f64_e32 v[68:69], v[8:9], v[90:91]
	v_fmac_f64_e32 v[66:67], v[4:5], v[90:91]
	;; [unrolled: 1-line block ×3, first 2 shown]
	v_lshlrev_b64 v[12:13], 3, v[12:13]
	v_fmac_f64_e32 v[68:69], v[10:11], v[92:93]
	global_load_dwordx4 v[8:11], v[74:75], off offset:64
	v_fmac_f64_e32 v[66:67], v[6:7], v[92:93]
	global_load_dwordx4 v[4:7], v[102:103], off offset:-4096
	v_fmac_f64_e32 v[60:61], v[30:31], v[92:93]
	v_add_co_u32_e32 v74, vcc, s6, v12
	v_fmac_f64_e32 v[68:69], v[0:1], v[94:95]
	v_fmac_f64_e32 v[66:67], v[20:21], v[94:95]
	;; [unrolled: 1-line block ×3, first 2 shown]
	v_addc_co_u32_e32 v75, vcc, v80, v13, vcc
	global_load_dwordx4 v[28:31], v[102:103], off
	global_load_dwordx4 v[24:27], v[102:103], off offset:32
	global_load_dwordx4 v[90:93], v[102:103], off offset:16
	v_fmac_f64_e32 v[68:69], v[2:3], v[96:97]
	global_load_dwordx4 v[0:3], v[102:103], off offset:96
	v_fmac_f64_e32 v[66:67], v[22:23], v[96:97]
	;; [unrolled: 2-line block ×3, first 2 shown]
	global_load_dwordx4 v[16:19], v[102:103], off offset:48
	global_load_dwordx4 v[98:101], v[102:103], off offset:64
	v_fmac_f64_e32 v[58:59], v[14:15], v[96:97]
	global_load_dwordx4 v[12:15], v[74:75], off
	global_load_dwordx4 v[94:97], v[74:75], off offset:16
	v_subrev_u32_e32 v71, s16, v104
	v_subrev_u32_e32 v75, s16, v105
	v_lshlrev_b32_e32 v74, 2, v71
	s_waitcnt vmcnt(1)
	v_fmac_f64_e32 v[60:61], v[8:9], v[12:13]
	v_fmac_f64_e32 v[60:61], v[10:11], v[14:15]
	s_waitcnt vmcnt(0)
	v_fmac_f64_e32 v[60:61], v[48:49], v[94:95]
	v_lshlrev_b32_e32 v48, 2, v75
	v_ashrrev_i32_e32 v75, 31, v74
	v_fmac_f64_e32 v[60:61], v[50:51], v[96:97]
	v_lshlrev_b64 v[50:51], 3, v[74:75]
	v_fmac_f64_e32 v[68:69], v[4:5], v[12:13]
	v_fmac_f64_e32 v[66:67], v[44:45], v[12:13]
	;; [unrolled: 1-line block ×3, first 2 shown]
	v_ashrrev_i32_e32 v49, 31, v48
	v_add_co_u32_e32 v102, vcc, s6, v50
	v_fmac_f64_e32 v[68:69], v[6:7], v[14:15]
	v_fmac_f64_e32 v[66:67], v[46:47], v[14:15]
	;; [unrolled: 1-line block ×3, first 2 shown]
	v_lshlrev_b64 v[48:49], 3, v[48:49]
	v_addc_co_u32_e32 v103, vcc, v80, v51, vcc
	v_fmac_f64_e32 v[68:69], v[36:37], v[94:95]
	v_fmac_f64_e32 v[66:67], v[86:87], v[94:95]
	v_add_co_u32_e32 v104, vcc, s6, v48
	v_fmac_f64_e32 v[58:59], v[40:41], v[94:95]
	global_load_dwordx4 v[4:7], v[76:77], off
	global_load_dwordx4 v[8:11], v[76:77], off offset:32
	global_load_dwordx4 v[44:47], v[76:77], off offset:48
	;; [unrolled: 1-line block ×4, first 2 shown]
	v_fmac_f64_e32 v[68:69], v[38:39], v[96:97]
	global_load_dwordx4 v[36:39], v[76:77], off offset:80
	v_fmac_f64_e32 v[66:67], v[88:89], v[96:97]
	global_load_dwordx4 v[86:89], v[76:77], off offset:64
	v_addc_co_u32_e32 v105, vcc, v80, v49, vcc
	global_load_dwordx4 v[48:51], v[76:77], off offset:16
	v_fmac_f64_e32 v[58:59], v[42:43], v[96:97]
	global_load_dwordx4 v[40:43], v[102:103], off
	global_load_dwordx4 v[74:77], v[102:103], off offset:16
	v_add_co_u32_e32 v72, vcc, 0x4000, v72
	v_addc_co_u32_e32 v73, vcc, 0, v73, vcc
	s_waitcnt vmcnt(1)
	v_fmac_f64_e32 v[68:69], v[28:29], v[40:41]
	v_fmac_f64_e32 v[68:69], v[30:31], v[42:43]
	global_load_dwordx4 v[28:31], v[104:105], off
	global_load_dwordx4 v[94:97], v[104:105], off offset:16
	v_fmac_f64_e32 v[66:67], v[24:25], v[40:41]
	v_fmac_f64_e32 v[60:61], v[98:99], v[40:41]
	v_fmac_f64_e32 v[58:59], v[0:1], v[40:41]
	v_fmac_f64_e32 v[66:67], v[26:27], v[42:43]
	v_fmac_f64_e32 v[60:61], v[100:101], v[42:43]
	v_fmac_f64_e32 v[58:59], v[2:3], v[42:43]
	s_waitcnt vmcnt(2)
	v_fmac_f64_e32 v[68:69], v[90:91], v[74:75]
	v_fmac_f64_e32 v[66:67], v[16:17], v[74:75]
	v_fmac_f64_e32 v[60:61], v[20:21], v[74:75]
	v_fmac_f64_e32 v[58:59], v[32:33], v[74:75]
	v_fmac_f64_e32 v[68:69], v[92:93], v[76:77]
	v_fmac_f64_e32 v[66:67], v[18:19], v[76:77]
	v_fmac_f64_e32 v[60:61], v[22:23], v[76:77]
	v_fmac_f64_e32 v[58:59], v[34:35], v[76:77]
	s_waitcnt vmcnt(1)
	v_fmac_f64_e32 v[68:69], v[4:5], v[28:29]
	v_fmac_f64_e32 v[66:67], v[8:9], v[28:29]
	;; [unrolled: 9-line block ×3, first 2 shown]
	v_fmac_f64_e32 v[60:61], v[36:37], v[94:95]
	v_fmac_f64_e32 v[58:59], v[12:13], v[94:95]
	;; [unrolled: 1-line block ×6, first 2 shown]
	s_andn2_b64 exec, exec, s[18:19]
	s_cbranch_execnz .LBB8_21
; %bb.22:
	s_or_b64 exec, exec, s[18:19]
.LBB8_23:
	s_or_b64 exec, exec, s[14:15]
.LBB8_24:
	s_or_b64 exec, exec, s[10:11]
	s_andn2_b64 vcc, exec, s[8:9]
	s_cbranch_vccz .LBB8_26
	s_branch .LBB8_37
.LBB8_25:
                                        ; implicit-def: $vgpr58_vgpr59
                                        ; implicit-def: $vgpr60_vgpr61
                                        ; implicit-def: $vgpr66_vgpr67
                                        ; implicit-def: $vgpr68_vgpr69
.LBB8_26:
	v_pk_mov_b32 v[58:59], 0, 0
	v_pk_mov_b32 v[60:61], v[58:59], v[58:59] op_sel:[0,1]
	v_pk_mov_b32 v[66:67], v[58:59], v[58:59] op_sel:[0,1]
	;; [unrolled: 1-line block ×3, first 2 shown]
	s_and_saveexec_b64 s[2:3], s[0:1]
	s_cbranch_execz .LBB8_36
; %bb.27:
	v_add_u32_e32 v0, v79, v57
	v_subrev_u32_e32 v0, s16, v0
	v_add_u32_e32 v0, 32, v0
	v_max_i32_e32 v0, v0, v78
	v_not_b32_e32 v1, v79
	v_add3_u32 v0, v0, s16, v1
	v_sub_u32_e32 v0, v0, v57
	v_lshrrev_b32_e32 v1, 5, v0
	v_add_u32_e32 v1, 1, v1
	v_and_b32_e32 v1, 3, v1
	v_pk_mov_b32 v[68:69], 0, 0
	v_cmp_ne_u32_e32 vcc, 0, v1
	v_pk_mov_b32 v[66:67], v[68:69], v[68:69] op_sel:[0,1]
	v_pk_mov_b32 v[60:61], v[68:69], v[68:69] op_sel:[0,1]
	;; [unrolled: 1-line block ×3, first 2 shown]
	s_and_saveexec_b64 s[0:1], vcc
	s_cbranch_execz .LBB8_31
; %bb.28:
	v_pk_mov_b32 v[58:59], 0, 0
	v_lshlrev_b32_e32 v1, 7, v1
	s_mov_b64 s[8:9], 0
	v_mov_b32_e32 v2, s13
	v_mov_b32_e32 v3, s7
	v_pk_mov_b32 v[60:61], v[58:59], v[58:59] op_sel:[0,1]
	v_pk_mov_b32 v[66:67], v[58:59], v[58:59] op_sel:[0,1]
	;; [unrolled: 1-line block ×3, first 2 shown]
.LBB8_29:                               ; =>This Inner Loop Header: Depth=1
	v_ashrrev_i32_e32 v63, 31, v62
	v_lshlrev_b64 v[4:5], 2, v[62:63]
	v_add_co_u32_e32 v28, vcc, s12, v4
	v_addc_co_u32_e32 v29, vcc, v2, v5, vcc
	global_load_dword v30, v[28:29], off
	global_load_dwordx4 v[4:7], v[64:65], off offset:48
	global_load_dwordx4 v[8:11], v[64:65], off offset:32
	;; [unrolled: 1-line block ×3, first 2 shown]
	global_load_dwordx4 v[16:19], v[64:65], off
	global_load_dwordx4 v[20:23], v[64:65], off offset:80
	global_load_dwordx4 v[24:27], v[64:65], off offset:64
	v_add_u32_e32 v1, 0xffffff80, v1
	v_add_u32_e32 v62, 32, v62
	s_waitcnt vmcnt(6)
	v_subrev_u32_e32 v28, s16, v30
	v_lshlrev_b32_e32 v28, 2, v28
	v_ashrrev_i32_e32 v29, 31, v28
	v_lshlrev_b64 v[28:29], 3, v[28:29]
	v_add_co_u32_e32 v44, vcc, s6, v28
	v_addc_co_u32_e32 v45, vcc, v3, v29, vcc
	global_load_dwordx4 v[28:31], v[44:45], off
	global_load_dwordx4 v[32:35], v[44:45], off offset:16
	global_load_dwordx4 v[36:39], v[64:65], off offset:96
	global_load_dwordx4 v[40:43], v[64:65], off offset:112
	v_add_co_u32_e32 v64, vcc, 0x1000, v64
	v_addc_co_u32_e32 v65, vcc, 0, v65, vcc
	v_cmp_eq_u32_e32 vcc, 0, v1
	s_or_b64 s[8:9], vcc, s[8:9]
	s_waitcnt vmcnt(3)
	v_fmac_f64_e32 v[68:69], v[16:17], v[28:29]
	v_fmac_f64_e32 v[66:67], v[18:19], v[28:29]
	;; [unrolled: 1-line block ×8, first 2 shown]
	s_waitcnt vmcnt(2)
	v_fmac_f64_e32 v[68:69], v[24:25], v[32:33]
	v_fmac_f64_e32 v[66:67], v[26:27], v[32:33]
	;; [unrolled: 1-line block ×4, first 2 shown]
	s_waitcnt vmcnt(1)
	v_fmac_f64_e32 v[68:69], v[36:37], v[34:35]
	v_fmac_f64_e32 v[66:67], v[38:39], v[34:35]
	s_waitcnt vmcnt(0)
	v_fmac_f64_e32 v[60:61], v[40:41], v[34:35]
	v_fmac_f64_e32 v[58:59], v[42:43], v[34:35]
	s_andn2_b64 exec, exec, s[8:9]
	s_cbranch_execnz .LBB8_29
; %bb.30:
	s_or_b64 exec, exec, s[8:9]
.LBB8_31:
	s_or_b64 exec, exec, s[0:1]
	s_movk_i32 s0, 0x5f
	v_cmp_lt_u32_e32 vcc, s0, v0
	s_and_saveexec_b64 s[8:9], vcc
	s_cbranch_execz .LBB8_35
; %bb.32:
	s_mov_b64 s[10:11], 0
	v_mov_b32_e32 v38, s13
	v_mov_b32_e32 v39, s7
	s_movk_i32 s7, 0x1000
	s_movk_i32 s13, 0x2000
	s_movk_i32 s14, 0x3000
.LBB8_33:                               ; =>This Inner Loop Header: Depth=1
	v_add_co_u32_e32 v34, vcc, s7, v64
	v_addc_co_u32_e32 v35, vcc, 0, v65, vcc
	v_add_co_u32_e32 v32, vcc, s13, v64
	v_addc_co_u32_e32 v33, vcc, 0, v65, vcc
	v_ashrrev_i32_e32 v63, 31, v62
	v_add_co_u32_e32 v36, vcc, s14, v64
	v_addc_co_u32_e32 v37, vcc, 0, v65, vcc
	v_lshlrev_b64 v[70:71], 2, v[62:63]
	v_add_co_u32_e32 v70, vcc, s12, v70
	v_addc_co_u32_e32 v71, vcc, v38, v71, vcc
	global_load_dwordx4 v[0:3], v[64:65], off offset:32
	global_load_dwordx4 v[4:7], v[64:65], off offset:16
	;; [unrolled: 1-line block ×7, first 2 shown]
	global_load_dwordx4 v[40:43], v[64:65], off
	global_load_dwordx4 v[28:31], v[32:33], off offset:112
	global_load_dwordx4 v[44:47], v[34:35], off offset:32
	;; [unrolled: 1-line block ×3, first 2 shown]
	global_load_dword v63, v[70:71], off
	global_load_dword v79, v[70:71], off offset:128
	global_load_dword v84, v[70:71], off offset:256
	;; [unrolled: 1-line block ×3, first 2 shown]
	v_add_u32_e32 v62, 0x80, v62
	v_cmp_ge_i32_e64 s[0:1], v62, v78
	s_or_b64 s[10:11], s[0:1], s[10:11]
	s_waitcnt vmcnt(3)
	v_subrev_u32_e32 v63, s16, v63
	v_lshlrev_b32_e32 v70, 2, v63
	v_ashrrev_i32_e32 v71, 31, v70
	v_lshlrev_b64 v[70:71], 3, v[70:71]
	v_add_co_u32_e32 v80, vcc, s6, v70
	v_addc_co_u32_e32 v81, vcc, v39, v71, vcc
	global_load_dwordx4 v[70:73], v[80:81], off
	global_load_dwordx4 v[74:77], v[80:81], off offset:16
	s_waitcnt vmcnt(4)
	v_subrev_u32_e32 v63, s16, v79
	s_waitcnt vmcnt(1)
	v_fmac_f64_e32 v[68:69], v[40:41], v[70:71]
	v_fmac_f64_e32 v[66:67], v[42:43], v[70:71]
	;; [unrolled: 1-line block ×4, first 2 shown]
	v_lshlrev_b32_e32 v70, 2, v63
	v_ashrrev_i32_e32 v71, 31, v70
	v_lshlrev_b64 v[70:71], 3, v[70:71]
	v_fmac_f64_e32 v[68:69], v[0:1], v[72:73]
	v_fmac_f64_e32 v[66:67], v[2:3], v[72:73]
	;; [unrolled: 1-line block ×4, first 2 shown]
	v_add_co_u32_e32 v80, vcc, s6, v70
	v_addc_co_u32_e32 v81, vcc, v39, v71, vcc
	s_waitcnt vmcnt(0)
	v_fmac_f64_e32 v[68:69], v[20:21], v[74:75]
	v_fmac_f64_e32 v[66:67], v[22:23], v[74:75]
	global_load_dwordx4 v[20:23], v[32:33], off offset:-4096
	v_fmac_f64_e32 v[60:61], v[16:17], v[74:75]
	v_fmac_f64_e32 v[58:59], v[18:19], v[74:75]
	global_load_dwordx4 v[16:19], v[32:33], off
	global_load_dwordx4 v[40:43], v[34:35], off offset:112
	global_load_dwordx4 v[4:7], v[34:35], off offset:96
	;; [unrolled: 1-line block ×5, first 2 shown]
	v_fmac_f64_e32 v[68:69], v[12:13], v[76:77]
	v_fmac_f64_e32 v[66:67], v[14:15], v[76:77]
	global_load_dwordx4 v[12:15], v[32:33], off offset:32
	v_fmac_f64_e32 v[60:61], v[8:9], v[76:77]
	v_fmac_f64_e32 v[58:59], v[10:11], v[76:77]
	global_load_dwordx4 v[8:11], v[80:81], off
	global_load_dwordx4 v[74:77], v[80:81], off offset:16
	v_subrev_u32_e32 v63, s16, v84
	s_waitcnt vmcnt(1)
	v_fmac_f64_e32 v[68:69], v[20:21], v[8:9]
	v_fmac_f64_e32 v[60:61], v[48:49], v[8:9]
	;; [unrolled: 1-line block ×6, first 2 shown]
	s_waitcnt vmcnt(0)
	v_fmac_f64_e32 v[68:69], v[70:71], v[74:75]
	v_fmac_f64_e32 v[60:61], v[0:1], v[74:75]
	v_subrev_u32_e32 v71, s16, v85
	v_lshlrev_b32_e32 v70, 2, v63
	v_fmac_f64_e32 v[66:67], v[22:23], v[8:9]
	v_fmac_f64_e32 v[58:59], v[2:3], v[74:75]
	;; [unrolled: 1-line block ×3, first 2 shown]
	v_lshlrev_b32_e32 v40, 2, v71
	v_ashrrev_i32_e32 v71, 31, v70
	v_fmac_f64_e32 v[66:67], v[46:47], v[10:11]
	v_fmac_f64_e32 v[58:59], v[42:43], v[76:77]
	v_lshlrev_b64 v[42:43], 3, v[70:71]
	v_fmac_f64_e32 v[66:67], v[72:73], v[74:75]
	v_ashrrev_i32_e32 v41, 31, v40
	v_add_co_u32_e32 v74, vcc, s6, v42
	v_lshlrev_b64 v[40:41], 3, v[40:41]
	v_addc_co_u32_e32 v75, vcc, v39, v43, vcc
	global_load_dwordx4 v[20:23], v[32:33], off offset:16
	global_load_dwordx4 v[44:47], v[32:33], off offset:80
	v_add_co_u32_e32 v84, vcc, s6, v40
	global_load_dwordx4 v[48:51], v[32:33], off offset:96
	global_load_dwordx4 v[8:11], v[32:33], off offset:48
	;; [unrolled: 1-line block ×4, first 2 shown]
	global_load_dwordx4 v[0:3], v[36:37], off
	v_fmac_f64_e32 v[68:69], v[4:5], v[76:77]
	global_load_dwordx4 v[32:35], v[36:37], off offset:32
	v_fmac_f64_e32 v[66:67], v[6:7], v[76:77]
	global_load_dwordx4 v[4:7], v[36:37], off offset:16
	v_addc_co_u32_e32 v85, vcc, v39, v41, vcc
	global_load_dwordx4 v[40:43], v[74:75], off
	global_load_dwordx4 v[70:73], v[74:75], off offset:16
	v_add_co_u32_e32 v64, vcc, 0x4000, v64
	v_addc_co_u32_e32 v65, vcc, 0, v65, vcc
	s_waitcnt vmcnt(1)
	v_fmac_f64_e32 v[68:69], v[16:17], v[40:41]
	v_fmac_f64_e32 v[66:67], v[18:19], v[40:41]
	;; [unrolled: 1-line block ×4, first 2 shown]
	global_load_dwordx4 v[16:19], v[36:37], off offset:80
	global_load_dwordx4 v[20:23], v[36:37], off offset:64
	v_fmac_f64_e32 v[68:69], v[12:13], v[42:43]
	v_fmac_f64_e32 v[66:67], v[14:15], v[42:43]
	global_load_dwordx4 v[12:15], v[36:37], off offset:96
	v_fmac_f64_e32 v[60:61], v[8:9], v[42:43]
	v_fmac_f64_e32 v[58:59], v[10:11], v[42:43]
	global_load_dwordx4 v[8:11], v[84:85], off
	global_load_dwordx4 v[40:43], v[84:85], off offset:16
	global_load_dwordx4 v[74:77], v[36:37], off offset:112
	s_waitcnt vmcnt(6)
	v_fmac_f64_e32 v[68:69], v[24:25], v[70:71]
	v_fmac_f64_e32 v[66:67], v[26:27], v[70:71]
	;; [unrolled: 1-line block ×8, first 2 shown]
	s_waitcnt vmcnt(2)
	v_fmac_f64_e32 v[68:69], v[0:1], v[8:9]
	v_fmac_f64_e32 v[66:67], v[2:3], v[8:9]
	;; [unrolled: 1-line block ×8, first 2 shown]
	s_waitcnt vmcnt(1)
	v_fmac_f64_e32 v[68:69], v[20:21], v[40:41]
	v_fmac_f64_e32 v[66:67], v[22:23], v[40:41]
	;; [unrolled: 1-line block ×6, first 2 shown]
	s_waitcnt vmcnt(0)
	v_fmac_f64_e32 v[60:61], v[74:75], v[42:43]
	v_fmac_f64_e32 v[58:59], v[76:77], v[42:43]
	s_andn2_b64 exec, exec, s[10:11]
	s_cbranch_execnz .LBB8_33
; %bb.34:
	s_or_b64 exec, exec, s[10:11]
.LBB8_35:
	s_or_b64 exec, exec, s[8:9]
.LBB8_36:
	s_or_b64 exec, exec, s[2:3]
.LBB8_37:
	v_mov_b32_dpp v0, v68 row_shr:1 row_mask:0xf bank_mask:0xf
	v_mov_b32_dpp v1, v69 row_shr:1 row_mask:0xf bank_mask:0xf
	v_mov_b32_dpp v4, v66 row_shr:1 row_mask:0xf bank_mask:0xf
	v_mov_b32_dpp v5, v67 row_shr:1 row_mask:0xf bank_mask:0xf
	v_mov_b32_dpp v8, v60 row_shr:1 row_mask:0xf bank_mask:0xf
	v_mov_b32_dpp v9, v61 row_shr:1 row_mask:0xf bank_mask:0xf
	v_mov_b32_dpp v12, v58 row_shr:1 row_mask:0xf bank_mask:0xf
	v_mov_b32_dpp v13, v59 row_shr:1 row_mask:0xf bank_mask:0xf
	v_add_f64 v[0:1], v[68:69], v[0:1]
	v_add_f64 v[4:5], v[66:67], v[4:5]
	v_add_f64 v[8:9], v[60:61], v[8:9]
	v_add_f64 v[12:13], v[58:59], v[12:13]
	v_mov_b32_dpp v2, v0 row_shr:2 row_mask:0xf bank_mask:0xf
	v_mov_b32_dpp v3, v1 row_shr:2 row_mask:0xf bank_mask:0xf
	v_mov_b32_dpp v6, v4 row_shr:2 row_mask:0xf bank_mask:0xf
	v_mov_b32_dpp v7, v5 row_shr:2 row_mask:0xf bank_mask:0xf
	v_mov_b32_dpp v10, v8 row_shr:2 row_mask:0xf bank_mask:0xf
	v_mov_b32_dpp v11, v9 row_shr:2 row_mask:0xf bank_mask:0xf
	v_mov_b32_dpp v14, v12 row_shr:2 row_mask:0xf bank_mask:0xf
	v_mov_b32_dpp v15, v13 row_shr:2 row_mask:0xf bank_mask:0xf
	v_add_f64 v[0:1], v[0:1], v[2:3]
	v_add_f64 v[4:5], v[4:5], v[6:7]
	v_add_f64 v[8:9], v[8:9], v[10:11]
	v_add_f64 v[12:13], v[12:13], v[14:15]
	;; [unrolled: 12-line block ×4, first 2 shown]
	v_mov_b32_dpp v2, v0 row_bcast:15 row_mask:0xa bank_mask:0xf
	v_mov_b32_dpp v3, v1 row_bcast:15 row_mask:0xa bank_mask:0xf
	;; [unrolled: 1-line block ×8, first 2 shown]
	v_cmp_eq_u32_e32 vcc, 31, v57
	s_and_b64 exec, exec, vcc
	s_cbranch_execz .LBB8_10
; %bb.38:
	s_load_dwordx2 s[0:1], s[4:5], 0x50
	v_add_f64 v[0:1], v[0:1], v[2:3]
	v_add_f64 v[2:3], v[4:5], v[6:7]
	;; [unrolled: 1-line block ×4, first 2 shown]
	v_cmp_eq_f64_e32 vcc, 0, v[52:53]
	v_mul_f64 v[4:5], v[54:55], v[0:1]
	v_mul_f64 v[6:7], v[54:55], v[2:3]
	;; [unrolled: 1-line block ×4, first 2 shown]
	v_lshlrev_b32_e32 v8, 2, v56
	s_and_saveexec_b64 s[2:3], vcc
	s_xor_b64 s[2:3], exec, s[2:3]
	s_cbranch_execz .LBB8_40
; %bb.39:
	v_ashrrev_i32_e32 v9, 31, v8
	v_lshlrev_b64 v[8:9], 3, v[8:9]
	s_waitcnt lgkmcnt(0)
	v_mov_b32_e32 v10, s1
	v_add_co_u32_e32 v8, vcc, s0, v8
	v_addc_co_u32_e32 v9, vcc, v10, v9, vcc
	global_store_dwordx4 v[8:9], v[4:7], off
	global_store_dwordx4 v[8:9], v[0:3], off offset:16
                                        ; implicit-def: $vgpr8
                                        ; implicit-def: $vgpr52_vgpr53
                                        ; implicit-def: $vgpr4_vgpr5
                                        ; implicit-def: $vgpr0_vgpr1
.LBB8_40:
	s_andn2_saveexec_b64 s[2:3], s[2:3]
	s_cbranch_execz .LBB8_10
; %bb.41:
	v_ashrrev_i32_e32 v9, 31, v8
	v_lshlrev_b64 v[8:9], 3, v[8:9]
	s_waitcnt lgkmcnt(0)
	v_mov_b32_e32 v10, s1
	v_add_co_u32_e32 v16, vcc, s0, v8
	v_addc_co_u32_e32 v17, vcc, v10, v9, vcc
	global_load_dwordx4 v[8:11], v[16:17], off
	global_load_dwordx4 v[12:15], v[16:17], off offset:16
	s_waitcnt vmcnt(1)
	v_fmac_f64_e32 v[4:5], v[52:53], v[8:9]
	v_fmac_f64_e32 v[6:7], v[52:53], v[10:11]
	s_waitcnt vmcnt(0)
	v_fmac_f64_e32 v[0:1], v[52:53], v[12:13]
	v_fmac_f64_e32 v[2:3], v[52:53], v[14:15]
	global_store_dwordx4 v[16:17], v[4:7], off
	global_store_dwordx4 v[16:17], v[0:3], off offset:16
	s_endpgm
	.section	.rodata,"a",@progbits
	.p2align	6, 0x0
	.amdhsa_kernel _ZN9rocsparseL18bsrxmvn_4x4_kernelILj128ELj32EdiidddEEvT3_20rocsparse_direction_NS_24const_host_device_scalarIT1_EES1_PKS1_PKT2_SA_S7_PKT4_PKT5_S5_PT6_21rocsparse_index_base_b
		.amdhsa_group_segment_fixed_size 0
		.amdhsa_private_segment_fixed_size 0
		.amdhsa_kernarg_size 96
		.amdhsa_user_sgpr_count 6
		.amdhsa_user_sgpr_private_segment_buffer 1
		.amdhsa_user_sgpr_dispatch_ptr 0
		.amdhsa_user_sgpr_queue_ptr 0
		.amdhsa_user_sgpr_kernarg_segment_ptr 1
		.amdhsa_user_sgpr_dispatch_id 0
		.amdhsa_user_sgpr_flat_scratch_init 0
		.amdhsa_user_sgpr_kernarg_preload_length 0
		.amdhsa_user_sgpr_kernarg_preload_offset 0
		.amdhsa_user_sgpr_private_segment_size 0
		.amdhsa_uses_dynamic_stack 0
		.amdhsa_system_sgpr_private_segment_wavefront_offset 0
		.amdhsa_system_sgpr_workgroup_id_x 1
		.amdhsa_system_sgpr_workgroup_id_y 0
		.amdhsa_system_sgpr_workgroup_id_z 0
		.amdhsa_system_sgpr_workgroup_info 0
		.amdhsa_system_vgpr_workitem_id 0
		.amdhsa_next_free_vgpr 106
		.amdhsa_next_free_sgpr 22
		.amdhsa_accum_offset 108
		.amdhsa_reserve_vcc 1
		.amdhsa_reserve_flat_scratch 0
		.amdhsa_float_round_mode_32 0
		.amdhsa_float_round_mode_16_64 0
		.amdhsa_float_denorm_mode_32 3
		.amdhsa_float_denorm_mode_16_64 3
		.amdhsa_dx10_clamp 1
		.amdhsa_ieee_mode 1
		.amdhsa_fp16_overflow 0
		.amdhsa_tg_split 0
		.amdhsa_exception_fp_ieee_invalid_op 0
		.amdhsa_exception_fp_denorm_src 0
		.amdhsa_exception_fp_ieee_div_zero 0
		.amdhsa_exception_fp_ieee_overflow 0
		.amdhsa_exception_fp_ieee_underflow 0
		.amdhsa_exception_fp_ieee_inexact 0
		.amdhsa_exception_int_div_zero 0
	.end_amdhsa_kernel
	.section	.text._ZN9rocsparseL18bsrxmvn_4x4_kernelILj128ELj32EdiidddEEvT3_20rocsparse_direction_NS_24const_host_device_scalarIT1_EES1_PKS1_PKT2_SA_S7_PKT4_PKT5_S5_PT6_21rocsparse_index_base_b,"axG",@progbits,_ZN9rocsparseL18bsrxmvn_4x4_kernelILj128ELj32EdiidddEEvT3_20rocsparse_direction_NS_24const_host_device_scalarIT1_EES1_PKS1_PKT2_SA_S7_PKT4_PKT5_S5_PT6_21rocsparse_index_base_b,comdat
.Lfunc_end8:
	.size	_ZN9rocsparseL18bsrxmvn_4x4_kernelILj128ELj32EdiidddEEvT3_20rocsparse_direction_NS_24const_host_device_scalarIT1_EES1_PKS1_PKT2_SA_S7_PKT4_PKT5_S5_PT6_21rocsparse_index_base_b, .Lfunc_end8-_ZN9rocsparseL18bsrxmvn_4x4_kernelILj128ELj32EdiidddEEvT3_20rocsparse_direction_NS_24const_host_device_scalarIT1_EES1_PKS1_PKT2_SA_S7_PKT4_PKT5_S5_PT6_21rocsparse_index_base_b
                                        ; -- End function
	.section	.AMDGPU.csdata,"",@progbits
; Kernel info:
; codeLenInByte = 3876
; NumSgprs: 26
; NumVgprs: 106
; NumAgprs: 0
; TotalNumVgprs: 106
; ScratchSize: 0
; MemoryBound: 1
; FloatMode: 240
; IeeeMode: 1
; LDSByteSize: 0 bytes/workgroup (compile time only)
; SGPRBlocks: 3
; VGPRBlocks: 13
; NumSGPRsForWavesPerEU: 26
; NumVGPRsForWavesPerEU: 106
; AccumOffset: 108
; Occupancy: 4
; WaveLimiterHint : 1
; COMPUTE_PGM_RSRC2:SCRATCH_EN: 0
; COMPUTE_PGM_RSRC2:USER_SGPR: 6
; COMPUTE_PGM_RSRC2:TRAP_HANDLER: 0
; COMPUTE_PGM_RSRC2:TGID_X_EN: 1
; COMPUTE_PGM_RSRC2:TGID_Y_EN: 0
; COMPUTE_PGM_RSRC2:TGID_Z_EN: 0
; COMPUTE_PGM_RSRC2:TIDIG_COMP_CNT: 0
; COMPUTE_PGM_RSRC3_GFX90A:ACCUM_OFFSET: 26
; COMPUTE_PGM_RSRC3_GFX90A:TG_SPLIT: 0
	.section	.text._ZN9rocsparseL18bsrxmvn_4x4_kernelILj128ELj64EdiidddEEvT3_20rocsparse_direction_NS_24const_host_device_scalarIT1_EES1_PKS1_PKT2_SA_S7_PKT4_PKT5_S5_PT6_21rocsparse_index_base_b,"axG",@progbits,_ZN9rocsparseL18bsrxmvn_4x4_kernelILj128ELj64EdiidddEEvT3_20rocsparse_direction_NS_24const_host_device_scalarIT1_EES1_PKS1_PKT2_SA_S7_PKT4_PKT5_S5_PT6_21rocsparse_index_base_b,comdat
	.globl	_ZN9rocsparseL18bsrxmvn_4x4_kernelILj128ELj64EdiidddEEvT3_20rocsparse_direction_NS_24const_host_device_scalarIT1_EES1_PKS1_PKT2_SA_S7_PKT4_PKT5_S5_PT6_21rocsparse_index_base_b ; -- Begin function _ZN9rocsparseL18bsrxmvn_4x4_kernelILj128ELj64EdiidddEEvT3_20rocsparse_direction_NS_24const_host_device_scalarIT1_EES1_PKS1_PKT2_SA_S7_PKT4_PKT5_S5_PT6_21rocsparse_index_base_b
	.p2align	8
	.type	_ZN9rocsparseL18bsrxmvn_4x4_kernelILj128ELj64EdiidddEEvT3_20rocsparse_direction_NS_24const_host_device_scalarIT1_EES1_PKS1_PKT2_SA_S7_PKT4_PKT5_S5_PT6_21rocsparse_index_base_b,@function
_ZN9rocsparseL18bsrxmvn_4x4_kernelILj128ELj64EdiidddEEvT3_20rocsparse_direction_NS_24const_host_device_scalarIT1_EES1_PKS1_PKT2_SA_S7_PKT4_PKT5_S5_PT6_21rocsparse_index_base_b: ; @_ZN9rocsparseL18bsrxmvn_4x4_kernelILj128ELj64EdiidddEEvT3_20rocsparse_direction_NS_24const_host_device_scalarIT1_EES1_PKS1_PKT2_SA_S7_PKT4_PKT5_S5_PT6_21rocsparse_index_base_b
; %bb.0:
	s_load_dwordx2 s[2:3], s[4:5], 0x58
	s_load_dwordx2 s[10:11], s[4:5], 0x8
	;; [unrolled: 1-line block ×3, first 2 shown]
	s_waitcnt lgkmcnt(0)
	s_bitcmp1_b32 s3, 0
	s_cselect_b64 s[12:13], -1, 0
	s_xor_b64 s[8:9], s[12:13], -1
	s_and_b64 vcc, exec, s[12:13]
	v_pk_mov_b32 v[46:47], s[10:11], s[10:11] op_sel:[0,1]
	s_cbranch_vccnz .LBB9_2
; %bb.1:
	v_pk_mov_b32 v[2:3], s[10:11], s[10:11] op_sel:[0,1]
	flat_load_dwordx2 v[46:47], v[2:3]
.LBB9_2:
	s_andn2_b64 vcc, exec, s[8:9]
	v_pk_mov_b32 v[44:45], s[0:1], s[0:1] op_sel:[0,1]
	s_cbranch_vccnz .LBB9_4
; %bb.3:
	v_pk_mov_b32 v[2:3], s[0:1], s[0:1] op_sel:[0,1]
	flat_load_dwordx2 v[44:45], v[2:3]
.LBB9_4:
	s_waitcnt vmcnt(0) lgkmcnt(0)
	v_cmp_neq_f64_e32 vcc, 0, v[46:47]
	v_cmp_neq_f64_e64 s[0:1], 1.0, v[44:45]
	s_mov_b64 s[8:9], 0
	s_or_b64 s[0:1], vcc, s[0:1]
	s_and_saveexec_b64 s[10:11], s[0:1]
	s_cbranch_execz .LBB9_10
; %bb.5:
	s_load_dwordx2 s[10:11], s[4:5], 0x18
	s_load_dwordx2 s[0:1], s[4:5], 0x0
	v_lshrrev_b32_e32 v1, 6, v0
	v_lshl_or_b32 v48, s6, 1, v1
	s_mov_b64 s[6:7], 0
	s_waitcnt lgkmcnt(0)
	s_cmp_lg_u64 s[10:11], 0
	s_cbranch_scc0 .LBB9_11
; %bb.6:
	s_load_dword s3, s[4:5], 0x10
                                        ; implicit-def: $vgpr1
	s_waitcnt lgkmcnt(0)
	v_cmp_gt_i32_e32 vcc, s3, v48
	s_and_saveexec_b64 s[8:9], vcc
	s_xor_b64 s[8:9], exec, s[8:9]
	s_cbranch_execz .LBB9_8
; %bb.7:
	v_ashrrev_i32_e32 v49, 31, v48
	v_lshlrev_b64 v[2:3], 2, v[48:49]
	v_mov_b32_e32 v1, s11
	v_add_co_u32_e32 v2, vcc, s10, v2
	v_addc_co_u32_e32 v3, vcc, v1, v3, vcc
	global_load_dword v1, v[2:3], off
	s_mov_b64 s[6:7], exec
	s_waitcnt vmcnt(0)
	v_subrev_u32_e32 v1, s2, v1
.LBB9_8:
	s_or_b64 exec, exec, s[8:9]
	s_mov_b64 s[8:9], s[6:7]
	s_branch .LBB9_12
.LBB9_9:
	v_cmp_gt_i32_e32 vcc, s0, v48
	s_andn2_b64 s[6:7], s[8:9], exec
	s_and_b64 s[8:9], vcc, exec
	s_or_b64 s[8:9], s[6:7], s[8:9]
	s_and_b64 exec, exec, s[8:9]
	s_cbranch_execnz .LBB9_13
.LBB9_10:
	s_endpgm
.LBB9_11:
                                        ; implicit-def: $vgpr1
	s_cbranch_execnz .LBB9_9
.LBB9_12:
	v_mov_b32_e32 v48, v1
	s_and_b64 exec, exec, s[8:9]
	s_cbranch_execz .LBB9_10
.LBB9_13:
	s_load_dwordx8 s[8:15], s[4:5], 0x20
	v_ashrrev_i32_e32 v49, 31, v48
	v_lshlrev_b64 v[2:3], 2, v[48:49]
	v_and_b32_e32 v49, 63, v0
	s_load_dwordx2 s[6:7], s[4:5], 0x40
	s_waitcnt lgkmcnt(0)
	v_mov_b32_e32 v1, s9
	v_add_co_u32_e32 v4, vcc, s8, v2
	v_addc_co_u32_e32 v5, vcc, v1, v3, vcc
	v_add_co_u32_e32 v1, vcc, 4, v4
	global_load_dword v73, v[4:5], off
	v_addc_co_u32_e32 v4, vcc, 0, v5, vcc
	v_mov_b32_e32 v5, s11
	v_add_co_u32_e32 v2, vcc, s10, v2
	s_cmp_eq_u64 s[10:11], 0
	v_addc_co_u32_e32 v3, vcc, v5, v3, vcc
	s_cselect_b64 vcc, -1, 0
	v_cndmask_b32_e32 v3, v3, v4, vcc
	v_cndmask_b32_e32 v2, v2, v1, vcc
	global_load_dword v1, v[2:3], off
	v_mov_b32_e32 v2, s15
	s_cmp_eq_u32 s1, 1
	s_waitcnt vmcnt(1)
	v_subrev_u32_e32 v0, s2, v73
	v_add_u32_e32 v54, v0, v49
	v_ashrrev_i32_e32 v55, 31, v54
	s_waitcnt vmcnt(0)
	v_subrev_u32_e32 v72, s2, v1
	v_lshlrev_b64 v[0:1], 7, v[54:55]
	v_add_co_u32_e32 v56, vcc, s14, v0
	v_addc_co_u32_e32 v57, vcc, v2, v1, vcc
	v_cmp_lt_i32_e64 s[0:1], v54, v72
	s_cbranch_scc1 .LBB9_25
; %bb.14:
	v_pk_mov_b32 v[50:51], 0, 0
	s_mov_b64 s[8:9], 0
	v_pk_mov_b32 v[52:53], v[50:51], v[50:51] op_sel:[0,1]
	v_pk_mov_b32 v[58:59], v[50:51], v[50:51] op_sel:[0,1]
	;; [unrolled: 1-line block ×3, first 2 shown]
	s_and_saveexec_b64 s[10:11], s[0:1]
	s_cbranch_execz .LBB9_24
; %bb.15:
	v_add_u32_e32 v0, v73, v49
	v_subrev_u32_e32 v0, s2, v0
	v_add_u32_e32 v0, 64, v0
	v_max_i32_e32 v0, v0, v72
	v_not_b32_e32 v1, v73
	v_add3_u32 v0, v0, s2, v1
	v_sub_u32_e32 v0, v0, v49
	v_lshrrev_b32_e32 v1, 6, v0
	v_add_u32_e32 v1, 1, v1
	v_and_b32_e32 v1, 3, v1
	v_pk_mov_b32 v[60:61], 0, 0
	v_cmp_ne_u32_e32 vcc, 0, v1
	v_pk_mov_b32 v[58:59], v[60:61], v[60:61] op_sel:[0,1]
	v_pk_mov_b32 v[52:53], v[60:61], v[60:61] op_sel:[0,1]
	;; [unrolled: 1-line block ×3, first 2 shown]
	v_mov_b32_e32 v62, v54
	v_pk_mov_b32 v[64:65], v[56:57], v[56:57] op_sel:[0,1]
	s_and_saveexec_b64 s[14:15], vcc
	s_cbranch_execz .LBB9_19
; %bb.16:
	v_pk_mov_b32 v[50:51], 0, 0
	v_lshlrev_b32_e32 v1, 7, v1
	s_mov_b64 s[16:17], 0
	v_mov_b32_e32 v2, s13
	v_mov_b32_e32 v3, s7
	v_pk_mov_b32 v[64:65], v[56:57], v[56:57] op_sel:[0,1]
	v_mov_b32_e32 v62, v54
	v_pk_mov_b32 v[52:53], v[50:51], v[50:51] op_sel:[0,1]
	v_pk_mov_b32 v[58:59], v[50:51], v[50:51] op_sel:[0,1]
	;; [unrolled: 1-line block ×3, first 2 shown]
.LBB9_17:                               ; =>This Inner Loop Header: Depth=1
	v_ashrrev_i32_e32 v63, 31, v62
	v_lshlrev_b64 v[4:5], 2, v[62:63]
	v_add_co_u32_e32 v36, vcc, s12, v4
	v_addc_co_u32_e32 v37, vcc, v2, v5, vcc
	global_load_dword v38, v[36:37], off
	global_load_dwordx4 v[4:7], v[64:65], off offset:48
	global_load_dwordx4 v[8:11], v[64:65], off offset:32
	;; [unrolled: 1-line block ×3, first 2 shown]
	global_load_dwordx4 v[16:19], v[64:65], off
	global_load_dwordx4 v[20:23], v[64:65], off offset:112
	global_load_dwordx4 v[24:27], v[64:65], off offset:96
	;; [unrolled: 1-line block ×4, first 2 shown]
	v_add_u32_e32 v1, 0xffffff80, v1
	v_add_u32_e32 v62, 64, v62
	s_waitcnt vmcnt(8)
	v_subrev_u32_e32 v36, s2, v38
	v_lshlrev_b32_e32 v36, 2, v36
	v_ashrrev_i32_e32 v37, 31, v36
	v_lshlrev_b64 v[36:37], 3, v[36:37]
	v_add_co_u32_e32 v66, vcc, s6, v36
	v_addc_co_u32_e32 v67, vcc, v3, v37, vcc
	global_load_dwordx4 v[36:39], v[66:67], off
	global_load_dwordx4 v[40:43], v[66:67], off offset:16
	v_add_co_u32_e32 v64, vcc, 0x2000, v64
	v_addc_co_u32_e32 v65, vcc, 0, v65, vcc
	v_cmp_eq_u32_e32 vcc, 0, v1
	s_or_b64 s[16:17], vcc, s[16:17]
	s_waitcnt vmcnt(1)
	v_fmac_f64_e32 v[60:61], v[16:17], v[36:37]
	v_fmac_f64_e32 v[58:59], v[8:9], v[36:37]
	;; [unrolled: 1-line block ×8, first 2 shown]
	s_waitcnt vmcnt(0)
	v_fmac_f64_e32 v[60:61], v[12:13], v[40:41]
	v_fmac_f64_e32 v[58:59], v[4:5], v[40:41]
	v_fmac_f64_e32 v[52:53], v[28:29], v[40:41]
	v_fmac_f64_e32 v[50:51], v[20:21], v[40:41]
	v_fmac_f64_e32 v[60:61], v[14:15], v[42:43]
	v_fmac_f64_e32 v[58:59], v[6:7], v[42:43]
	v_fmac_f64_e32 v[52:53], v[30:31], v[42:43]
	v_fmac_f64_e32 v[50:51], v[22:23], v[42:43]
	s_andn2_b64 exec, exec, s[16:17]
	s_cbranch_execnz .LBB9_17
; %bb.18:
	s_or_b64 exec, exec, s[16:17]
.LBB9_19:
	s_or_b64 exec, exec, s[14:15]
	s_movk_i32 s3, 0xbf
	v_cmp_lt_u32_e32 vcc, s3, v0
	s_and_saveexec_b64 s[14:15], vcc
	s_cbranch_execz .LBB9_23
; %bb.20:
	s_mov_b64 s[16:17], 0
	v_mov_b32_e32 v55, s13
	v_mov_b32_e32 v74, s7
	s_movk_i32 s3, 0x2000
	s_movk_i32 s18, 0x4000
	;; [unrolled: 1-line block ×3, first 2 shown]
.LBB9_21:                               ; =>This Inner Loop Header: Depth=1
	v_add_co_u32_e32 v66, vcc, s3, v64
	v_addc_co_u32_e32 v67, vcc, 0, v65, vcc
	v_add_co_u32_e32 v70, vcc, s18, v64
	v_addc_co_u32_e32 v71, vcc, 0, v65, vcc
	v_ashrrev_i32_e32 v63, 31, v62
	v_add_co_u32_e32 v68, vcc, s19, v64
	v_addc_co_u32_e32 v69, vcc, 0, v65, vcc
	v_lshlrev_b64 v[92:93], 2, v[62:63]
	v_add_co_u32_e32 v92, vcc, s12, v92
	v_addc_co_u32_e32 v93, vcc, v55, v93, vcc
	global_load_dwordx4 v[0:3], v[64:65], off offset:48
	global_load_dwordx4 v[8:11], v[64:65], off offset:32
	;; [unrolled: 1-line block ×3, first 2 shown]
	global_load_dwordx4 v[12:15], v[64:65], off
	global_load_dwordx4 v[16:19], v[64:65], off offset:112
	global_load_dwordx4 v[24:27], v[64:65], off offset:96
	;; [unrolled: 1-line block ×6, first 2 shown]
	global_load_dwordx4 v[80:83], v[66:67], off
	global_load_dwordx4 v[40:43], v[66:67], off offset:16
	global_load_dwordx4 v[36:39], v[66:67], off offset:112
	;; [unrolled: 1-line block ×4, first 2 shown]
	global_load_dword v63, v[92:93], off
	global_load_dword v75, v[92:93], off offset:256
	global_load_dword v104, v[92:93], off offset:512
	;; [unrolled: 1-line block ×3, first 2 shown]
	v_add_u32_e32 v62, 0x100, v62
	s_waitcnt vmcnt(3)
	v_subrev_u32_e32 v63, s2, v63
	v_lshlrev_b32_e32 v92, 2, v63
	v_ashrrev_i32_e32 v93, 31, v92
	v_lshlrev_b64 v[92:93], 3, v[92:93]
	v_add_co_u32_e32 v100, vcc, s6, v92
	v_addc_co_u32_e32 v101, vcc, v74, v93, vcc
	global_load_dwordx4 v[92:95], v[100:101], off
	global_load_dwordx4 v[96:99], v[100:101], off offset:16
	s_waitcnt vmcnt(4)
	v_subrev_u32_e32 v63, s2, v75
	s_waitcnt vmcnt(1)
	v_fmac_f64_e32 v[50:51], v[24:25], v[92:93]
	v_fmac_f64_e32 v[50:51], v[26:27], v[94:95]
	s_waitcnt vmcnt(0)
	v_fmac_f64_e32 v[50:51], v[16:17], v[96:97]
	v_lshlrev_b32_e32 v16, 2, v63
	v_ashrrev_i32_e32 v17, 31, v16
	v_fmac_f64_e32 v[60:61], v[12:13], v[92:93]
	v_fmac_f64_e32 v[58:59], v[8:9], v[92:93]
	;; [unrolled: 1-line block ×3, first 2 shown]
	v_lshlrev_b64 v[16:17], 3, v[16:17]
	v_fmac_f64_e32 v[60:61], v[14:15], v[94:95]
	global_load_dwordx4 v[12:15], v[66:67], off offset:64
	v_fmac_f64_e32 v[58:59], v[10:11], v[94:95]
	v_fmac_f64_e32 v[52:53], v[30:31], v[94:95]
	global_load_dwordx4 v[28:31], v[70:71], off offset:32
	v_add_co_u32_e32 v66, vcc, s6, v16
	v_fmac_f64_e32 v[60:61], v[4:5], v[96:97]
	v_fmac_f64_e32 v[58:59], v[0:1], v[96:97]
	;; [unrolled: 1-line block ×3, first 2 shown]
	v_addc_co_u32_e32 v67, vcc, v74, v17, vcc
	global_load_dwordx4 v[8:11], v[70:71], off offset:48
	global_load_dwordx4 v[24:27], v[70:71], off
	global_load_dwordx4 v[92:95], v[70:71], off offset:16
	v_fmac_f64_e32 v[60:61], v[6:7], v[98:99]
	global_load_dwordx4 v[4:7], v[70:71], off offset:112
	v_fmac_f64_e32 v[58:59], v[2:3], v[98:99]
	;; [unrolled: 2-line block ×3, first 2 shown]
	global_load_dwordx4 v[20:23], v[70:71], off offset:80
	global_load_dwordx4 v[100:103], v[70:71], off offset:64
	v_fmac_f64_e32 v[50:51], v[18:19], v[98:99]
	global_load_dwordx4 v[16:19], v[66:67], off
	global_load_dwordx4 v[96:99], v[66:67], off offset:16
	v_subrev_u32_e32 v63, s2, v104
	v_subrev_u32_e32 v67, s2, v105
	v_lshlrev_b32_e32 v66, 2, v63
	v_lshlrev_b32_e32 v70, 2, v67
	v_ashrrev_i32_e32 v67, 31, v66
	v_lshlrev_b64 v[66:67], 3, v[66:67]
	v_add_co_u32_e32 v104, vcc, s6, v66
	v_addc_co_u32_e32 v105, vcc, v74, v67, vcc
	v_ashrrev_i32_e32 v71, 31, v70
	v_lshlrev_b64 v[70:71], 3, v[70:71]
	v_add_co_u32_e32 v70, vcc, s6, v70
	v_addc_co_u32_e32 v71, vcc, v74, v71, vcc
	v_add_co_u32_e32 v64, vcc, 0x8000, v64
	v_addc_co_u32_e32 v65, vcc, 0, v65, vcc
	v_cmp_ge_i32_e32 vcc, v62, v72
	s_or_b64 s[16:17], vcc, s[16:17]
	s_waitcnt vmcnt(1)
	v_fmac_f64_e32 v[60:61], v[80:81], v[16:17]
	v_fmac_f64_e32 v[58:59], v[76:77], v[16:17]
	;; [unrolled: 1-line block ×8, first 2 shown]
	s_waitcnt vmcnt(0)
	v_fmac_f64_e32 v[60:61], v[40:41], v[96:97]
	v_fmac_f64_e32 v[58:59], v[32:33], v[96:97]
	;; [unrolled: 1-line block ×4, first 2 shown]
	global_load_dwordx4 v[80:83], v[68:69], off
	global_load_dwordx4 v[12:15], v[68:69], off offset:32
	global_load_dwordx4 v[76:79], v[68:69], off offset:48
	;; [unrolled: 1-line block ×4, first 2 shown]
	v_fmac_f64_e32 v[60:61], v[42:43], v[98:99]
	global_load_dwordx4 v[40:43], v[68:69], off offset:80
	v_fmac_f64_e32 v[58:59], v[34:35], v[98:99]
	global_load_dwordx4 v[32:35], v[68:69], off offset:64
	;; [unrolled: 2-line block ×3, first 2 shown]
	v_fmac_f64_e32 v[50:51], v[38:39], v[98:99]
	global_load_dwordx4 v[36:39], v[104:105], off
	global_load_dwordx4 v[88:91], v[104:105], off offset:16
	s_waitcnt vmcnt(1)
	v_fmac_f64_e32 v[60:61], v[24:25], v[36:37]
	v_fmac_f64_e32 v[60:61], v[26:27], v[38:39]
	global_load_dwordx4 v[24:27], v[70:71], off
	global_load_dwordx4 v[96:99], v[70:71], off offset:16
	v_fmac_f64_e32 v[58:59], v[28:29], v[36:37]
	v_fmac_f64_e32 v[52:53], v[100:101], v[36:37]
	v_fmac_f64_e32 v[50:51], v[0:1], v[36:37]
	v_fmac_f64_e32 v[58:59], v[30:31], v[38:39]
	v_fmac_f64_e32 v[52:53], v[102:103], v[38:39]
	v_fmac_f64_e32 v[50:51], v[2:3], v[38:39]
	s_waitcnt vmcnt(2)
	v_fmac_f64_e32 v[60:61], v[92:93], v[88:89]
	v_fmac_f64_e32 v[58:59], v[8:9], v[88:89]
	v_fmac_f64_e32 v[52:53], v[20:21], v[88:89]
	v_fmac_f64_e32 v[50:51], v[4:5], v[88:89]
	v_fmac_f64_e32 v[60:61], v[94:95], v[90:91]
	v_fmac_f64_e32 v[58:59], v[10:11], v[90:91]
	v_fmac_f64_e32 v[52:53], v[22:23], v[90:91]
	v_fmac_f64_e32 v[50:51], v[6:7], v[90:91]
	s_waitcnt vmcnt(1)
	v_fmac_f64_e32 v[60:61], v[80:81], v[24:25]
	v_fmac_f64_e32 v[58:59], v[12:13], v[24:25]
	;; [unrolled: 9-line block ×3, first 2 shown]
	v_fmac_f64_e32 v[52:53], v[40:41], v[96:97]
	v_fmac_f64_e32 v[50:51], v[16:17], v[96:97]
	;; [unrolled: 1-line block ×6, first 2 shown]
	s_andn2_b64 exec, exec, s[16:17]
	s_cbranch_execnz .LBB9_21
; %bb.22:
	s_or_b64 exec, exec, s[16:17]
.LBB9_23:
	s_or_b64 exec, exec, s[14:15]
.LBB9_24:
	s_or_b64 exec, exec, s[10:11]
	s_andn2_b64 vcc, exec, s[8:9]
	s_cbranch_vccz .LBB9_26
	s_branch .LBB9_37
.LBB9_25:
                                        ; implicit-def: $vgpr50_vgpr51
                                        ; implicit-def: $vgpr52_vgpr53
                                        ; implicit-def: $vgpr58_vgpr59
                                        ; implicit-def: $vgpr60_vgpr61
.LBB9_26:
	v_pk_mov_b32 v[50:51], 0, 0
	v_pk_mov_b32 v[52:53], v[50:51], v[50:51] op_sel:[0,1]
	v_pk_mov_b32 v[58:59], v[50:51], v[50:51] op_sel:[0,1]
	v_pk_mov_b32 v[60:61], v[50:51], v[50:51] op_sel:[0,1]
	s_and_saveexec_b64 s[8:9], s[0:1]
	s_cbranch_execz .LBB9_36
; %bb.27:
	v_add_u32_e32 v0, v73, v49
	v_subrev_u32_e32 v0, s2, v0
	v_add_u32_e32 v0, 64, v0
	v_max_i32_e32 v0, v0, v72
	v_not_b32_e32 v1, v73
	v_add3_u32 v0, v0, s2, v1
	v_sub_u32_e32 v0, v0, v49
	v_lshrrev_b32_e32 v1, 6, v0
	v_add_u32_e32 v1, 1, v1
	v_and_b32_e32 v1, 3, v1
	v_pk_mov_b32 v[60:61], 0, 0
	v_cmp_ne_u32_e32 vcc, 0, v1
	v_pk_mov_b32 v[58:59], v[60:61], v[60:61] op_sel:[0,1]
	v_pk_mov_b32 v[52:53], v[60:61], v[60:61] op_sel:[0,1]
	;; [unrolled: 1-line block ×3, first 2 shown]
	s_and_saveexec_b64 s[0:1], vcc
	s_cbranch_execz .LBB9_31
; %bb.28:
	v_pk_mov_b32 v[50:51], 0, 0
	v_lshlrev_b32_e32 v1, 7, v1
	s_mov_b64 s[10:11], 0
	v_mov_b32_e32 v2, s13
	v_mov_b32_e32 v3, s7
	v_pk_mov_b32 v[52:53], v[50:51], v[50:51] op_sel:[0,1]
	v_pk_mov_b32 v[58:59], v[50:51], v[50:51] op_sel:[0,1]
	;; [unrolled: 1-line block ×3, first 2 shown]
.LBB9_29:                               ; =>This Inner Loop Header: Depth=1
	v_ashrrev_i32_e32 v55, 31, v54
	v_lshlrev_b64 v[4:5], 2, v[54:55]
	v_add_co_u32_e32 v28, vcc, s12, v4
	v_addc_co_u32_e32 v29, vcc, v2, v5, vcc
	global_load_dword v30, v[28:29], off
	global_load_dwordx4 v[4:7], v[56:57], off offset:48
	global_load_dwordx4 v[8:11], v[56:57], off offset:32
	;; [unrolled: 1-line block ×3, first 2 shown]
	global_load_dwordx4 v[16:19], v[56:57], off
	global_load_dwordx4 v[20:23], v[56:57], off offset:80
	global_load_dwordx4 v[24:27], v[56:57], off offset:64
	v_add_u32_e32 v1, 0xffffff80, v1
	v_add_u32_e32 v54, 64, v54
	s_waitcnt vmcnt(6)
	v_subrev_u32_e32 v28, s2, v30
	v_lshlrev_b32_e32 v28, 2, v28
	v_ashrrev_i32_e32 v29, 31, v28
	v_lshlrev_b64 v[28:29], 3, v[28:29]
	v_add_co_u32_e32 v62, vcc, s6, v28
	v_addc_co_u32_e32 v63, vcc, v3, v29, vcc
	global_load_dwordx4 v[28:31], v[62:63], off
	global_load_dwordx4 v[32:35], v[62:63], off offset:16
	global_load_dwordx4 v[36:39], v[56:57], off offset:96
	;; [unrolled: 1-line block ×3, first 2 shown]
	v_add_co_u32_e32 v56, vcc, 0x2000, v56
	v_addc_co_u32_e32 v57, vcc, 0, v57, vcc
	v_cmp_eq_u32_e32 vcc, 0, v1
	s_or_b64 s[10:11], vcc, s[10:11]
	s_waitcnt vmcnt(3)
	v_fmac_f64_e32 v[60:61], v[16:17], v[28:29]
	v_fmac_f64_e32 v[58:59], v[18:19], v[28:29]
	;; [unrolled: 1-line block ×8, first 2 shown]
	s_waitcnt vmcnt(2)
	v_fmac_f64_e32 v[60:61], v[24:25], v[32:33]
	v_fmac_f64_e32 v[58:59], v[26:27], v[32:33]
	;; [unrolled: 1-line block ×4, first 2 shown]
	s_waitcnt vmcnt(1)
	v_fmac_f64_e32 v[60:61], v[36:37], v[34:35]
	v_fmac_f64_e32 v[58:59], v[38:39], v[34:35]
	s_waitcnt vmcnt(0)
	v_fmac_f64_e32 v[52:53], v[40:41], v[34:35]
	v_fmac_f64_e32 v[50:51], v[42:43], v[34:35]
	s_andn2_b64 exec, exec, s[10:11]
	s_cbranch_execnz .LBB9_29
; %bb.30:
	s_or_b64 exec, exec, s[10:11]
.LBB9_31:
	s_or_b64 exec, exec, s[0:1]
	s_movk_i32 s0, 0xbf
	v_cmp_lt_u32_e32 vcc, s0, v0
	s_and_saveexec_b64 s[0:1], vcc
	s_cbranch_execz .LBB9_35
; %bb.32:
	s_mov_b64 s[10:11], 0
	v_mov_b32_e32 v38, s13
	v_mov_b32_e32 v39, s7
	s_movk_i32 s3, 0x2000
	s_movk_i32 s7, 0x4000
	;; [unrolled: 1-line block ×3, first 2 shown]
.LBB9_33:                               ; =>This Inner Loop Header: Depth=1
	v_add_co_u32_e32 v32, vcc, s3, v56
	v_addc_co_u32_e32 v33, vcc, 0, v57, vcc
	v_add_co_u32_e32 v36, vcc, s7, v56
	v_addc_co_u32_e32 v37, vcc, 0, v57, vcc
	v_ashrrev_i32_e32 v55, 31, v54
	v_add_co_u32_e32 v34, vcc, s13, v56
	v_addc_co_u32_e32 v35, vcc, 0, v57, vcc
	v_lshlrev_b64 v[70:71], 2, v[54:55]
	v_add_co_u32_e32 v70, vcc, s12, v70
	v_addc_co_u32_e32 v71, vcc, v38, v71, vcc
	global_load_dwordx4 v[0:3], v[56:57], off offset:48
	global_load_dwordx4 v[4:7], v[56:57], off offset:32
	;; [unrolled: 1-line block ×3, first 2 shown]
	global_load_dwordx4 v[12:15], v[56:57], off
	global_load_dwordx4 v[16:19], v[56:57], off offset:112
	global_load_dwordx4 v[20:23], v[56:57], off offset:96
	;; [unrolled: 1-line block ×6, first 2 shown]
	global_load_dwordx4 v[66:69], v[32:33], off
	global_load_dword v55, v[70:71], off
	global_load_dword v73, v[70:71], off offset:256
	global_load_dword v86, v[70:71], off offset:512
	;; [unrolled: 1-line block ×3, first 2 shown]
	v_add_u32_e32 v54, 0x100, v54
	s_waitcnt vmcnt(3)
	v_subrev_u32_e32 v55, s2, v55
	v_lshlrev_b32_e32 v70, 2, v55
	v_ashrrev_i32_e32 v71, 31, v70
	v_lshlrev_b64 v[70:71], 3, v[70:71]
	v_add_co_u32_e32 v70, vcc, s6, v70
	v_addc_co_u32_e32 v71, vcc, v39, v71, vcc
	global_load_dwordx4 v[74:77], v[70:71], off
	global_load_dwordx4 v[78:81], v[70:71], off offset:16
	s_waitcnt vmcnt(4)
	v_subrev_u32_e32 v55, s2, v73
	v_lshlrev_b32_e32 v70, 2, v55
	v_ashrrev_i32_e32 v71, 31, v70
	v_lshlrev_b64 v[70:71], 3, v[70:71]
	v_add_co_u32_e32 v70, vcc, s6, v70
	v_addc_co_u32_e32 v71, vcc, v39, v71, vcc
	s_waitcnt vmcnt(1)
	v_fmac_f64_e32 v[60:61], v[12:13], v[74:75]
	v_fmac_f64_e32 v[58:59], v[14:15], v[74:75]
	;; [unrolled: 1-line block ×8, first 2 shown]
	global_load_dwordx4 v[12:15], v[32:33], off offset:16
	global_load_dwordx4 v[74:77], v[32:33], off offset:64
	s_waitcnt vmcnt(2)
	v_fmac_f64_e32 v[60:61], v[28:29], v[78:79]
	v_fmac_f64_e32 v[58:59], v[30:31], v[78:79]
	;; [unrolled: 1-line block ×4, first 2 shown]
	global_load_dwordx4 v[8:11], v[32:33], off offset:112
	global_load_dwordx4 v[4:7], v[32:33], off offset:96
	;; [unrolled: 1-line block ×5, first 2 shown]
	v_fmac_f64_e32 v[60:61], v[20:21], v[80:81]
	v_fmac_f64_e32 v[58:59], v[22:23], v[80:81]
	global_load_dwordx4 v[20:23], v[36:37], off
	v_fmac_f64_e32 v[52:53], v[16:17], v[80:81]
	v_fmac_f64_e32 v[50:51], v[18:19], v[80:81]
	global_load_dwordx4 v[16:19], v[70:71], off
	global_load_dwordx4 v[78:81], v[70:71], off offset:16
	v_subrev_u32_e32 v32, s2, v86
	v_subrev_u32_e32 v33, s2, v87
	v_lshlrev_b32_e32 v32, 2, v32
	s_waitcnt vmcnt(1)
	v_fmac_f64_e32 v[52:53], v[12:13], v[16:17]
	v_fmac_f64_e32 v[50:51], v[14:15], v[16:17]
	;; [unrolled: 1-line block ×4, first 2 shown]
	s_waitcnt vmcnt(0)
	v_fmac_f64_e32 v[52:53], v[0:1], v[78:79]
	v_fmac_f64_e32 v[50:51], v[2:3], v[78:79]
	;; [unrolled: 1-line block ×3, first 2 shown]
	v_lshlrev_b32_e32 v8, 2, v33
	v_ashrrev_i32_e32 v33, 31, v32
	v_fmac_f64_e32 v[50:51], v[10:11], v[80:81]
	v_lshlrev_b64 v[10:11], 3, v[32:33]
	v_fmac_f64_e32 v[60:61], v[66:67], v[16:17]
	v_fmac_f64_e32 v[58:59], v[68:69], v[16:17]
	v_ashrrev_i32_e32 v9, 31, v8
	v_add_co_u32_e32 v32, vcc, s6, v10
	v_fmac_f64_e32 v[60:61], v[62:63], v[18:19]
	v_fmac_f64_e32 v[58:59], v[64:65], v[18:19]
	v_lshlrev_b64 v[8:9], 3, v[8:9]
	v_addc_co_u32_e32 v33, vcc, v39, v11, vcc
	global_load_dwordx4 v[66:69], v[36:37], off offset:16
	global_load_dwordx4 v[62:65], v[36:37], off offset:96
	;; [unrolled: 1-line block ×6, first 2 shown]
	v_fmac_f64_e32 v[60:61], v[74:75], v[78:79]
	v_fmac_f64_e32 v[58:59], v[76:77], v[78:79]
	v_add_co_u32_e32 v36, vcc, s6, v8
	global_load_dwordx4 v[74:77], v[34:35], off offset:32
	global_load_dwordx4 v[0:3], v[34:35], off
	v_fmac_f64_e32 v[60:61], v[4:5], v[80:81]
	v_fmac_f64_e32 v[58:59], v[6:7], v[80:81]
	global_load_dwordx4 v[4:7], v[34:35], off offset:16
	v_addc_co_u32_e32 v37, vcc, v39, v9, vcc
	global_load_dwordx4 v[8:11], v[32:33], off
	global_load_dwordx4 v[78:81], v[32:33], off offset:16
	v_add_co_u32_e32 v56, vcc, 0x8000, v56
	v_addc_co_u32_e32 v57, vcc, 0, v57, vcc
	v_cmp_ge_i32_e32 vcc, v54, v72
	s_or_b64 s[10:11], vcc, s[10:11]
	s_waitcnt vmcnt(1)
	v_fmac_f64_e32 v[60:61], v[20:21], v[8:9]
	v_fmac_f64_e32 v[58:59], v[22:23], v[8:9]
	;; [unrolled: 1-line block ×4, first 2 shown]
	global_load_dwordx4 v[20:23], v[34:35], off offset:80
	global_load_dwordx4 v[66:69], v[34:35], off offset:64
	v_fmac_f64_e32 v[60:61], v[24:25], v[10:11]
	v_fmac_f64_e32 v[58:59], v[26:27], v[10:11]
	global_load_dwordx4 v[24:27], v[34:35], off offset:96
	v_fmac_f64_e32 v[52:53], v[28:29], v[10:11]
	v_fmac_f64_e32 v[50:51], v[30:31], v[10:11]
	global_load_dwordx4 v[8:11], v[36:37], off
	global_load_dwordx4 v[28:31], v[36:37], off offset:16
	global_load_dwordx4 v[86:89], v[34:35], off offset:112
	s_waitcnt vmcnt(6)
	v_fmac_f64_e32 v[60:61], v[40:41], v[78:79]
	v_fmac_f64_e32 v[58:59], v[42:43], v[78:79]
	;; [unrolled: 1-line block ×8, first 2 shown]
	s_waitcnt vmcnt(2)
	v_fmac_f64_e32 v[60:61], v[0:1], v[8:9]
	v_fmac_f64_e32 v[58:59], v[2:3], v[8:9]
	;; [unrolled: 1-line block ×8, first 2 shown]
	s_waitcnt vmcnt(1)
	v_fmac_f64_e32 v[60:61], v[66:67], v[28:29]
	v_fmac_f64_e32 v[58:59], v[68:69], v[28:29]
	;; [unrolled: 1-line block ×6, first 2 shown]
	s_waitcnt vmcnt(0)
	v_fmac_f64_e32 v[52:53], v[86:87], v[30:31]
	v_fmac_f64_e32 v[50:51], v[88:89], v[30:31]
	s_andn2_b64 exec, exec, s[10:11]
	s_cbranch_execnz .LBB9_33
; %bb.34:
	s_or_b64 exec, exec, s[10:11]
.LBB9_35:
	s_or_b64 exec, exec, s[0:1]
.LBB9_36:
	s_or_b64 exec, exec, s[8:9]
.LBB9_37:
	v_mov_b32_dpp v0, v60 row_shr:1 row_mask:0xf bank_mask:0xf
	v_mov_b32_dpp v1, v61 row_shr:1 row_mask:0xf bank_mask:0xf
	v_mov_b32_dpp v4, v58 row_shr:1 row_mask:0xf bank_mask:0xf
	v_mov_b32_dpp v5, v59 row_shr:1 row_mask:0xf bank_mask:0xf
	v_mov_b32_dpp v8, v52 row_shr:1 row_mask:0xf bank_mask:0xf
	v_mov_b32_dpp v9, v53 row_shr:1 row_mask:0xf bank_mask:0xf
	v_mov_b32_dpp v12, v50 row_shr:1 row_mask:0xf bank_mask:0xf
	v_mov_b32_dpp v13, v51 row_shr:1 row_mask:0xf bank_mask:0xf
	v_add_f64 v[0:1], v[60:61], v[0:1]
	v_add_f64 v[4:5], v[58:59], v[4:5]
	v_add_f64 v[8:9], v[52:53], v[8:9]
	v_add_f64 v[12:13], v[50:51], v[12:13]
	v_mov_b32_dpp v2, v0 row_shr:2 row_mask:0xf bank_mask:0xf
	v_mov_b32_dpp v3, v1 row_shr:2 row_mask:0xf bank_mask:0xf
	v_mov_b32_dpp v6, v4 row_shr:2 row_mask:0xf bank_mask:0xf
	v_mov_b32_dpp v7, v5 row_shr:2 row_mask:0xf bank_mask:0xf
	v_mov_b32_dpp v10, v8 row_shr:2 row_mask:0xf bank_mask:0xf
	v_mov_b32_dpp v11, v9 row_shr:2 row_mask:0xf bank_mask:0xf
	v_mov_b32_dpp v14, v12 row_shr:2 row_mask:0xf bank_mask:0xf
	v_mov_b32_dpp v15, v13 row_shr:2 row_mask:0xf bank_mask:0xf
	v_add_f64 v[0:1], v[0:1], v[2:3]
	v_add_f64 v[4:5], v[4:5], v[6:7]
	v_add_f64 v[8:9], v[8:9], v[10:11]
	v_add_f64 v[12:13], v[12:13], v[14:15]
	;; [unrolled: 12-line block ×4, first 2 shown]
	v_mov_b32_dpp v2, v0 row_bcast:15 row_mask:0xa bank_mask:0xf
	v_mov_b32_dpp v3, v1 row_bcast:15 row_mask:0xa bank_mask:0xf
	;; [unrolled: 1-line block ×8, first 2 shown]
	v_add_f64 v[0:1], v[0:1], v[2:3]
	v_add_f64 v[4:5], v[4:5], v[6:7]
	;; [unrolled: 1-line block ×4, first 2 shown]
	v_mov_b32_dpp v2, v0 row_bcast:31 row_mask:0xc bank_mask:0xf
	v_mov_b32_dpp v3, v1 row_bcast:31 row_mask:0xc bank_mask:0xf
	;; [unrolled: 1-line block ×8, first 2 shown]
	v_cmp_eq_u32_e32 vcc, 63, v49
	s_and_b64 exec, exec, vcc
	s_cbranch_execz .LBB9_10
; %bb.38:
	s_load_dwordx2 s[0:1], s[4:5], 0x50
	v_add_f64 v[0:1], v[0:1], v[2:3]
	v_add_f64 v[2:3], v[4:5], v[6:7]
	;; [unrolled: 1-line block ×4, first 2 shown]
	v_cmp_eq_f64_e32 vcc, 0, v[44:45]
	v_mul_f64 v[4:5], v[46:47], v[0:1]
	v_mul_f64 v[6:7], v[46:47], v[2:3]
	;; [unrolled: 1-line block ×4, first 2 shown]
	v_lshlrev_b32_e32 v8, 2, v48
	s_and_saveexec_b64 s[2:3], vcc
	s_xor_b64 s[2:3], exec, s[2:3]
	s_cbranch_execz .LBB9_40
; %bb.39:
	v_ashrrev_i32_e32 v9, 31, v8
	v_lshlrev_b64 v[8:9], 3, v[8:9]
	s_waitcnt lgkmcnt(0)
	v_mov_b32_e32 v10, s1
	v_add_co_u32_e32 v8, vcc, s0, v8
	v_addc_co_u32_e32 v9, vcc, v10, v9, vcc
	global_store_dwordx4 v[8:9], v[4:7], off
	global_store_dwordx4 v[8:9], v[0:3], off offset:16
                                        ; implicit-def: $vgpr8
                                        ; implicit-def: $vgpr44_vgpr45
                                        ; implicit-def: $vgpr4_vgpr5
                                        ; implicit-def: $vgpr0_vgpr1
.LBB9_40:
	s_andn2_saveexec_b64 s[2:3], s[2:3]
	s_cbranch_execz .LBB9_10
; %bb.41:
	v_ashrrev_i32_e32 v9, 31, v8
	v_lshlrev_b64 v[8:9], 3, v[8:9]
	s_waitcnt lgkmcnt(0)
	v_mov_b32_e32 v10, s1
	v_add_co_u32_e32 v16, vcc, s0, v8
	v_addc_co_u32_e32 v17, vcc, v10, v9, vcc
	global_load_dwordx4 v[8:11], v[16:17], off
	global_load_dwordx4 v[12:15], v[16:17], off offset:16
	s_waitcnt vmcnt(1)
	v_fmac_f64_e32 v[4:5], v[44:45], v[8:9]
	v_fmac_f64_e32 v[6:7], v[44:45], v[10:11]
	s_waitcnt vmcnt(0)
	v_fmac_f64_e32 v[0:1], v[44:45], v[12:13]
	v_fmac_f64_e32 v[2:3], v[44:45], v[14:15]
	global_store_dwordx4 v[16:17], v[4:7], off
	global_store_dwordx4 v[16:17], v[0:3], off offset:16
	s_endpgm
	.section	.rodata,"a",@progbits
	.p2align	6, 0x0
	.amdhsa_kernel _ZN9rocsparseL18bsrxmvn_4x4_kernelILj128ELj64EdiidddEEvT3_20rocsparse_direction_NS_24const_host_device_scalarIT1_EES1_PKS1_PKT2_SA_S7_PKT4_PKT5_S5_PT6_21rocsparse_index_base_b
		.amdhsa_group_segment_fixed_size 0
		.amdhsa_private_segment_fixed_size 0
		.amdhsa_kernarg_size 96
		.amdhsa_user_sgpr_count 6
		.amdhsa_user_sgpr_private_segment_buffer 1
		.amdhsa_user_sgpr_dispatch_ptr 0
		.amdhsa_user_sgpr_queue_ptr 0
		.amdhsa_user_sgpr_kernarg_segment_ptr 1
		.amdhsa_user_sgpr_dispatch_id 0
		.amdhsa_user_sgpr_flat_scratch_init 0
		.amdhsa_user_sgpr_kernarg_preload_length 0
		.amdhsa_user_sgpr_kernarg_preload_offset 0
		.amdhsa_user_sgpr_private_segment_size 0
		.amdhsa_uses_dynamic_stack 0
		.amdhsa_system_sgpr_private_segment_wavefront_offset 0
		.amdhsa_system_sgpr_workgroup_id_x 1
		.amdhsa_system_sgpr_workgroup_id_y 0
		.amdhsa_system_sgpr_workgroup_id_z 0
		.amdhsa_system_sgpr_workgroup_info 0
		.amdhsa_system_vgpr_workitem_id 0
		.amdhsa_next_free_vgpr 106
		.amdhsa_next_free_sgpr 20
		.amdhsa_accum_offset 108
		.amdhsa_reserve_vcc 1
		.amdhsa_reserve_flat_scratch 0
		.amdhsa_float_round_mode_32 0
		.amdhsa_float_round_mode_16_64 0
		.amdhsa_float_denorm_mode_32 3
		.amdhsa_float_denorm_mode_16_64 3
		.amdhsa_dx10_clamp 1
		.amdhsa_ieee_mode 1
		.amdhsa_fp16_overflow 0
		.amdhsa_tg_split 0
		.amdhsa_exception_fp_ieee_invalid_op 0
		.amdhsa_exception_fp_denorm_src 0
		.amdhsa_exception_fp_ieee_div_zero 0
		.amdhsa_exception_fp_ieee_overflow 0
		.amdhsa_exception_fp_ieee_underflow 0
		.amdhsa_exception_fp_ieee_inexact 0
		.amdhsa_exception_int_div_zero 0
	.end_amdhsa_kernel
	.section	.text._ZN9rocsparseL18bsrxmvn_4x4_kernelILj128ELj64EdiidddEEvT3_20rocsparse_direction_NS_24const_host_device_scalarIT1_EES1_PKS1_PKT2_SA_S7_PKT4_PKT5_S5_PT6_21rocsparse_index_base_b,"axG",@progbits,_ZN9rocsparseL18bsrxmvn_4x4_kernelILj128ELj64EdiidddEEvT3_20rocsparse_direction_NS_24const_host_device_scalarIT1_EES1_PKS1_PKT2_SA_S7_PKT4_PKT5_S5_PT6_21rocsparse_index_base_b,comdat
.Lfunc_end9:
	.size	_ZN9rocsparseL18bsrxmvn_4x4_kernelILj128ELj64EdiidddEEvT3_20rocsparse_direction_NS_24const_host_device_scalarIT1_EES1_PKS1_PKT2_SA_S7_PKT4_PKT5_S5_PT6_21rocsparse_index_base_b, .Lfunc_end9-_ZN9rocsparseL18bsrxmvn_4x4_kernelILj128ELj64EdiidddEEvT3_20rocsparse_direction_NS_24const_host_device_scalarIT1_EES1_PKS1_PKT2_SA_S7_PKT4_PKT5_S5_PT6_21rocsparse_index_base_b
                                        ; -- End function
	.section	.AMDGPU.csdata,"",@progbits
; Kernel info:
; codeLenInByte = 3964
; NumSgprs: 24
; NumVgprs: 106
; NumAgprs: 0
; TotalNumVgprs: 106
; ScratchSize: 0
; MemoryBound: 1
; FloatMode: 240
; IeeeMode: 1
; LDSByteSize: 0 bytes/workgroup (compile time only)
; SGPRBlocks: 2
; VGPRBlocks: 13
; NumSGPRsForWavesPerEU: 24
; NumVGPRsForWavesPerEU: 106
; AccumOffset: 108
; Occupancy: 4
; WaveLimiterHint : 1
; COMPUTE_PGM_RSRC2:SCRATCH_EN: 0
; COMPUTE_PGM_RSRC2:USER_SGPR: 6
; COMPUTE_PGM_RSRC2:TRAP_HANDLER: 0
; COMPUTE_PGM_RSRC2:TGID_X_EN: 1
; COMPUTE_PGM_RSRC2:TGID_Y_EN: 0
; COMPUTE_PGM_RSRC2:TGID_Z_EN: 0
; COMPUTE_PGM_RSRC2:TIDIG_COMP_CNT: 0
; COMPUTE_PGM_RSRC3_GFX90A:ACCUM_OFFSET: 26
; COMPUTE_PGM_RSRC3_GFX90A:TG_SPLIT: 0
	.section	.text._ZN9rocsparseL18bsrxmvn_4x4_kernelILj128ELj4E21rocsparse_complex_numIfEiiS2_S2_S2_EEvT3_20rocsparse_direction_NS_24const_host_device_scalarIT1_EES3_PKS3_PKT2_SC_S9_PKT4_PKT5_S7_PT6_21rocsparse_index_base_b,"axG",@progbits,_ZN9rocsparseL18bsrxmvn_4x4_kernelILj128ELj4E21rocsparse_complex_numIfEiiS2_S2_S2_EEvT3_20rocsparse_direction_NS_24const_host_device_scalarIT1_EES3_PKS3_PKT2_SC_S9_PKT4_PKT5_S7_PT6_21rocsparse_index_base_b,comdat
	.globl	_ZN9rocsparseL18bsrxmvn_4x4_kernelILj128ELj4E21rocsparse_complex_numIfEiiS2_S2_S2_EEvT3_20rocsparse_direction_NS_24const_host_device_scalarIT1_EES3_PKS3_PKT2_SC_S9_PKT4_PKT5_S7_PT6_21rocsparse_index_base_b ; -- Begin function _ZN9rocsparseL18bsrxmvn_4x4_kernelILj128ELj4E21rocsparse_complex_numIfEiiS2_S2_S2_EEvT3_20rocsparse_direction_NS_24const_host_device_scalarIT1_EES3_PKS3_PKT2_SC_S9_PKT4_PKT5_S7_PT6_21rocsparse_index_base_b
	.p2align	8
	.type	_ZN9rocsparseL18bsrxmvn_4x4_kernelILj128ELj4E21rocsparse_complex_numIfEiiS2_S2_S2_EEvT3_20rocsparse_direction_NS_24const_host_device_scalarIT1_EES3_PKS3_PKT2_SC_S9_PKT4_PKT5_S7_PT6_21rocsparse_index_base_b,@function
_ZN9rocsparseL18bsrxmvn_4x4_kernelILj128ELj4E21rocsparse_complex_numIfEiiS2_S2_S2_EEvT3_20rocsparse_direction_NS_24const_host_device_scalarIT1_EES3_PKS3_PKT2_SC_S9_PKT4_PKT5_S7_PT6_21rocsparse_index_base_b: ; @_ZN9rocsparseL18bsrxmvn_4x4_kernelILj128ELj4E21rocsparse_complex_numIfEiiS2_S2_S2_EEvT3_20rocsparse_direction_NS_24const_host_device_scalarIT1_EES3_PKS3_PKT2_SC_S9_PKT4_PKT5_S7_PT6_21rocsparse_index_base_b
; %bb.0:
	s_load_dwordx2 s[16:17], s[4:5], 0x58
	s_load_dwordx2 s[8:9], s[4:5], 0x8
	;; [unrolled: 1-line block ×3, first 2 shown]
	s_waitcnt lgkmcnt(0)
	s_bitcmp1_b32 s17, 0
	s_cselect_b64 s[0:1], -1, 0
	s_xor_b64 s[10:11], s[0:1], -1
	s_and_b64 vcc, exec, s[0:1]
	v_mov_b32_e32 v68, s8
	s_cbranch_vccnz .LBB10_2
; %bb.1:
	v_pk_mov_b32 v[2:3], s[8:9], s[8:9] op_sel:[0,1]
	flat_load_dword v68, v[2:3]
.LBB10_2:
	v_cndmask_b32_e64 v1, 0, 1, s[10:11]
	v_cmp_ne_u32_e64 s[0:1], 1, v1
	s_andn2_b64 vcc, exec, s[10:11]
	v_mov_b32_e32 v69, s9
	s_cbranch_vccz .LBB10_15
; %bb.3:
	s_and_b64 vcc, exec, s[0:1]
	v_mov_b32_e32 v70, s2
	s_cbranch_vccz .LBB10_16
.LBB10_4:
	s_and_b64 vcc, exec, s[0:1]
	v_mov_b32_e32 v71, s3
	s_cbranch_vccnz .LBB10_6
.LBB10_5:
	v_pk_mov_b32 v[2:3], s[2:3], s[2:3] op_sel:[0,1]
	flat_load_dword v71, v[2:3] offset:4
.LBB10_6:
	s_waitcnt vmcnt(0) lgkmcnt(0)
	v_and_b32_e32 v1, 0x7fffffff, v68
	v_cmp_eq_u32_e32 vcc, 0, v1
	v_cmp_eq_f32_e64 s[0:1], 0, v69
	s_and_b64 s[8:9], vcc, s[0:1]
	s_mov_b64 s[0:1], -1
	s_and_saveexec_b64 s[2:3], s[8:9]
; %bb.7:
	v_and_b32_e32 v1, 0x7fffffff, v71
	v_cmp_neq_f32_e32 vcc, 1.0, v70
	v_cmp_ne_u32_e64 s[0:1], 0, v1
	s_or_b64 s[0:1], vcc, s[0:1]
	s_orn2_b64 s[0:1], s[0:1], exec
; %bb.8:
	s_or_b64 exec, exec, s[2:3]
	s_and_saveexec_b64 s[2:3], s[0:1]
	s_cbranch_execz .LBB10_14
; %bb.9:
	s_load_dwordx2 s[8:9], s[4:5], 0x18
	s_load_dwordx2 s[0:1], s[4:5], 0x0
	v_lshrrev_b32_e32 v1, 2, v0
	v_lshl_or_b32 v72, s6, 5, v1
	s_mov_b64 s[2:3], 0
	s_waitcnt lgkmcnt(0)
	s_cmp_lg_u64 s[8:9], 0
	s_cbranch_scc0 .LBB10_17
; %bb.10:
	s_load_dword s6, s[4:5], 0x10
                                        ; implicit-def: $vgpr1
	s_waitcnt lgkmcnt(0)
	v_cmp_gt_i32_e32 vcc, s6, v72
	s_and_saveexec_b64 s[6:7], vcc
	s_xor_b64 s[6:7], exec, s[6:7]
	s_cbranch_execz .LBB10_12
; %bb.11:
	v_ashrrev_i32_e32 v73, 31, v72
	v_lshlrev_b64 v[2:3], 2, v[72:73]
	v_mov_b32_e32 v1, s9
	v_add_co_u32_e32 v2, vcc, s8, v2
	v_addc_co_u32_e32 v3, vcc, v1, v3, vcc
	global_load_dword v1, v[2:3], off
	s_mov_b64 s[2:3], exec
	s_waitcnt vmcnt(0)
	v_subrev_u32_e32 v1, s16, v1
.LBB10_12:
	s_or_b64 exec, exec, s[6:7]
	s_branch .LBB10_18
.LBB10_13:
	v_cmp_gt_i32_e32 vcc, s0, v72
	s_andn2_b64 s[2:3], s[2:3], exec
	s_and_b64 s[6:7], vcc, exec
	s_or_b64 s[2:3], s[2:3], s[6:7]
	s_and_b64 exec, exec, s[2:3]
	s_cbranch_execnz .LBB10_19
.LBB10_14:
	s_endpgm
.LBB10_15:
	v_pk_mov_b32 v[2:3], s[8:9], s[8:9] op_sel:[0,1]
	flat_load_dword v69, v[2:3] offset:4
	s_and_b64 vcc, exec, s[0:1]
	v_mov_b32_e32 v70, s2
	s_cbranch_vccnz .LBB10_4
.LBB10_16:
	v_pk_mov_b32 v[2:3], s[2:3], s[2:3] op_sel:[0,1]
	flat_load_dword v70, v[2:3]
	s_and_b64 vcc, exec, s[0:1]
	v_mov_b32_e32 v71, s3
	s_cbranch_vccz .LBB10_5
	s_branch .LBB10_6
.LBB10_17:
                                        ; implicit-def: $vgpr1
	s_cbranch_execnz .LBB10_13
.LBB10_18:
	v_mov_b32_e32 v72, v1
	s_and_b64 exec, exec, s[2:3]
	s_cbranch_execz .LBB10_14
.LBB10_19:
	s_load_dwordx8 s[8:15], s[4:5], 0x20
	v_ashrrev_i32_e32 v73, 31, v72
	v_lshlrev_b64 v[2:3], 2, v[72:73]
	v_and_b32_e32 v73, 3, v0
	s_load_dwordx2 s[6:7], s[4:5], 0x40
	s_waitcnt lgkmcnt(0)
	v_mov_b32_e32 v1, s9
	v_add_co_u32_e32 v4, vcc, s8, v2
	v_addc_co_u32_e32 v5, vcc, v1, v3, vcc
	v_add_co_u32_e32 v1, vcc, 4, v4
	global_load_dword v89, v[4:5], off
	v_addc_co_u32_e32 v4, vcc, 0, v5, vcc
	v_mov_b32_e32 v5, s11
	v_add_co_u32_e32 v2, vcc, s10, v2
	s_cmp_eq_u64 s[10:11], 0
	v_addc_co_u32_e32 v3, vcc, v5, v3, vcc
	s_cselect_b64 vcc, -1, 0
	v_cndmask_b32_e32 v3, v3, v4, vcc
	v_cndmask_b32_e32 v2, v2, v1, vcc
	global_load_dword v1, v[2:3], off
	v_mov_b32_e32 v2, s15
	s_cmp_eq_u32 s1, 1
	s_waitcnt vmcnt(1)
	v_subrev_u32_e32 v0, s16, v89
	v_add_u32_e32 v74, v0, v73
	v_ashrrev_i32_e32 v75, 31, v74
	s_waitcnt vmcnt(0)
	v_subrev_u32_e32 v88, s16, v1
	v_lshlrev_b64 v[0:1], 7, v[74:75]
	v_add_co_u32_e32 v76, vcc, s14, v0
	v_addc_co_u32_e32 v77, vcc, v2, v1, vcc
	v_cmp_lt_i32_e64 s[0:1], v74, v88
	s_cbranch_scc1 .LBB10_31
; %bb.20:
	s_mov_b32 s2, 0
	v_mov_b32_e32 v83, 0
	v_mov_b32_e32 v82, 0
	v_mov_b32_e32 v79, 0
	v_mov_b32_e32 v78, 0
	v_mov_b32_e32 v81, 0
	v_mov_b32_e32 v80, 0
	v_mov_b32_e32 v85, 0
	v_mov_b32_e32 v84, 0
	s_and_saveexec_b64 s[8:9], s[0:1]
	s_cbranch_execz .LBB10_30
; %bb.21:
	v_add_u32_e32 v0, v89, v73
	v_subrev_u32_e32 v0, s16, v0
	v_add_u32_e32 v0, 4, v0
	v_max_i32_e32 v0, v0, v88
	v_not_b32_e32 v1, v89
	v_add3_u32 v0, v0, s16, v1
	v_sub_u32_e32 v0, v0, v73
	v_lshrrev_b32_e32 v1, 2, v0
	v_add_u32_e32 v1, 1, v1
	v_and_b32_e32 v1, 3, v1
	s_mov_b32 s3, s2
	v_cmp_ne_u32_e32 vcc, 0, v1
	v_pk_mov_b32 v[82:83], s[2:3], s[2:3] op_sel:[0,1]
	v_pk_mov_b32 v[78:79], s[2:3], s[2:3] op_sel:[0,1]
	;; [unrolled: 1-line block ×5, first 2 shown]
	v_mov_b32_e32 v64, v74
	s_and_saveexec_b64 s[2:3], vcc
	s_cbranch_execz .LBB10_25
; %bb.22:
	v_mov_b32_e32 v84, 0
	v_lshlrev_b32_e32 v1, 7, v1
	s_mov_b64 s[10:11], 0
	v_mov_b32_e32 v2, s13
	v_mov_b32_e32 v3, s7
	s_movk_i32 s14, 0x200
	v_mov_b32_e32 v64, v74
	v_pk_mov_b32 v[66:67], v[76:77], v[76:77] op_sel:[0,1]
	v_mov_b32_e32 v85, v84
	v_mov_b32_e32 v80, v84
	;; [unrolled: 1-line block ×7, first 2 shown]
.LBB10_23:                              ; =>This Inner Loop Header: Depth=1
	v_ashrrev_i32_e32 v65, 31, v64
	v_lshlrev_b64 v[4:5], 2, v[64:65]
	v_add_co_u32_e32 v36, vcc, s12, v4
	v_addc_co_u32_e32 v37, vcc, v2, v5, vcc
	global_load_dword v38, v[36:37], off
	global_load_dwordx4 v[4:7], v[66:67], off
	global_load_dwordx4 v[8:11], v[66:67], off offset:16
	global_load_dwordx4 v[12:15], v[66:67], off offset:48
	;; [unrolled: 1-line block ×7, first 2 shown]
	v_add_u32_e32 v1, 0xffffff80, v1
	v_add_u32_e32 v64, 4, v64
	s_waitcnt vmcnt(8)
	v_subrev_u32_e32 v36, s16, v38
	v_lshlrev_b32_e32 v36, 2, v36
	v_ashrrev_i32_e32 v37, 31, v36
	v_lshlrev_b64 v[36:37], 3, v[36:37]
	v_add_co_u32_e32 v44, vcc, s6, v36
	v_addc_co_u32_e32 v45, vcc, v3, v37, vcc
	global_load_dwordx4 v[36:39], v[44:45], off
	global_load_dwordx4 v[40:43], v[44:45], off offset:16
	s_waitcnt vmcnt(9)
	v_xor_b32_e32 v44, 0x80000000, v7
	v_mov_b32_e32 v45, v6
	s_waitcnt vmcnt(6)
	v_xor_b32_e32 v48, 0x80000000, v19
	v_mov_b32_e32 v49, v18
	;; [unrolled: 3-line block ×3, first 2 shown]
	v_xor_b32_e32 v56, 0x80000000, v27
	v_mov_b32_e32 v57, v26
	v_add_co_u32_e32 v66, vcc, s14, v66
	v_addc_co_u32_e32 v67, vcc, 0, v67, vcc
	v_cmp_eq_u32_e32 vcc, 0, v1
	v_xor_b32_e32 v46, 0x80000000, v11
	v_mov_b32_e32 v47, v10
	v_xor_b32_e32 v50, 0x80000000, v15
	v_mov_b32_e32 v51, v14
	;; [unrolled: 2-line block ×4, first 2 shown]
	s_or_b64 s[10:11], vcc, s[10:11]
	s_waitcnt vmcnt(1)
	v_pk_fma_f32 v[60:61], v[4:5], v[36:37], v[82:83] op_sel_hi:[1,0,1]
	v_pk_fma_f32 v[62:63], v[16:17], v[36:37], v[84:85] op_sel_hi:[1,0,1]
	;; [unrolled: 1-line block ×4, first 2 shown]
	v_pk_fma_f32 v[4:5], v[4:5], v[36:37], v[60:61] op_sel:[1,1,0] op_sel_hi:[0,1,1] neg_lo:[1,0,0]
	v_pk_fma_f32 v[16:17], v[16:17], v[36:37], v[62:63] op_sel:[1,1,0] op_sel_hi:[0,1,1] neg_lo:[1,0,0]
	;; [unrolled: 1-line block ×4, first 2 shown]
	v_mov_b32_e32 v82, v39
	v_pk_fma_f32 v[4:5], v[6:7], v[38:39], v[4:5] op_sel_hi:[1,0,1]
	v_pk_fma_f32 v[6:7], v[18:19], v[38:39], v[16:17] op_sel_hi:[1,0,1]
	;; [unrolled: 1-line block ×8, first 2 shown]
	s_waitcnt vmcnt(0)
	v_pk_fma_f32 v[4:5], v[8:9], v[40:41], v[4:5] op_sel_hi:[1,0,1]
	v_pk_fma_f32 v[6:7], v[12:13], v[40:41], v[6:7] op_sel_hi:[1,0,1]
	;; [unrolled: 1-line block ×4, first 2 shown]
	v_pk_fma_f32 v[4:5], v[8:9], v[40:41], v[4:5] op_sel:[1,1,0] op_sel_hi:[0,1,1] neg_lo:[1,0,0]
	v_pk_fma_f32 v[6:7], v[12:13], v[40:41], v[6:7] op_sel:[1,1,0] op_sel_hi:[0,1,1] neg_lo:[1,0,0]
	v_pk_fma_f32 v[8:9], v[28:29], v[40:41], v[16:17] op_sel:[1,1,0] op_sel_hi:[0,1,1] neg_lo:[1,0,0]
	v_pk_fma_f32 v[12:13], v[20:21], v[40:41], v[18:19] op_sel:[1,1,0] op_sel_hi:[0,1,1] neg_lo:[1,0,0]
	v_mov_b32_e32 v86, v43
	v_pk_fma_f32 v[4:5], v[10:11], v[42:43], v[4:5] op_sel_hi:[1,0,1]
	v_pk_fma_f32 v[6:7], v[14:15], v[42:43], v[6:7] op_sel_hi:[1,0,1]
	;; [unrolled: 1-line block ×8, first 2 shown]
	s_andn2_b64 exec, exec, s[10:11]
	s_cbranch_execnz .LBB10_23
; %bb.24:
	s_or_b64 exec, exec, s[10:11]
.LBB10_25:
	s_or_b64 exec, exec, s[2:3]
	v_cmp_lt_u32_e32 vcc, 11, v0
	s_and_saveexec_b64 s[10:11], vcc
	s_cbranch_execz .LBB10_29
; %bb.26:
	s_mov_b64 s[14:15], 0
	v_mov_b32_e32 v75, s13
	v_mov_b32_e32 v90, s7
.LBB10_27:                              ; =>This Inner Loop Header: Depth=1
	v_ashrrev_i32_e32 v65, 31, v64
	v_lshlrev_b64 v[60:61], 2, v[64:65]
	v_add_co_u32_e32 v86, vcc, s12, v60
	v_addc_co_u32_e32 v87, vcc, v75, v61, vcc
	global_load_dwordx4 v[4:7], v[66:67], off offset:48
	global_load_dwordx4 v[44:47], v[66:67], off offset:32
	;; [unrolled: 1-line block ×3, first 2 shown]
	global_load_dwordx4 v[56:59], v[66:67], off
	global_load_dwordx4 v[16:19], v[66:67], off offset:112
	global_load_dwordx4 v[0:3], v[66:67], off offset:96
	;; [unrolled: 1-line block ×11, first 2 shown]
	global_load_dword v60, v[86:87], off
	v_add_u32_e32 v64, 16, v64
	s_waitcnt vmcnt(14)
	v_xor_b32_e32 v98, 0x80000000, v47
	v_mov_b32_e32 v99, v46
	s_waitcnt vmcnt(12)
	v_xor_b32_e32 v92, 0x80000000, v59
	v_mov_b32_e32 v93, v58
	;; [unrolled: 3-line block ×3, first 2 shown]
	s_waitcnt vmcnt(0)
	v_subrev_u32_e32 v60, s16, v60
	v_lshlrev_b32_e32 v60, 2, v60
	v_ashrrev_i32_e32 v61, 31, v60
	v_lshlrev_b64 v[60:61], 3, v[60:61]
	v_add_co_u32_e32 v94, vcc, s6, v60
	v_addc_co_u32_e32 v95, vcc, v90, v61, vcc
	global_load_dwordx4 v[60:63], v[94:95], off
	s_waitcnt vmcnt(0)
	v_pk_fma_f32 v[82:83], v[56:57], v[60:61], v[82:83] op_sel_hi:[1,0,1]
	v_pk_fma_f32 v[56:57], v[56:57], v[60:61], v[82:83] op_sel:[1,1,0] op_sel_hi:[0,1,1] neg_lo:[1,0,0]
	v_pk_fma_f32 v[96:97], v[58:59], v[62:63], v[56:57] op_sel_hi:[1,0,1]
	v_pk_fma_f32 v[56:57], v[44:45], v[60:61], v[84:85] op_sel_hi:[1,0,1]
	v_pk_fma_f32 v[44:45], v[44:45], v[60:61], v[56:57] op_sel:[1,1,0] op_sel_hi:[0,1,1] neg_lo:[1,0,0]
	v_pk_fma_f32 v[56:57], v[12:13], v[60:61], v[80:81] op_sel_hi:[1,0,1]
	v_pk_fma_f32 v[12:13], v[12:13], v[60:61], v[56:57] op_sel:[1,1,0] op_sel_hi:[0,1,1] neg_lo:[1,0,0]
	v_pk_fma_f32 v[80:81], v[14:15], v[62:63], v[12:13] op_sel_hi:[1,0,1]
	v_pk_fma_f32 v[12:13], v[0:1], v[60:61], v[78:79] op_sel_hi:[1,0,1]
	v_pk_fma_f32 v[0:1], v[0:1], v[60:61], v[12:13] op_sel:[1,1,0] op_sel_hi:[0,1,1] neg_lo:[1,0,0]
	v_pk_fma_f32 v[44:45], v[46:47], v[62:63], v[44:45] op_sel_hi:[1,0,1]
	v_xor_b32_e32 v46, 0x80000000, v15
	v_mov_b32_e32 v47, v14
	v_pk_fma_f32 v[60:61], v[2:3], v[62:63], v[0:1] op_sel_hi:[1,0,1]
	v_mov_b32_e32 v62, v63
	v_pk_fma_f32 v[78:79], v[92:93], v[62:63], v[96:97] op_sel_hi:[1,0,1]
	v_pk_fma_f32 v[92:93], v[98:99], v[62:63], v[44:45] op_sel_hi:[1,0,1]
	;; [unrolled: 1-line block ×3, first 2 shown]
	global_load_dwordx4 v[44:47], v[94:95], off offset:16
	v_pk_fma_f32 v[98:99], v[100:101], v[62:63], v[60:61] op_sel_hi:[1,0,1]
	v_mov_b32_e32 v95, v18
	v_xor_b32_e32 v94, 0x80000000, v19
	v_xor_b32_e32 v96, 0x80000000, v11
	v_mov_b32_e32 v97, v10
	global_load_dwordx4 v[82:85], v[66:67], off offset:576
	global_load_dwordx4 v[0:3], v[66:67], off offset:1072
	;; [unrolled: 1-line block ×4, first 2 shown]
	s_waitcnt vmcnt(4)
	v_pk_fma_f32 v[60:61], v[8:9], v[44:45], v[78:79] op_sel_hi:[1,0,1]
	v_pk_fma_f32 v[78:79], v[4:5], v[44:45], v[92:93] op_sel_hi:[1,0,1]
	v_pk_fma_f32 v[4:5], v[4:5], v[44:45], v[78:79] op_sel:[1,1,0] op_sel_hi:[0,1,1] neg_lo:[1,0,0]
	v_pk_fma_f32 v[78:79], v[6:7], v[46:47], v[4:5] op_sel_hi:[1,0,1]
	v_pk_fma_f32 v[4:5], v[28:29], v[44:45], v[80:81] op_sel_hi:[1,0,1]
	v_pk_fma_f32 v[4:5], v[28:29], v[44:45], v[4:5] op_sel:[1,1,0] op_sel_hi:[0,1,1] neg_lo:[1,0,0]
	v_pk_fma_f32 v[28:29], v[16:17], v[44:45], v[98:99] op_sel_hi:[1,0,1]
	v_pk_fma_f32 v[16:17], v[16:17], v[44:45], v[28:29] op_sel:[1,1,0] op_sel_hi:[0,1,1] neg_lo:[1,0,0]
	v_pk_fma_f32 v[16:17], v[18:19], v[46:47], v[16:17] op_sel_hi:[1,0,1]
	global_load_dword v18, v[86:87], off offset:16
	v_pk_fma_f32 v[8:9], v[8:9], v[44:45], v[60:61] op_sel:[1,1,0] op_sel_hi:[0,1,1] neg_lo:[1,0,0]
	v_pk_fma_f32 v[8:9], v[10:11], v[46:47], v[8:9] op_sel_hi:[1,0,1]
	v_xor_b32_e32 v10, 0x80000000, v7
	v_mov_b32_e32 v11, v6
	v_xor_b32_e32 v92, 0x80000000, v31
	v_mov_b32_e32 v93, v30
	v_pk_fma_f32 v[80:81], v[30:31], v[46:47], v[4:5] op_sel_hi:[1,0,1]
	global_load_dwordx4 v[60:63], v[66:67], off offset:1024
	s_waitcnt vmcnt(5)
	v_xor_b32_e32 v102, 0x80000000, v85
	v_mov_b32_e32 v103, v84
	global_load_dwordx4 v[4:7], v[66:67], off offset:1136
	global_load_dwordx4 v[28:31], v[66:67], off offset:1104
	s_waitcnt vmcnt(3)
	v_subrev_u32_e32 v18, s16, v18
	v_lshlrev_b32_e32 v18, 2, v18
	v_ashrrev_i32_e32 v19, 31, v18
	v_lshlrev_b64 v[18:19], 3, v[18:19]
	v_add_co_u32_e32 v98, vcc, s6, v18
	v_addc_co_u32_e32 v99, vcc, v90, v19, vcc
	v_mov_b32_e32 v18, v47
	v_pk_fma_f32 v[8:9], v[96:97], v[18:19], v[8:9] op_sel_hi:[1,0,1]
	v_pk_fma_f32 v[10:11], v[10:11], v[18:19], v[78:79] op_sel_hi:[1,0,1]
	;; [unrolled: 1-line block ×4, first 2 shown]
	global_load_dwordx4 v[16:19], v[98:99], off
	v_xor_b32_e32 v80, 0x80000000, v55
	v_mov_b32_e32 v81, v54
	v_xor_b32_e32 v96, 0x80000000, v23
	v_mov_b32_e32 v97, v22
	global_load_dwordx4 v[44:47], v[66:67], off offset:1120
	s_waitcnt vmcnt(1)
	v_pk_fma_f32 v[8:9], v[52:53], v[16:17], v[8:9] op_sel_hi:[1,0,1]
	v_pk_fma_f32 v[8:9], v[52:53], v[16:17], v[8:9] op_sel:[1,1,0] op_sel_hi:[0,1,1] neg_lo:[1,0,0]
	v_pk_fma_f32 v[94:95], v[54:55], v[18:19], v[8:9] op_sel_hi:[1,0,1]
	v_pk_fma_f32 v[8:9], v[20:21], v[16:17], v[10:11] op_sel_hi:[1,0,1]
	v_pk_fma_f32 v[8:9], v[20:21], v[16:17], v[8:9] op_sel:[1,1,0] op_sel_hi:[0,1,1] neg_lo:[1,0,0]
	v_pk_fma_f32 v[100:101], v[22:23], v[18:19], v[8:9] op_sel_hi:[1,0,1]
	;; [unrolled: 3-line block ×3, first 2 shown]
	v_pk_fma_f32 v[8:9], v[48:49], v[16:17], v[92:93] op_sel_hi:[1,0,1]
	v_pk_fma_f32 v[8:9], v[48:49], v[16:17], v[8:9] op_sel:[1,1,0] op_sel_hi:[0,1,1] neg_lo:[1,0,0]
	v_xor_b32_e32 v82, 0x80000000, v51
	v_mov_b32_e32 v83, v50
	v_pk_fma_f32 v[48:49], v[50:51], v[18:19], v[8:9] op_sel_hi:[1,0,1]
	v_mov_b32_e32 v50, v19
	v_pk_fma_f32 v[80:81], v[80:81], v[50:51], v[94:95] op_sel_hi:[1,0,1]
	v_pk_fma_f32 v[84:85], v[96:97], v[50:51], v[100:101] op_sel_hi:[1,0,1]
	;; [unrolled: 1-line block ×4, first 2 shown]
	global_load_dwordx4 v[48:51], v[98:99], off offset:16
	v_xor_b32_e32 v92, 0x80000000, v35
	v_mov_b32_e32 v93, v34
	v_xor_b32_e32 v96, 0x80000000, v43
	v_mov_b32_e32 v97, v42
	global_load_dwordx4 v[52:55], v[66:67], off offset:1088
	global_load_dwordx4 v[8:11], v[66:67], off offset:1584
	;; [unrolled: 1-line block ×4, first 2 shown]
	v_xor_b32_e32 v94, 0x80000000, v27
	v_mov_b32_e32 v95, v26
	v_xor_b32_e32 v98, 0x80000000, v39
	v_mov_b32_e32 v99, v38
	s_waitcnt vmcnt(4)
	v_pk_fma_f32 v[84:85], v[24:25], v[48:49], v[84:85] op_sel_hi:[1,0,1]
	v_pk_fma_f32 v[24:25], v[24:25], v[48:49], v[84:85] op_sel:[1,1,0] op_sel_hi:[0,1,1] neg_lo:[1,0,0]
	v_pk_fma_f32 v[84:85], v[26:27], v[50:51], v[24:25] op_sel_hi:[1,0,1]
	v_pk_fma_f32 v[24:25], v[40:41], v[48:49], v[78:79] op_sel_hi:[1,0,1]
	v_pk_fma_f32 v[24:25], v[40:41], v[48:49], v[24:25] op_sel:[1,1,0] op_sel_hi:[0,1,1] neg_lo:[1,0,0]
	v_pk_fma_f32 v[40:41], v[36:37], v[48:49], v[82:83] op_sel_hi:[1,0,1]
	v_pk_fma_f32 v[80:81], v[32:33], v[48:49], v[80:81] op_sel_hi:[1,0,1]
	v_pk_fma_f32 v[36:37], v[36:37], v[48:49], v[40:41] op_sel:[1,1,0] op_sel_hi:[0,1,1] neg_lo:[1,0,0]
	v_pk_fma_f32 v[32:33], v[32:33], v[48:49], v[80:81] op_sel:[1,1,0] op_sel_hi:[0,1,1] neg_lo:[1,0,0]
	v_pk_fma_f32 v[48:49], v[38:39], v[50:51], v[36:37] op_sel_hi:[1,0,1]
	global_load_dword v36, v[86:87], off offset:32
	v_pk_fma_f32 v[80:81], v[34:35], v[50:51], v[32:33] op_sel_hi:[1,0,1]
	v_pk_fma_f32 v[78:79], v[42:43], v[50:51], v[24:25] op_sel_hi:[1,0,1]
	v_mov_b32_e32 v50, v51
	global_load_dwordx4 v[32:35], v[66:67], off offset:1536
	global_load_dwordx4 v[24:27], v[66:67], off offset:1648
	;; [unrolled: 1-line block ×3, first 2 shown]
	v_pk_fma_f32 v[92:93], v[92:93], v[50:51], v[80:81] op_sel_hi:[1,0,1]
	v_pk_fma_f32 v[84:85], v[94:95], v[50:51], v[84:85] op_sel_hi:[1,0,1]
	v_xor_b32_e32 v94, 0x80000000, v63
	v_mov_b32_e32 v95, v62
	s_waitcnt vmcnt(3)
	v_subrev_u32_e32 v36, s16, v36
	v_lshlrev_b32_e32 v36, 2, v36
	v_ashrrev_i32_e32 v37, 31, v36
	v_lshlrev_b64 v[36:37], 3, v[36:37]
	v_add_co_u32_e32 v82, vcc, s6, v36
	v_addc_co_u32_e32 v83, vcc, v90, v37, vcc
	global_load_dwordx4 v[36:39], v[66:67], off offset:1616
	global_load_dword v65, v[86:87], off offset:48
	v_pk_fma_f32 v[86:87], v[96:97], v[50:51], v[78:79] op_sel_hi:[1,0,1]
	global_load_dwordx4 v[78:81], v[82:83], off
	v_pk_fma_f32 v[96:97], v[98:99], v[50:51], v[48:49] op_sel_hi:[1,0,1]
	v_xor_b32_e32 v98, 0x80000000, v47
	v_mov_b32_e32 v99, v46
	s_waitcnt vmcnt(0)
	v_pk_fma_f32 v[48:49], v[60:61], v[78:79], v[92:93] op_sel_hi:[1,0,1]
	v_pk_fma_f32 v[48:49], v[60:61], v[78:79], v[48:49] op_sel:[1,1,0] op_sel_hi:[0,1,1] neg_lo:[1,0,0]
	v_pk_fma_f32 v[60:61], v[62:63], v[80:81], v[48:49] op_sel_hi:[1,0,1]
	v_pk_fma_f32 v[48:49], v[56:57], v[78:79], v[84:85] op_sel_hi:[1,0,1]
	v_pk_fma_f32 v[48:49], v[56:57], v[78:79], v[48:49] op_sel:[1,1,0] op_sel_hi:[0,1,1] neg_lo:[1,0,0]
	v_pk_fma_f32 v[56:57], v[52:53], v[78:79], v[86:87] op_sel_hi:[1,0,1]
	v_pk_fma_f32 v[52:53], v[52:53], v[78:79], v[56:57] op_sel:[1,1,0] op_sel_hi:[0,1,1] neg_lo:[1,0,0]
	v_pk_fma_f32 v[86:87], v[54:55], v[80:81], v[52:53] op_sel_hi:[1,0,1]
	v_subrev_u32_e32 v52, s16, v65
	v_lshlrev_b32_e32 v52, 2, v52
	v_ashrrev_i32_e32 v53, 31, v52
	v_lshlrev_b64 v[52:53], 3, v[52:53]
	v_add_co_u32_e64 v56, s[2:3], s6, v52
	v_xor_b32_e32 v92, 0x80000000, v55
	v_mov_b32_e32 v93, v54
	v_addc_co_u32_e64 v57, s[2:3], v90, v53, s[2:3]
	global_load_dwordx4 v[52:55], v[82:83], off offset:16
	v_xor_b32_e32 v62, 0x80000000, v59
	v_mov_b32_e32 v63, v58
	v_pk_fma_f32 v[84:85], v[58:59], v[80:81], v[48:49] op_sel_hi:[1,0,1]
	v_pk_fma_f32 v[58:59], v[44:45], v[78:79], v[96:97] op_sel_hi:[1,0,1]
	v_pk_fma_f32 v[44:45], v[44:45], v[78:79], v[58:59] op_sel:[1,1,0] op_sel_hi:[0,1,1] neg_lo:[1,0,0]
	global_load_dwordx4 v[48:51], v[66:67], off offset:1600
	v_pk_fma_f32 v[78:79], v[46:47], v[80:81], v[44:45] op_sel_hi:[1,0,1]
	global_load_dwordx4 v[44:47], v[56:57], off
	v_mov_b32_e32 v80, v81
	global_load_dwordx4 v[56:59], v[56:57], off offset:16
	v_pk_fma_f32 v[60:61], v[94:95], v[80:81], v[60:61] op_sel_hi:[1,0,1]
	v_pk_fma_f32 v[62:63], v[62:63], v[80:81], v[84:85] op_sel_hi:[1,0,1]
	;; [unrolled: 1-line block ×4, first 2 shown]
	v_xor_b32_e32 v82, 0x80000000, v15
	v_mov_b32_e32 v83, v14
	v_xor_b32_e32 v84, 0x80000000, v3
	v_mov_b32_e32 v85, v2
	;; [unrolled: 2-line block ×5, first 2 shown]
	v_add_co_u32_e32 v66, vcc, 0x800, v66
	v_addc_co_u32_e32 v67, vcc, 0, v67, vcc
	v_cmp_ge_i32_e32 vcc, v64, v88
	s_or_b64 s[14:15], vcc, s[14:15]
	s_waitcnt vmcnt(3)
	v_pk_fma_f32 v[60:61], v[12:13], v[52:53], v[60:61] op_sel_hi:[1,0,1]
	v_pk_fma_f32 v[62:63], v[0:1], v[52:53], v[62:63] op_sel_hi:[1,0,1]
	;; [unrolled: 1-line block ×4, first 2 shown]
	v_pk_fma_f32 v[12:13], v[12:13], v[52:53], v[60:61] op_sel:[1,1,0] op_sel_hi:[0,1,1] neg_lo:[1,0,0]
	v_pk_fma_f32 v[0:1], v[0:1], v[52:53], v[62:63] op_sel:[1,1,0] op_sel_hi:[0,1,1] neg_lo:[1,0,0]
	;; [unrolled: 1-line block ×4, first 2 shown]
	v_pk_fma_f32 v[12:13], v[14:15], v[54:55], v[12:13] op_sel_hi:[1,0,1]
	v_pk_fma_f32 v[0:1], v[2:3], v[54:55], v[0:1] op_sel_hi:[1,0,1]
	;; [unrolled: 1-line block ×4, first 2 shown]
	v_mov_b32_e32 v52, v55
	v_pk_fma_f32 v[12:13], v[82:83], v[52:53], v[12:13] op_sel_hi:[1,0,1]
	v_pk_fma_f32 v[0:1], v[84:85], v[52:53], v[0:1] op_sel_hi:[1,0,1]
	;; [unrolled: 1-line block ×4, first 2 shown]
	s_waitcnt vmcnt(1)
	v_pk_fma_f32 v[12:13], v[32:33], v[44:45], v[12:13] op_sel_hi:[1,0,1]
	v_pk_fma_f32 v[0:1], v[20:21], v[44:45], v[0:1] op_sel_hi:[1,0,1]
	;; [unrolled: 1-line block ×4, first 2 shown]
	v_pk_fma_f32 v[12:13], v[32:33], v[44:45], v[12:13] op_sel:[1,1,0] op_sel_hi:[0,1,1] neg_lo:[1,0,0]
	v_pk_fma_f32 v[0:1], v[20:21], v[44:45], v[0:1] op_sel:[1,1,0] op_sel_hi:[0,1,1] neg_lo:[1,0,0]
	;; [unrolled: 1-line block ×4, first 2 shown]
	v_xor_b32_e32 v60, 0x80000000, v23
	v_mov_b32_e32 v61, v22
	v_xor_b32_e32 v62, 0x80000000, v51
	v_mov_b32_e32 v63, v50
	;; [unrolled: 2-line block ×3, first 2 shown]
	v_mov_b32_e32 v54, v47
	v_pk_fma_f32 v[12:13], v[34:35], v[46:47], v[12:13] op_sel_hi:[1,0,1]
	v_pk_fma_f32 v[0:1], v[22:23], v[46:47], v[0:1] op_sel_hi:[1,0,1]
	;; [unrolled: 1-line block ×8, first 2 shown]
	s_waitcnt vmcnt(0)
	v_pk_fma_f32 v[12:13], v[16:17], v[56:57], v[12:13] op_sel_hi:[1,0,1]
	v_pk_fma_f32 v[0:1], v[8:9], v[56:57], v[0:1] op_sel_hi:[1,0,1]
	v_pk_fma_f32 v[20:21], v[36:37], v[56:57], v[20:21] op_sel_hi:[1,0,1]
	v_pk_fma_f32 v[4:5], v[24:25], v[56:57], v[4:5] op_sel_hi:[1,0,1]
	v_pk_fma_f32 v[12:13], v[16:17], v[56:57], v[12:13] op_sel:[1,1,0] op_sel_hi:[0,1,1] neg_lo:[1,0,0]
	v_pk_fma_f32 v[0:1], v[8:9], v[56:57], v[0:1] op_sel:[1,1,0] op_sel_hi:[0,1,1] neg_lo:[1,0,0]
	;; [unrolled: 1-line block ×4, first 2 shown]
	v_xor_b32_e32 v14, 0x80000000, v19
	v_mov_b32_e32 v15, v18
	v_xor_b32_e32 v2, 0x80000000, v11
	v_mov_b32_e32 v3, v10
	v_xor_b32_e32 v30, 0x80000000, v39
	v_mov_b32_e32 v31, v38
	v_xor_b32_e32 v6, 0x80000000, v27
	v_mov_b32_e32 v7, v26
	v_mov_b32_e32 v78, v59
	v_pk_fma_f32 v[12:13], v[18:19], v[58:59], v[12:13] op_sel_hi:[1,0,1]
	v_pk_fma_f32 v[0:1], v[10:11], v[58:59], v[0:1] op_sel_hi:[1,0,1]
	;; [unrolled: 1-line block ×8, first 2 shown]
	s_andn2_b64 exec, exec, s[14:15]
	s_cbranch_execnz .LBB10_27
; %bb.28:
	s_or_b64 exec, exec, s[14:15]
.LBB10_29:
	s_or_b64 exec, exec, s[10:11]
.LBB10_30:
	s_or_b64 exec, exec, s[8:9]
	s_cbranch_execz .LBB10_32
	s_branch .LBB10_43
.LBB10_31:
                                        ; implicit-def: $vgpr83
                                        ; implicit-def: $vgpr79
                                        ; implicit-def: $vgpr81
                                        ; implicit-def: $vgpr85
.LBB10_32:
	s_mov_b32 s8, 0
	v_mov_b32_e32 v83, 0
	v_mov_b32_e32 v82, 0
	v_mov_b32_e32 v79, 0
	v_mov_b32_e32 v78, 0
	v_mov_b32_e32 v81, 0
	v_mov_b32_e32 v80, 0
	v_mov_b32_e32 v85, 0
	v_mov_b32_e32 v84, 0
	s_and_saveexec_b64 s[2:3], s[0:1]
	s_cbranch_execz .LBB10_42
; %bb.33:
	v_add_u32_e32 v0, v89, v73
	v_subrev_u32_e32 v0, s16, v0
	v_add_u32_e32 v0, 4, v0
	v_max_i32_e32 v0, v0, v88
	v_not_b32_e32 v1, v89
	v_add3_u32 v0, v0, s16, v1
	v_sub_u32_e32 v0, v0, v73
	v_lshrrev_b32_e32 v1, 2, v0
	v_add_u32_e32 v1, 1, v1
	v_and_b32_e32 v1, 3, v1
	s_mov_b32 s9, s8
	v_cmp_ne_u32_e32 vcc, 0, v1
	v_pk_mov_b32 v[82:83], s[8:9], s[8:9] op_sel:[0,1]
	v_pk_mov_b32 v[78:79], s[8:9], s[8:9] op_sel:[0,1]
	;; [unrolled: 1-line block ×4, first 2 shown]
	s_and_saveexec_b64 s[0:1], vcc
	s_cbranch_execz .LBB10_37
; %bb.34:
	v_mov_b32_e32 v84, 0
	v_lshlrev_b32_e32 v1, 7, v1
	s_mov_b64 s[8:9], 0
	v_mov_b32_e32 v2, s13
	v_mov_b32_e32 v3, s7
	s_movk_i32 s10, 0x200
	v_mov_b32_e32 v85, v84
	v_mov_b32_e32 v80, v84
	;; [unrolled: 1-line block ×7, first 2 shown]
.LBB10_35:                              ; =>This Inner Loop Header: Depth=1
	v_ashrrev_i32_e32 v75, 31, v74
	v_lshlrev_b64 v[4:5], 2, v[74:75]
	v_add_co_u32_e32 v32, vcc, s12, v4
	v_addc_co_u32_e32 v33, vcc, v2, v5, vcc
	global_load_dword v34, v[32:33], off
	global_load_dwordx4 v[4:7], v[76:77], off offset:48
	global_load_dwordx4 v[8:11], v[76:77], off offset:32
	;; [unrolled: 1-line block ×3, first 2 shown]
	global_load_dwordx4 v[16:19], v[76:77], off
	global_load_dwordx4 v[20:23], v[76:77], off offset:96
	global_load_dwordx4 v[24:27], v[76:77], off offset:80
	global_load_dwordx4 v[28:31], v[76:77], off offset:64
	v_add_u32_e32 v1, 0xffffff80, v1
	v_add_u32_e32 v74, 4, v74
	s_waitcnt vmcnt(7)
	v_subrev_u32_e32 v32, s16, v34
	v_lshlrev_b32_e32 v32, 2, v32
	v_ashrrev_i32_e32 v33, 31, v32
	v_lshlrev_b64 v[32:33], 3, v[32:33]
	v_add_co_u32_e32 v44, vcc, s6, v32
	v_addc_co_u32_e32 v45, vcc, v3, v33, vcc
	global_load_dwordx4 v[32:35], v[44:45], off
	global_load_dwordx4 v[36:39], v[44:45], off offset:16
	global_load_dwordx4 v[40:43], v[76:77], off offset:112
	s_waitcnt vmcnt(6)
	v_xor_b32_e32 v44, 0x80000000, v19
	v_mov_b32_e32 v45, v18
	v_xor_b32_e32 v52, 0x80000000, v15
	v_mov_b32_e32 v53, v14
	;; [unrolled: 2-line block ×4, first 2 shown]
	v_add_co_u32_e32 v76, vcc, s10, v76
	s_waitcnt vmcnt(3)
	v_xor_b32_e32 v48, 0x80000000, v31
	v_mov_b32_e32 v49, v30
	v_xor_b32_e32 v56, 0x80000000, v27
	v_mov_b32_e32 v57, v26
	v_addc_co_u32_e32 v77, vcc, 0, v77, vcc
	v_cmp_eq_u32_e32 vcc, 0, v1
	v_xor_b32_e32 v50, 0x80000000, v23
	v_mov_b32_e32 v51, v22
	s_or_b64 s[8:9], vcc, s[8:9]
	s_waitcnt vmcnt(2)
	v_pk_fma_f32 v[60:61], v[16:17], v[32:33], v[82:83] op_sel_hi:[1,0,1]
	v_pk_fma_f32 v[18:19], v[18:19], v[32:33], v[84:85] op_sel_hi:[1,0,1]
	;; [unrolled: 1-line block ×4, first 2 shown]
	v_pk_fma_f32 v[16:17], v[16:17], v[32:33], v[60:61] op_sel:[1,1,0] op_sel_hi:[0,1,1] neg_lo:[1,0,0]
	v_pk_fma_f32 v[12:13], v[12:13], v[32:33], v[62:63] op_sel:[1,1,0] op_sel_hi:[0,1,1] neg_lo:[1,0,0]
	v_pk_fma_f32 v[18:19], v[44:45], v[32:33], v[18:19] op_sel:[0,1,0]
	v_pk_fma_f32 v[14:15], v[52:53], v[32:33], v[14:15] op_sel:[0,1,0]
	v_mov_b32_e32 v64, v35
	v_pk_fma_f32 v[16:17], v[8:9], v[34:35], v[16:17] op_sel_hi:[1,0,1]
	v_pk_fma_f32 v[10:11], v[10:11], v[34:35], v[18:19] op_sel_hi:[1,0,1]
	v_pk_fma_f32 v[12:13], v[4:5], v[34:35], v[12:13] op_sel_hi:[1,0,1]
	v_pk_fma_f32 v[6:7], v[6:7], v[34:35], v[14:15] op_sel_hi:[1,0,1]
	v_pk_fma_f32 v[8:9], v[8:9], v[64:65], v[16:17] op_sel:[1,0,0] op_sel_hi:[0,0,1] neg_lo:[1,0,0]
	v_pk_fma_f32 v[10:11], v[46:47], v[64:65], v[10:11] op_sel_hi:[1,0,1]
	v_pk_fma_f32 v[4:5], v[4:5], v[64:65], v[12:13] op_sel:[1,0,0] op_sel_hi:[0,0,1] neg_lo:[1,0,0]
	v_pk_fma_f32 v[6:7], v[54:55], v[64:65], v[6:7] op_sel_hi:[1,0,1]
	s_waitcnt vmcnt(1)
	v_pk_fma_f32 v[8:9], v[28:29], v[36:37], v[8:9] op_sel_hi:[1,0,1]
	v_pk_fma_f32 v[10:11], v[30:31], v[36:37], v[10:11] op_sel_hi:[1,0,1]
	;; [unrolled: 1-line block ×4, first 2 shown]
	v_pk_fma_f32 v[8:9], v[28:29], v[36:37], v[8:9] op_sel:[1,1,0] op_sel_hi:[0,1,1] neg_lo:[1,0,0]
	v_pk_fma_f32 v[10:11], v[48:49], v[36:37], v[10:11] op_sel:[0,1,0]
	v_pk_fma_f32 v[4:5], v[24:25], v[36:37], v[4:5] op_sel:[1,1,0] op_sel_hi:[0,1,1] neg_lo:[1,0,0]
	v_pk_fma_f32 v[6:7], v[56:57], v[36:37], v[6:7] op_sel:[0,1,0]
	s_waitcnt vmcnt(0)
	v_xor_b32_e32 v58, 0x80000000, v43
	v_mov_b32_e32 v59, v42
	v_mov_b32_e32 v66, v39
	v_pk_fma_f32 v[8:9], v[20:21], v[38:39], v[8:9] op_sel_hi:[1,0,1]
	v_pk_fma_f32 v[10:11], v[22:23], v[38:39], v[10:11] op_sel_hi:[1,0,1]
	;; [unrolled: 1-line block ×4, first 2 shown]
	v_pk_fma_f32 v[82:83], v[20:21], v[66:67], v[8:9] op_sel:[1,0,0] op_sel_hi:[0,0,1] neg_lo:[1,0,0]
	v_pk_fma_f32 v[84:85], v[50:51], v[66:67], v[10:11] op_sel_hi:[1,0,1]
	v_pk_fma_f32 v[80:81], v[40:41], v[66:67], v[4:5] op_sel:[1,0,0] op_sel_hi:[0,0,1] neg_lo:[1,0,0]
	v_pk_fma_f32 v[78:79], v[58:59], v[66:67], v[6:7] op_sel_hi:[1,0,1]
	s_andn2_b64 exec, exec, s[8:9]
	s_cbranch_execnz .LBB10_35
; %bb.36:
	s_or_b64 exec, exec, s[8:9]
.LBB10_37:
	s_or_b64 exec, exec, s[0:1]
	v_cmp_lt_u32_e32 vcc, 11, v0
	s_and_saveexec_b64 s[0:1], vcc
	s_cbranch_execz .LBB10_41
; %bb.38:
	s_mov_b64 s[8:9], 0
	v_mov_b32_e32 v86, s13
	v_mov_b32_e32 v87, s7
.LBB10_39:                              ; =>This Inner Loop Header: Depth=1
	v_ashrrev_i32_e32 v75, 31, v74
	v_lshlrev_b64 v[52:53], 2, v[74:75]
	v_add_co_u32_e32 v52, vcc, s12, v52
	v_addc_co_u32_e32 v53, vcc, v86, v53, vcc
	global_load_dwordx4 v[20:23], v[76:77], off offset:48
	global_load_dwordx4 v[32:35], v[76:77], off offset:32
	;; [unrolled: 1-line block ×3, first 2 shown]
	global_load_dwordx4 v[48:51], v[76:77], off
	global_load_dwordx4 v[0:3], v[76:77], off offset:112
	global_load_dwordx4 v[4:7], v[76:77], off offset:96
	;; [unrolled: 1-line block ×12, first 2 shown]
	global_load_dword v54, v[52:53], off
	global_load_dword v75, v[52:53], off offset:16
	global_load_dword v89, v[52:53], off offset:32
	;; [unrolled: 1-line block ×3, first 2 shown]
	v_add_u32_e32 v74, 16, v74
	s_waitcnt vmcnt(19)
	v_xor_b32_e32 v98, 0x80000000, v23
	v_mov_b32_e32 v99, v22
	s_waitcnt vmcnt(16)
	v_xor_b32_e32 v94, 0x80000000, v51
	v_mov_b32_e32 v95, v50
	s_waitcnt vmcnt(3)
	v_subrev_u32_e32 v52, s16, v54
	v_lshlrev_b32_e32 v52, 2, v52
	v_ashrrev_i32_e32 v53, 31, v52
	v_lshlrev_b64 v[52:53], 3, v[52:53]
	v_add_co_u32_e32 v96, vcc, s6, v52
	v_addc_co_u32_e32 v97, vcc, v87, v53, vcc
	global_load_dwordx4 v[52:55], v[96:97], off
	global_load_dwordx4 v[90:93], v[96:97], off offset:16
	s_waitcnt vmcnt(1)
	v_pk_fma_f32 v[82:83], v[48:49], v[52:53], v[82:83] op_sel_hi:[1,0,1]
	v_pk_fma_f32 v[50:51], v[50:51], v[52:53], v[84:85] op_sel_hi:[1,0,1]
	v_pk_fma_f32 v[82:83], v[48:49], v[52:53], v[82:83] op_sel:[1,1,0] op_sel_hi:[0,1,1] neg_lo:[1,0,0]
	v_xor_b32_e32 v84, 0x80000000, v47
	v_mov_b32_e32 v85, v46
	v_pk_fma_f32 v[48:49], v[44:45], v[52:53], v[80:81] op_sel_hi:[1,0,1]
	v_pk_fma_f32 v[78:79], v[46:47], v[52:53], v[78:79] op_sel_hi:[1,0,1]
	v_pk_fma_f32 v[94:95], v[94:95], v[52:53], v[50:51] op_sel:[0,1,0]
	v_pk_fma_f32 v[80:81], v[44:45], v[52:53], v[48:49] op_sel:[1,1,0] op_sel_hi:[0,1,1] neg_lo:[1,0,0]
	v_pk_fma_f32 v[52:53], v[84:85], v[52:53], v[78:79] op_sel:[0,1,0]
	v_xor_b32_e32 v78, 0x80000000, v35
	v_mov_b32_e32 v79, v34
	v_pk_fma_f32 v[84:85], v[34:35], v[54:55], v[94:95] op_sel_hi:[1,0,1]
	v_mov_b32_e32 v96, v55
	v_pk_fma_f32 v[82:83], v[32:33], v[54:55], v[82:83] op_sel_hi:[1,0,1]
	v_pk_fma_f32 v[80:81], v[20:21], v[54:55], v[80:81] op_sel_hi:[1,0,1]
	;; [unrolled: 1-line block ×4, first 2 shown]
	v_pk_fma_f32 v[82:83], v[32:33], v[96:97], v[82:83] op_sel:[1,0,0] op_sel_hi:[0,0,1] neg_lo:[1,0,0]
	v_pk_fma_f32 v[80:81], v[20:21], v[96:97], v[80:81] op_sel:[1,0,0] op_sel_hi:[0,0,1] neg_lo:[1,0,0]
	v_pk_fma_f32 v[84:85], v[98:99], v[96:97], v[94:95] op_sel_hi:[1,0,1]
	v_xor_b32_e32 v94, 0x80000000, v27
	v_mov_b32_e32 v95, v26
	s_waitcnt vmcnt(0)
	v_pk_fma_f32 v[78:79], v[26:27], v[90:91], v[78:79] op_sel_hi:[1,0,1]
	v_pk_fma_f32 v[82:83], v[24:25], v[90:91], v[82:83] op_sel_hi:[1,0,1]
	v_pk_fma_f32 v[78:79], v[94:95], v[90:91], v[78:79] op_sel:[0,1,0]
	v_xor_b32_e32 v94, 0x80000000, v15
	v_mov_b32_e32 v95, v14
	v_pk_fma_f32 v[80:81], v[12:13], v[90:91], v[80:81] op_sel_hi:[1,0,1]
	v_pk_fma_f32 v[84:85], v[14:15], v[90:91], v[84:85] op_sel_hi:[1,0,1]
	v_pk_fma_f32 v[82:83], v[24:25], v[90:91], v[82:83] op_sel:[1,1,0] op_sel_hi:[0,1,1] neg_lo:[1,0,0]
	v_pk_fma_f32 v[80:81], v[12:13], v[90:91], v[80:81] op_sel:[1,1,0] op_sel_hi:[0,1,1] neg_lo:[1,0,0]
	v_pk_fma_f32 v[84:85], v[94:95], v[90:91], v[84:85] op_sel:[0,1,0]
	v_pk_fma_f32 v[82:83], v[4:5], v[92:93], v[82:83] op_sel_hi:[1,0,1]
	v_pk_fma_f32 v[78:79], v[6:7], v[92:93], v[78:79] op_sel_hi:[1,0,1]
	;; [unrolled: 1-line block ×4, first 2 shown]
	v_mov_b32_e32 v92, v93
	v_pk_fma_f32 v[94:95], v[4:5], v[92:93], v[82:83] op_sel:[1,0,0] op_sel_hi:[0,0,1] neg_lo:[1,0,0]
	v_mov_b32_e32 v83, v2
	v_subrev_u32_e32 v2, s16, v75
	v_lshlrev_b32_e32 v2, 2, v2
	v_xor_b32_e32 v82, 0x80000000, v3
	v_ashrrev_i32_e32 v3, 31, v2
	v_lshlrev_b64 v[2:3], 3, v[2:3]
	v_add_co_u32_e32 v2, vcc, s6, v2
	v_xor_b32_e32 v90, 0x80000000, v7
	v_mov_b32_e32 v91, v6
	v_addc_co_u32_e32 v3, vcc, v87, v3, vcc
	global_load_dwordx4 v[44:47], v[76:77], off offset:1072
	global_load_dwordx4 v[48:51], v[76:77], off offset:1056
	;; [unrolled: 1-line block ×8, first 2 shown]
	v_pk_fma_f32 v[0:1], v[0:1], v[92:93], v[80:81] op_sel:[1,0,0] op_sel_hi:[0,0,1] neg_lo:[1,0,0]
	v_pk_fma_f32 v[90:91], v[90:91], v[92:93], v[78:79] op_sel_hi:[1,0,1]
	v_pk_fma_f32 v[92:93], v[82:83], v[92:93], v[84:85] op_sel_hi:[1,0,1]
	global_load_dwordx4 v[78:81], v[2:3], off
	global_load_dwordx4 v[82:85], v[2:3], off offset:16
	v_xor_b32_e32 v96, 0x80000000, v39
	v_mov_b32_e32 v97, v38
	v_subrev_u32_e32 v75, s16, v102
	s_waitcnt vmcnt(7)
	v_xor_b32_e32 v100, 0x80000000, v35
	v_mov_b32_e32 v101, v34
	s_waitcnt vmcnt(1)
	v_pk_fma_f32 v[2:3], v[36:37], v[78:79], v[94:95] op_sel_hi:[1,0,1]
	v_pk_fma_f32 v[38:39], v[38:39], v[78:79], v[90:91] op_sel_hi:[1,0,1]
	v_xor_b32_e32 v90, 0x80000000, v31
	v_mov_b32_e32 v91, v30
	v_pk_fma_f32 v[0:1], v[28:29], v[78:79], v[0:1] op_sel_hi:[1,0,1]
	v_pk_fma_f32 v[92:93], v[30:31], v[78:79], v[92:93] op_sel_hi:[1,0,1]
	v_pk_fma_f32 v[36:37], v[36:37], v[78:79], v[2:3] op_sel:[1,1,0] op_sel_hi:[0,1,1] neg_lo:[1,0,0]
	v_pk_fma_f32 v[94:95], v[28:29], v[78:79], v[0:1] op_sel:[1,1,0] op_sel_hi:[0,1,1] neg_lo:[1,0,0]
	v_pk_fma_f32 v[38:39], v[96:97], v[78:79], v[38:39] op_sel:[0,1,0]
	v_pk_fma_f32 v[78:79], v[90:91], v[78:79], v[92:93] op_sel:[0,1,0]
	v_xor_b32_e32 v90, 0x80000000, v19
	v_mov_b32_e32 v91, v18
	v_pk_fma_f32 v[36:37], v[16:17], v[80:81], v[36:37] op_sel_hi:[1,0,1]
	v_pk_fma_f32 v[38:39], v[18:19], v[80:81], v[38:39] op_sel_hi:[1,0,1]
	v_pk_fma_f32 v[92:93], v[8:9], v[80:81], v[94:95] op_sel_hi:[1,0,1]
	v_pk_fma_f32 v[78:79], v[10:11], v[80:81], v[78:79] op_sel_hi:[1,0,1]
	v_mov_b32_e32 v80, v81
	v_pk_fma_f32 v[94:95], v[16:17], v[80:81], v[36:37] op_sel:[1,0,0] op_sel_hi:[0,0,1] neg_lo:[1,0,0]
	v_xor_b32_e32 v36, 0x80000000, v11
	v_mov_b32_e32 v37, v10
	v_pk_fma_f32 v[90:91], v[90:91], v[80:81], v[38:39] op_sel_hi:[1,0,1]
	v_pk_fma_f32 v[92:93], v[8:9], v[80:81], v[92:93] op_sel:[1,0,0] op_sel_hi:[0,0,1] neg_lo:[1,0,0]
	v_pk_fma_f32 v[78:79], v[36:37], v[80:81], v[78:79] op_sel_hi:[1,0,1]
	v_xor_b32_e32 v80, 0x80000000, v67
	v_mov_b32_e32 v81, v66
	s_waitcnt vmcnt(0)
	v_pk_fma_f32 v[90:91], v[66:67], v[82:83], v[90:91] op_sel_hi:[1,0,1]
	v_pk_fma_f32 v[94:95], v[64:65], v[82:83], v[94:95] op_sel_hi:[1,0,1]
	v_pk_fma_f32 v[80:81], v[80:81], v[82:83], v[90:91] op_sel:[0,1,0]
	v_xor_b32_e32 v90, 0x80000000, v63
	v_mov_b32_e32 v91, v62
	v_pk_fma_f32 v[92:93], v[60:61], v[82:83], v[92:93] op_sel_hi:[1,0,1]
	v_pk_fma_f32 v[78:79], v[62:63], v[82:83], v[78:79] op_sel_hi:[1,0,1]
	v_pk_fma_f32 v[94:95], v[64:65], v[82:83], v[94:95] op_sel:[1,1,0] op_sel_hi:[0,1,1] neg_lo:[1,0,0]
	v_pk_fma_f32 v[92:93], v[60:61], v[82:83], v[92:93] op_sel:[1,1,0] op_sel_hi:[0,1,1] neg_lo:[1,0,0]
	v_pk_fma_f32 v[78:79], v[90:91], v[82:83], v[78:79] op_sel:[0,1,0]
	v_pk_fma_f32 v[90:91], v[56:57], v[84:85], v[94:95] op_sel_hi:[1,0,1]
	v_pk_fma_f32 v[80:81], v[58:59], v[84:85], v[80:81] op_sel_hi:[1,0,1]
	;; [unrolled: 1-line block ×4, first 2 shown]
	v_mov_b32_e32 v84, v85
	v_pk_fma_f32 v[92:93], v[40:41], v[84:85], v[92:93] op_sel:[1,0,0] op_sel_hi:[0,0,1] neg_lo:[1,0,0]
	v_subrev_u32_e32 v40, s16, v89
	global_load_dwordx4 v[0:3], v[76:77], off offset:1584
	global_load_dwordx4 v[28:31], v[76:77], off offset:1568
	;; [unrolled: 1-line block ×7, first 2 shown]
	v_xor_b32_e32 v82, 0x80000000, v59
	v_mov_b32_e32 v83, v58
	v_pk_fma_f32 v[90:91], v[56:57], v[84:85], v[90:91] op_sel:[1,0,0] op_sel_hi:[0,0,1] neg_lo:[1,0,0]
	global_load_dwordx4 v[56:59], v[76:77], off offset:1648
	v_add_co_u32_e32 v76, vcc, 0x800, v76
	v_lshlrev_b32_e32 v40, 2, v40
	v_addc_co_u32_e32 v77, vcc, 0, v77, vcc
	v_ashrrev_i32_e32 v41, 31, v40
	v_cmp_ge_i32_e32 vcc, v74, v88
	v_lshlrev_b64 v[40:41], 3, v[40:41]
	s_or_b64 s[8:9], vcc, s[8:9]
	v_add_co_u32_e32 v98, vcc, s6, v40
	v_xor_b32_e32 v94, 0x80000000, v43
	v_mov_b32_e32 v95, v42
	v_addc_co_u32_e32 v99, vcc, v87, v41, vcc
	v_pk_fma_f32 v[82:83], v[82:83], v[84:85], v[80:81] op_sel_hi:[1,0,1]
	v_pk_fma_f32 v[84:85], v[94:95], v[84:85], v[78:79] op_sel_hi:[1,0,1]
	global_load_dwordx4 v[40:43], v[98:99], off
	global_load_dwordx4 v[78:81], v[98:99], off offset:16
	v_xor_b32_e32 v96, 0x80000000, v55
	v_mov_b32_e32 v97, v54
	s_waitcnt vmcnt(1)
	v_pk_fma_f32 v[90:91], v[52:53], v[40:41], v[90:91] op_sel_hi:[1,0,1]
	v_pk_fma_f32 v[54:55], v[54:55], v[40:41], v[82:83] op_sel_hi:[1,0,1]
	v_pk_fma_f32 v[82:83], v[52:53], v[40:41], v[90:91] op_sel:[1,1,0] op_sel_hi:[0,1,1] neg_lo:[1,0,0]
	v_lshlrev_b32_e32 v52, 2, v75
	v_ashrrev_i32_e32 v53, 31, v52
	v_lshlrev_b64 v[52:53], 3, v[52:53]
	v_add_co_u32_e32 v52, vcc, s6, v52
	v_addc_co_u32_e32 v53, vcc, v87, v53, vcc
	v_pk_fma_f32 v[92:93], v[32:33], v[40:41], v[92:93] op_sel_hi:[1,0,1]
	v_pk_fma_f32 v[84:85], v[34:35], v[40:41], v[84:85] op_sel_hi:[1,0,1]
	v_pk_fma_f32 v[92:93], v[32:33], v[40:41], v[92:93] op_sel:[1,1,0] op_sel_hi:[0,1,1] neg_lo:[1,0,0]
	global_load_dwordx4 v[32:35], v[52:53], off
	v_pk_fma_f32 v[94:95], v[96:97], v[40:41], v[54:55] op_sel:[0,1,0]
	global_load_dwordx4 v[52:55], v[52:53], off offset:16
	v_pk_fma_f32 v[40:41], v[100:101], v[40:41], v[84:85] op_sel:[0,1,0]
	v_xor_b32_e32 v90, 0x80000000, v51
	v_mov_b32_e32 v91, v50
	v_pk_fma_f32 v[82:83], v[48:49], v[42:43], v[82:83] op_sel_hi:[1,0,1]
	v_pk_fma_f32 v[50:51], v[50:51], v[42:43], v[94:95] op_sel_hi:[1,0,1]
	;; [unrolled: 1-line block ×4, first 2 shown]
	v_mov_b32_e32 v42, v43
	v_xor_b32_e32 v94, 0x80000000, v47
	v_mov_b32_e32 v95, v46
	v_pk_fma_f32 v[46:47], v[48:49], v[42:43], v[82:83] op_sel:[1,0,0] op_sel_hi:[0,0,1] neg_lo:[1,0,0]
	v_pk_fma_f32 v[44:45], v[44:45], v[42:43], v[92:93] op_sel:[1,0,0] op_sel_hi:[0,0,1] neg_lo:[1,0,0]
	v_pk_fma_f32 v[50:51], v[90:91], v[42:43], v[50:51] op_sel_hi:[1,0,1]
	v_pk_fma_f32 v[40:41], v[94:95], v[42:43], v[40:41] op_sel_hi:[1,0,1]
	v_xor_b32_e32 v84, 0x80000000, v7
	v_mov_b32_e32 v85, v6
	v_xor_b32_e32 v48, 0x80000000, v15
	v_mov_b32_e32 v49, v14
	s_waitcnt vmcnt(2)
	v_pk_fma_f32 v[46:47], v[4:5], v[78:79], v[46:47] op_sel_hi:[1,0,1]
	v_pk_fma_f32 v[6:7], v[6:7], v[78:79], v[50:51] op_sel_hi:[1,0,1]
	;; [unrolled: 1-line block ×4, first 2 shown]
	v_pk_fma_f32 v[4:5], v[4:5], v[78:79], v[46:47] op_sel:[1,1,0] op_sel_hi:[0,1,1] neg_lo:[1,0,0]
	v_pk_fma_f32 v[12:13], v[12:13], v[78:79], v[44:45] op_sel:[1,1,0] op_sel_hi:[0,1,1] neg_lo:[1,0,0]
	v_pk_fma_f32 v[6:7], v[84:85], v[78:79], v[6:7] op_sel:[0,1,0]
	v_pk_fma_f32 v[14:15], v[48:49], v[78:79], v[14:15] op_sel:[0,1,0]
	v_xor_b32_e32 v82, 0x80000000, v27
	v_mov_b32_e32 v83, v26
	v_xor_b32_e32 v92, 0x80000000, v23
	v_mov_b32_e32 v93, v22
	v_mov_b32_e32 v84, v81
	v_pk_fma_f32 v[4:5], v[24:25], v[80:81], v[4:5] op_sel_hi:[1,0,1]
	v_pk_fma_f32 v[6:7], v[26:27], v[80:81], v[6:7] op_sel_hi:[1,0,1]
	;; [unrolled: 1-line block ×4, first 2 shown]
	v_pk_fma_f32 v[4:5], v[24:25], v[84:85], v[4:5] op_sel:[1,0,0] op_sel_hi:[0,0,1] neg_lo:[1,0,0]
	v_pk_fma_f32 v[12:13], v[20:21], v[84:85], v[12:13] op_sel:[1,0,0] op_sel_hi:[0,0,1] neg_lo:[1,0,0]
	v_pk_fma_f32 v[6:7], v[82:83], v[84:85], v[6:7] op_sel_hi:[1,0,1]
	v_pk_fma_f32 v[14:15], v[92:93], v[84:85], v[14:15] op_sel_hi:[1,0,1]
	v_xor_b32_e32 v96, 0x80000000, v11
	v_mov_b32_e32 v97, v10
	v_xor_b32_e32 v46, 0x80000000, v19
	v_mov_b32_e32 v47, v18
	;; [unrolled: 2-line block ×8, first 2 shown]
	s_waitcnt vmcnt(1)
	v_pk_fma_f32 v[4:5], v[8:9], v[32:33], v[4:5] op_sel_hi:[1,0,1]
	v_pk_fma_f32 v[6:7], v[10:11], v[32:33], v[6:7] op_sel_hi:[1,0,1]
	;; [unrolled: 1-line block ×4, first 2 shown]
	v_pk_fma_f32 v[4:5], v[8:9], v[32:33], v[4:5] op_sel:[1,1,0] op_sel_hi:[0,1,1] neg_lo:[1,0,0]
	v_pk_fma_f32 v[6:7], v[96:97], v[32:33], v[6:7] op_sel:[0,1,0]
	v_pk_fma_f32 v[8:9], v[16:17], v[32:33], v[10:11] op_sel:[1,1,0] op_sel_hi:[0,1,1] neg_lo:[1,0,0]
	v_pk_fma_f32 v[10:11], v[46:47], v[32:33], v[12:13] op_sel:[0,1,0]
	v_mov_b32_e32 v48, v35
	v_pk_fma_f32 v[4:5], v[28:29], v[34:35], v[4:5] op_sel_hi:[1,0,1]
	v_pk_fma_f32 v[6:7], v[30:31], v[34:35], v[6:7] op_sel_hi:[1,0,1]
	v_pk_fma_f32 v[8:9], v[0:1], v[34:35], v[8:9] op_sel_hi:[1,0,1]
	v_pk_fma_f32 v[2:3], v[2:3], v[34:35], v[10:11] op_sel_hi:[1,0,1]
	v_pk_fma_f32 v[4:5], v[28:29], v[48:49], v[4:5] op_sel:[1,0,0] op_sel_hi:[0,0,1] neg_lo:[1,0,0]
	v_pk_fma_f32 v[6:7], v[90:91], v[48:49], v[6:7] op_sel_hi:[1,0,1]
	v_pk_fma_f32 v[0:1], v[0:1], v[48:49], v[8:9] op_sel:[1,0,0] op_sel_hi:[0,0,1] neg_lo:[1,0,0]
	v_pk_fma_f32 v[2:3], v[50:51], v[48:49], v[2:3] op_sel_hi:[1,0,1]
	s_waitcnt vmcnt(0)
	v_pk_fma_f32 v[4:5], v[64:65], v[52:53], v[4:5] op_sel_hi:[1,0,1]
	v_pk_fma_f32 v[6:7], v[66:67], v[52:53], v[6:7] op_sel_hi:[1,0,1]
	;; [unrolled: 1-line block ×4, first 2 shown]
	v_pk_fma_f32 v[4:5], v[64:65], v[52:53], v[4:5] op_sel:[1,1,0] op_sel_hi:[0,1,1] neg_lo:[1,0,0]
	v_pk_fma_f32 v[6:7], v[42:43], v[52:53], v[6:7] op_sel:[0,1,0]
	v_pk_fma_f32 v[0:1], v[36:37], v[52:53], v[0:1] op_sel:[1,1,0] op_sel_hi:[0,1,1] neg_lo:[1,0,0]
	v_pk_fma_f32 v[2:3], v[40:41], v[52:53], v[2:3] op_sel:[0,1,0]
	v_mov_b32_e32 v22, v55
	v_pk_fma_f32 v[4:5], v[60:61], v[54:55], v[4:5] op_sel_hi:[1,0,1]
	v_pk_fma_f32 v[6:7], v[62:63], v[54:55], v[6:7] op_sel_hi:[1,0,1]
	;; [unrolled: 1-line block ×4, first 2 shown]
	v_pk_fma_f32 v[82:83], v[60:61], v[22:23], v[4:5] op_sel:[1,0,0] op_sel_hi:[0,0,1] neg_lo:[1,0,0]
	v_pk_fma_f32 v[84:85], v[94:95], v[22:23], v[6:7] op_sel_hi:[1,0,1]
	v_pk_fma_f32 v[80:81], v[56:57], v[22:23], v[0:1] op_sel:[1,0,0] op_sel_hi:[0,0,1] neg_lo:[1,0,0]
	v_pk_fma_f32 v[78:79], v[44:45], v[22:23], v[2:3] op_sel_hi:[1,0,1]
	s_andn2_b64 exec, exec, s[8:9]
	s_cbranch_execnz .LBB10_39
; %bb.40:
	s_or_b64 exec, exec, s[8:9]
.LBB10_41:
	s_or_b64 exec, exec, s[0:1]
.LBB10_42:
	s_or_b64 exec, exec, s[2:3]
.LBB10_43:
	v_mov_b32_dpp v6, v85 row_shr:1 row_mask:0xf bank_mask:0xf
	v_add_f32_e32 v7, v85, v6
	v_mov_b32_dpp v0, v82 row_shr:1 row_mask:0xf bank_mask:0xf
	v_mov_b32_dpp v6, v80 row_shr:1 row_mask:0xf bank_mask:0xf
	v_add_f32_e32 v10, v80, v6
	v_mov_b32_dpp v2, v83 row_shr:1 row_mask:0xf bank_mask:0xf
	v_mov_b32_dpp v6, v81 row_shr:1 row_mask:0xf bank_mask:0xf
	v_add_f32_e32 v13, v81, v6
	v_mov_b32_dpp v4, v84 row_shr:1 row_mask:0xf bank_mask:0xf
	v_mov_b32_dpp v6, v78 row_shr:1 row_mask:0xf bank_mask:0xf
	v_add_f32_e32 v16, v78, v6
	v_add_f32_e32 v0, v82, v0
	v_mov_b32_dpp v6, v79 row_shr:1 row_mask:0xf bank_mask:0xf
	v_add_f32_e32 v2, v83, v2
	v_add_f32_e32 v4, v84, v4
	;; [unrolled: 1-line block ×3, first 2 shown]
	v_mov_b32_dpp v1, v0 row_shr:2 row_mask:0xf bank_mask:0xf
	v_mov_b32_dpp v3, v2 row_shr:2 row_mask:0xf bank_mask:0xf
	;; [unrolled: 1-line block ×8, first 2 shown]
	v_cmp_eq_u32_e32 vcc, 3, v73
	s_and_b64 exec, exec, vcc
	s_cbranch_execz .LBB10_14
; %bb.44:
	s_load_dwordx2 s[2:3], s[4:5], 0x50
	v_add_f32_e32 v8, v0, v1
	v_and_b32_e32 v1, 0x7fffffff, v70
	v_cmp_eq_u32_e32 vcc, 0, v1
	v_cmp_eq_f32_e64 s[0:1], 0, v71
	v_add_f32_e32 v14, v2, v3
	v_add_f32_e32 v6, v4, v5
	;; [unrolled: 1-line block ×7, first 2 shown]
	s_and_b64 s[0:1], vcc, s[0:1]
	v_lshlrev_b32_e32 v16, 2, v72
	s_and_saveexec_b64 s[4:5], s[0:1]
	s_xor_b64 s[0:1], exec, s[4:5]
	s_cbranch_execz .LBB10_46
; %bb.45:
	v_xor_b32_e32 v18, 0x80000000, v69
	v_ashrrev_i32_e32 v17, 31, v16
	v_mov_b32_e32 v19, v68
	v_lshlrev_b64 v[16:17], 3, v[16:17]
	v_pk_mul_f32 v[14:15], v[14:15], v[18:19] op_sel_hi:[0,1]
	s_waitcnt lgkmcnt(0)
	v_mov_b32_e32 v1, s3
	v_add_co_u32_e32 v20, vcc, s2, v16
	v_pk_fma_f32 v[14:15], v[68:69], v[8:9], v[14:15] op_sel_hi:[1,0,1]
	v_pk_mul_f32 v[8:9], v[12:13], v[18:19] op_sel_hi:[0,1]
	v_addc_co_u32_e32 v21, vcc, v1, v17, vcc
	v_pk_fma_f32 v[16:17], v[68:69], v[6:7], v[8:9] op_sel_hi:[1,0,1]
	v_pk_mul_f32 v[6:7], v[10:11], v[18:19] op_sel_hi:[0,1]
	v_pk_mul_f32 v[4:5], v[4:5], v[18:19] op_sel_hi:[0,1]
	v_pk_fma_f32 v[2:3], v[68:69], v[2:3], v[6:7] op_sel_hi:[1,0,1]
	v_pk_fma_f32 v[4:5], v[68:69], v[0:1], v[4:5] op_sel_hi:[1,0,1]
	global_store_dwordx4 v[20:21], v[14:17], off
	global_store_dwordx4 v[20:21], v[2:5], off offset:16
                                        ; implicit-def: $vgpr69
                                        ; implicit-def: $vgpr70
                                        ; implicit-def: $vgpr8
                                        ; implicit-def: $vgpr14
                                        ; implicit-def: $vgpr6
                                        ; implicit-def: $vgpr12
                                        ; implicit-def: $vgpr2
                                        ; implicit-def: $vgpr10
                                        ; implicit-def: $vgpr0
                                        ; implicit-def: $vgpr4
                                        ; implicit-def: $vgpr16
.LBB10_46:
	s_andn2_saveexec_b64 s[0:1], s[0:1]
	s_cbranch_execz .LBB10_14
; %bb.47:
	v_ashrrev_i32_e32 v17, 31, v16
	v_lshlrev_b64 v[16:17], 3, v[16:17]
	s_waitcnt lgkmcnt(0)
	v_mov_b32_e32 v1, s3
	v_add_co_u32_e32 v24, vcc, s2, v16
	v_addc_co_u32_e32 v25, vcc, v1, v17, vcc
	global_load_dwordx4 v[16:19], v[24:25], off
	global_load_dwordx4 v[20:23], v[24:25], off offset:16
	v_xor_b32_e32 v26, 0x80000000, v69
	v_mov_b32_e32 v27, v68
	v_pk_mul_f32 v[14:15], v[14:15], v[26:27] op_sel_hi:[0,1]
	v_pk_mul_f32 v[12:13], v[12:13], v[26:27] op_sel_hi:[0,1]
	;; [unrolled: 1-line block ×4, first 2 shown]
	v_pk_fma_f32 v[8:9], v[68:69], v[8:9], v[14:15] op_sel_hi:[1,0,1]
	v_pk_fma_f32 v[6:7], v[68:69], v[6:7], v[12:13] op_sel_hi:[1,0,1]
	v_xor_b32_e32 v28, 0x80000000, v71
	v_mov_b32_e32 v29, v70
	v_pk_fma_f32 v[2:3], v[68:69], v[2:3], v[10:11] op_sel_hi:[1,0,1]
	v_pk_fma_f32 v[0:1], v[68:69], v[0:1], v[4:5] op_sel_hi:[1,0,1]
	s_waitcnt vmcnt(1)
	v_pk_fma_f32 v[4:5], v[70:71], v[16:17], v[8:9] op_sel_hi:[1,0,1]
	v_pk_fma_f32 v[6:7], v[70:71], v[18:19], v[6:7] op_sel_hi:[1,0,1]
	v_mov_b32_e32 v8, v19
	s_waitcnt vmcnt(0)
	v_pk_fma_f32 v[10:11], v[70:71], v[20:21], v[2:3] op_sel_hi:[1,0,1]
	v_pk_fma_f32 v[12:13], v[70:71], v[22:23], v[0:1] op_sel_hi:[1,0,1]
	v_mov_b32_e32 v14, v23
	v_pk_fma_f32 v[0:1], v[28:29], v[16:17], v[4:5] op_sel:[0,1,0]
	v_pk_fma_f32 v[2:3], v[28:29], v[8:9], v[6:7] op_sel_hi:[1,0,1]
	v_pk_fma_f32 v[4:5], v[28:29], v[20:21], v[10:11] op_sel:[0,1,0]
	v_pk_fma_f32 v[6:7], v[28:29], v[14:15], v[12:13] op_sel_hi:[1,0,1]
	global_store_dwordx4 v[24:25], v[0:3], off
	global_store_dwordx4 v[24:25], v[4:7], off offset:16
	s_endpgm
	.section	.rodata,"a",@progbits
	.p2align	6, 0x0
	.amdhsa_kernel _ZN9rocsparseL18bsrxmvn_4x4_kernelILj128ELj4E21rocsparse_complex_numIfEiiS2_S2_S2_EEvT3_20rocsparse_direction_NS_24const_host_device_scalarIT1_EES3_PKS3_PKT2_SC_S9_PKT4_PKT5_S7_PT6_21rocsparse_index_base_b
		.amdhsa_group_segment_fixed_size 0
		.amdhsa_private_segment_fixed_size 0
		.amdhsa_kernarg_size 96
		.amdhsa_user_sgpr_count 6
		.amdhsa_user_sgpr_private_segment_buffer 1
		.amdhsa_user_sgpr_dispatch_ptr 0
		.amdhsa_user_sgpr_queue_ptr 0
		.amdhsa_user_sgpr_kernarg_segment_ptr 1
		.amdhsa_user_sgpr_dispatch_id 0
		.amdhsa_user_sgpr_flat_scratch_init 0
		.amdhsa_user_sgpr_kernarg_preload_length 0
		.amdhsa_user_sgpr_kernarg_preload_offset 0
		.amdhsa_user_sgpr_private_segment_size 0
		.amdhsa_uses_dynamic_stack 0
		.amdhsa_system_sgpr_private_segment_wavefront_offset 0
		.amdhsa_system_sgpr_workgroup_id_x 1
		.amdhsa_system_sgpr_workgroup_id_y 0
		.amdhsa_system_sgpr_workgroup_id_z 0
		.amdhsa_system_sgpr_workgroup_info 0
		.amdhsa_system_vgpr_workitem_id 0
		.amdhsa_next_free_vgpr 104
		.amdhsa_next_free_sgpr 18
		.amdhsa_accum_offset 104
		.amdhsa_reserve_vcc 1
		.amdhsa_reserve_flat_scratch 0
		.amdhsa_float_round_mode_32 0
		.amdhsa_float_round_mode_16_64 0
		.amdhsa_float_denorm_mode_32 3
		.amdhsa_float_denorm_mode_16_64 3
		.amdhsa_dx10_clamp 1
		.amdhsa_ieee_mode 1
		.amdhsa_fp16_overflow 0
		.amdhsa_tg_split 0
		.amdhsa_exception_fp_ieee_invalid_op 0
		.amdhsa_exception_fp_denorm_src 0
		.amdhsa_exception_fp_ieee_div_zero 0
		.amdhsa_exception_fp_ieee_overflow 0
		.amdhsa_exception_fp_ieee_underflow 0
		.amdhsa_exception_fp_ieee_inexact 0
		.amdhsa_exception_int_div_zero 0
	.end_amdhsa_kernel
	.section	.text._ZN9rocsparseL18bsrxmvn_4x4_kernelILj128ELj4E21rocsparse_complex_numIfEiiS2_S2_S2_EEvT3_20rocsparse_direction_NS_24const_host_device_scalarIT1_EES3_PKS3_PKT2_SC_S9_PKT4_PKT5_S7_PT6_21rocsparse_index_base_b,"axG",@progbits,_ZN9rocsparseL18bsrxmvn_4x4_kernelILj128ELj4E21rocsparse_complex_numIfEiiS2_S2_S2_EEvT3_20rocsparse_direction_NS_24const_host_device_scalarIT1_EES3_PKS3_PKT2_SC_S9_PKT4_PKT5_S7_PT6_21rocsparse_index_base_b,comdat
.Lfunc_end10:
	.size	_ZN9rocsparseL18bsrxmvn_4x4_kernelILj128ELj4E21rocsparse_complex_numIfEiiS2_S2_S2_EEvT3_20rocsparse_direction_NS_24const_host_device_scalarIT1_EES3_PKS3_PKT2_SC_S9_PKT4_PKT5_S7_PT6_21rocsparse_index_base_b, .Lfunc_end10-_ZN9rocsparseL18bsrxmvn_4x4_kernelILj128ELj4E21rocsparse_complex_numIfEiiS2_S2_S2_EEvT3_20rocsparse_direction_NS_24const_host_device_scalarIT1_EES3_PKS3_PKT2_SC_S9_PKT4_PKT5_S7_PT6_21rocsparse_index_base_b
                                        ; -- End function
	.section	.AMDGPU.csdata,"",@progbits
; Kernel info:
; codeLenInByte = 6848
; NumSgprs: 22
; NumVgprs: 104
; NumAgprs: 0
; TotalNumVgprs: 104
; ScratchSize: 0
; MemoryBound: 0
; FloatMode: 240
; IeeeMode: 1
; LDSByteSize: 0 bytes/workgroup (compile time only)
; SGPRBlocks: 2
; VGPRBlocks: 12
; NumSGPRsForWavesPerEU: 22
; NumVGPRsForWavesPerEU: 104
; AccumOffset: 104
; Occupancy: 4
; WaveLimiterHint : 1
; COMPUTE_PGM_RSRC2:SCRATCH_EN: 0
; COMPUTE_PGM_RSRC2:USER_SGPR: 6
; COMPUTE_PGM_RSRC2:TRAP_HANDLER: 0
; COMPUTE_PGM_RSRC2:TGID_X_EN: 1
; COMPUTE_PGM_RSRC2:TGID_Y_EN: 0
; COMPUTE_PGM_RSRC2:TGID_Z_EN: 0
; COMPUTE_PGM_RSRC2:TIDIG_COMP_CNT: 0
; COMPUTE_PGM_RSRC3_GFX90A:ACCUM_OFFSET: 25
; COMPUTE_PGM_RSRC3_GFX90A:TG_SPLIT: 0
	.section	.text._ZN9rocsparseL18bsrxmvn_4x4_kernelILj128ELj8E21rocsparse_complex_numIfEiiS2_S2_S2_EEvT3_20rocsparse_direction_NS_24const_host_device_scalarIT1_EES3_PKS3_PKT2_SC_S9_PKT4_PKT5_S7_PT6_21rocsparse_index_base_b,"axG",@progbits,_ZN9rocsparseL18bsrxmvn_4x4_kernelILj128ELj8E21rocsparse_complex_numIfEiiS2_S2_S2_EEvT3_20rocsparse_direction_NS_24const_host_device_scalarIT1_EES3_PKS3_PKT2_SC_S9_PKT4_PKT5_S7_PT6_21rocsparse_index_base_b,comdat
	.globl	_ZN9rocsparseL18bsrxmvn_4x4_kernelILj128ELj8E21rocsparse_complex_numIfEiiS2_S2_S2_EEvT3_20rocsparse_direction_NS_24const_host_device_scalarIT1_EES3_PKS3_PKT2_SC_S9_PKT4_PKT5_S7_PT6_21rocsparse_index_base_b ; -- Begin function _ZN9rocsparseL18bsrxmvn_4x4_kernelILj128ELj8E21rocsparse_complex_numIfEiiS2_S2_S2_EEvT3_20rocsparse_direction_NS_24const_host_device_scalarIT1_EES3_PKS3_PKT2_SC_S9_PKT4_PKT5_S7_PT6_21rocsparse_index_base_b
	.p2align	8
	.type	_ZN9rocsparseL18bsrxmvn_4x4_kernelILj128ELj8E21rocsparse_complex_numIfEiiS2_S2_S2_EEvT3_20rocsparse_direction_NS_24const_host_device_scalarIT1_EES3_PKS3_PKT2_SC_S9_PKT4_PKT5_S7_PT6_21rocsparse_index_base_b,@function
_ZN9rocsparseL18bsrxmvn_4x4_kernelILj128ELj8E21rocsparse_complex_numIfEiiS2_S2_S2_EEvT3_20rocsparse_direction_NS_24const_host_device_scalarIT1_EES3_PKS3_PKT2_SC_S9_PKT4_PKT5_S7_PT6_21rocsparse_index_base_b: ; @_ZN9rocsparseL18bsrxmvn_4x4_kernelILj128ELj8E21rocsparse_complex_numIfEiiS2_S2_S2_EEvT3_20rocsparse_direction_NS_24const_host_device_scalarIT1_EES3_PKS3_PKT2_SC_S9_PKT4_PKT5_S7_PT6_21rocsparse_index_base_b
; %bb.0:
	s_load_dwordx2 s[16:17], s[4:5], 0x58
	s_load_dwordx2 s[8:9], s[4:5], 0x8
	;; [unrolled: 1-line block ×3, first 2 shown]
	s_waitcnt lgkmcnt(0)
	s_bitcmp1_b32 s17, 0
	s_cselect_b64 s[0:1], -1, 0
	s_xor_b64 s[10:11], s[0:1], -1
	s_and_b64 vcc, exec, s[0:1]
	v_mov_b32_e32 v68, s8
	s_cbranch_vccnz .LBB11_2
; %bb.1:
	v_pk_mov_b32 v[2:3], s[8:9], s[8:9] op_sel:[0,1]
	flat_load_dword v68, v[2:3]
.LBB11_2:
	v_cndmask_b32_e64 v1, 0, 1, s[10:11]
	v_cmp_ne_u32_e64 s[0:1], 1, v1
	s_andn2_b64 vcc, exec, s[10:11]
	v_mov_b32_e32 v69, s9
	s_cbranch_vccz .LBB11_15
; %bb.3:
	s_and_b64 vcc, exec, s[0:1]
	v_mov_b32_e32 v70, s2
	s_cbranch_vccz .LBB11_16
.LBB11_4:
	s_and_b64 vcc, exec, s[0:1]
	v_mov_b32_e32 v71, s3
	s_cbranch_vccnz .LBB11_6
.LBB11_5:
	v_pk_mov_b32 v[2:3], s[2:3], s[2:3] op_sel:[0,1]
	flat_load_dword v71, v[2:3] offset:4
.LBB11_6:
	s_waitcnt vmcnt(0) lgkmcnt(0)
	v_and_b32_e32 v1, 0x7fffffff, v68
	v_cmp_eq_u32_e32 vcc, 0, v1
	v_cmp_eq_f32_e64 s[0:1], 0, v69
	s_and_b64 s[8:9], vcc, s[0:1]
	s_mov_b64 s[0:1], -1
	s_and_saveexec_b64 s[2:3], s[8:9]
; %bb.7:
	v_and_b32_e32 v1, 0x7fffffff, v71
	v_cmp_neq_f32_e32 vcc, 1.0, v70
	v_cmp_ne_u32_e64 s[0:1], 0, v1
	s_or_b64 s[0:1], vcc, s[0:1]
	s_orn2_b64 s[0:1], s[0:1], exec
; %bb.8:
	s_or_b64 exec, exec, s[2:3]
	s_and_saveexec_b64 s[2:3], s[0:1]
	s_cbranch_execz .LBB11_14
; %bb.9:
	s_load_dwordx2 s[8:9], s[4:5], 0x18
	s_load_dwordx2 s[0:1], s[4:5], 0x0
	v_lshrrev_b32_e32 v1, 3, v0
	v_lshl_or_b32 v72, s6, 4, v1
	s_mov_b64 s[2:3], 0
	s_waitcnt lgkmcnt(0)
	s_cmp_lg_u64 s[8:9], 0
	s_cbranch_scc0 .LBB11_17
; %bb.10:
	s_load_dword s6, s[4:5], 0x10
                                        ; implicit-def: $vgpr1
	s_waitcnt lgkmcnt(0)
	v_cmp_gt_i32_e32 vcc, s6, v72
	s_and_saveexec_b64 s[6:7], vcc
	s_xor_b64 s[6:7], exec, s[6:7]
	s_cbranch_execz .LBB11_12
; %bb.11:
	v_ashrrev_i32_e32 v73, 31, v72
	v_lshlrev_b64 v[2:3], 2, v[72:73]
	v_mov_b32_e32 v1, s9
	v_add_co_u32_e32 v2, vcc, s8, v2
	v_addc_co_u32_e32 v3, vcc, v1, v3, vcc
	global_load_dword v1, v[2:3], off
	s_mov_b64 s[2:3], exec
	s_waitcnt vmcnt(0)
	v_subrev_u32_e32 v1, s16, v1
.LBB11_12:
	s_or_b64 exec, exec, s[6:7]
	s_branch .LBB11_18
.LBB11_13:
	v_cmp_gt_i32_e32 vcc, s0, v72
	s_andn2_b64 s[2:3], s[2:3], exec
	s_and_b64 s[6:7], vcc, exec
	s_or_b64 s[2:3], s[2:3], s[6:7]
	s_and_b64 exec, exec, s[2:3]
	s_cbranch_execnz .LBB11_19
.LBB11_14:
	s_endpgm
.LBB11_15:
	v_pk_mov_b32 v[2:3], s[8:9], s[8:9] op_sel:[0,1]
	flat_load_dword v69, v[2:3] offset:4
	s_and_b64 vcc, exec, s[0:1]
	v_mov_b32_e32 v70, s2
	s_cbranch_vccnz .LBB11_4
.LBB11_16:
	v_pk_mov_b32 v[2:3], s[2:3], s[2:3] op_sel:[0,1]
	flat_load_dword v70, v[2:3]
	s_and_b64 vcc, exec, s[0:1]
	v_mov_b32_e32 v71, s3
	s_cbranch_vccz .LBB11_5
	s_branch .LBB11_6
.LBB11_17:
                                        ; implicit-def: $vgpr1
	s_cbranch_execnz .LBB11_13
.LBB11_18:
	v_mov_b32_e32 v72, v1
	s_and_b64 exec, exec, s[2:3]
	s_cbranch_execz .LBB11_14
.LBB11_19:
	s_load_dwordx8 s[8:15], s[4:5], 0x20
	v_ashrrev_i32_e32 v73, 31, v72
	v_lshlrev_b64 v[2:3], 2, v[72:73]
	v_and_b32_e32 v73, 7, v0
	s_load_dwordx2 s[6:7], s[4:5], 0x40
	s_waitcnt lgkmcnt(0)
	v_mov_b32_e32 v1, s9
	v_add_co_u32_e32 v4, vcc, s8, v2
	v_addc_co_u32_e32 v5, vcc, v1, v3, vcc
	v_add_co_u32_e32 v1, vcc, 4, v4
	global_load_dword v89, v[4:5], off
	v_addc_co_u32_e32 v4, vcc, 0, v5, vcc
	v_mov_b32_e32 v5, s11
	v_add_co_u32_e32 v2, vcc, s10, v2
	s_cmp_eq_u64 s[10:11], 0
	v_addc_co_u32_e32 v3, vcc, v5, v3, vcc
	s_cselect_b64 vcc, -1, 0
	v_cndmask_b32_e32 v3, v3, v4, vcc
	v_cndmask_b32_e32 v2, v2, v1, vcc
	global_load_dword v1, v[2:3], off
	v_mov_b32_e32 v2, s15
	s_cmp_eq_u32 s1, 1
	s_waitcnt vmcnt(1)
	v_subrev_u32_e32 v0, s16, v89
	v_add_u32_e32 v74, v0, v73
	v_ashrrev_i32_e32 v75, 31, v74
	s_waitcnt vmcnt(0)
	v_subrev_u32_e32 v88, s16, v1
	v_lshlrev_b64 v[0:1], 7, v[74:75]
	v_add_co_u32_e32 v76, vcc, s14, v0
	v_addc_co_u32_e32 v77, vcc, v2, v1, vcc
	v_cmp_lt_i32_e64 s[0:1], v74, v88
	s_cbranch_scc1 .LBB11_31
; %bb.20:
	s_mov_b32 s2, 0
	v_mov_b32_e32 v83, 0
	v_mov_b32_e32 v82, 0
	;; [unrolled: 1-line block ×8, first 2 shown]
	s_and_saveexec_b64 s[8:9], s[0:1]
	s_cbranch_execz .LBB11_30
; %bb.21:
	v_add_u32_e32 v0, v89, v73
	v_subrev_u32_e32 v0, s16, v0
	v_add_u32_e32 v0, 8, v0
	v_max_i32_e32 v0, v0, v88
	v_not_b32_e32 v1, v89
	v_add3_u32 v0, v0, s16, v1
	v_sub_u32_e32 v0, v0, v73
	v_lshrrev_b32_e32 v1, 3, v0
	v_add_u32_e32 v1, 1, v1
	v_and_b32_e32 v1, 3, v1
	s_mov_b32 s3, s2
	v_cmp_ne_u32_e32 vcc, 0, v1
	v_pk_mov_b32 v[82:83], s[2:3], s[2:3] op_sel:[0,1]
	v_pk_mov_b32 v[78:79], s[2:3], s[2:3] op_sel:[0,1]
	;; [unrolled: 1-line block ×5, first 2 shown]
	v_mov_b32_e32 v64, v74
	s_and_saveexec_b64 s[2:3], vcc
	s_cbranch_execz .LBB11_25
; %bb.22:
	v_mov_b32_e32 v84, 0
	v_lshlrev_b32_e32 v1, 7, v1
	s_mov_b64 s[10:11], 0
	v_mov_b32_e32 v2, s13
	v_mov_b32_e32 v3, s7
	s_movk_i32 s14, 0x400
	v_mov_b32_e32 v64, v74
	v_pk_mov_b32 v[66:67], v[76:77], v[76:77] op_sel:[0,1]
	v_mov_b32_e32 v85, v84
	v_mov_b32_e32 v80, v84
	;; [unrolled: 1-line block ×7, first 2 shown]
.LBB11_23:                              ; =>This Inner Loop Header: Depth=1
	v_ashrrev_i32_e32 v65, 31, v64
	v_lshlrev_b64 v[4:5], 2, v[64:65]
	v_add_co_u32_e32 v36, vcc, s12, v4
	v_addc_co_u32_e32 v37, vcc, v2, v5, vcc
	global_load_dword v38, v[36:37], off
	global_load_dwordx4 v[4:7], v[66:67], off
	global_load_dwordx4 v[8:11], v[66:67], off offset:16
	global_load_dwordx4 v[12:15], v[66:67], off offset:48
	;; [unrolled: 1-line block ×7, first 2 shown]
	v_add_u32_e32 v1, 0xffffff80, v1
	v_add_u32_e32 v64, 8, v64
	s_waitcnt vmcnt(8)
	v_subrev_u32_e32 v36, s16, v38
	v_lshlrev_b32_e32 v36, 2, v36
	v_ashrrev_i32_e32 v37, 31, v36
	v_lshlrev_b64 v[36:37], 3, v[36:37]
	v_add_co_u32_e32 v44, vcc, s6, v36
	v_addc_co_u32_e32 v45, vcc, v3, v37, vcc
	global_load_dwordx4 v[36:39], v[44:45], off
	global_load_dwordx4 v[40:43], v[44:45], off offset:16
	s_waitcnt vmcnt(9)
	v_xor_b32_e32 v44, 0x80000000, v7
	v_mov_b32_e32 v45, v6
	s_waitcnt vmcnt(6)
	v_xor_b32_e32 v48, 0x80000000, v19
	v_mov_b32_e32 v49, v18
	s_waitcnt vmcnt(2)
	v_xor_b32_e32 v52, 0x80000000, v35
	v_mov_b32_e32 v53, v34
	v_xor_b32_e32 v56, 0x80000000, v27
	v_mov_b32_e32 v57, v26
	v_add_co_u32_e32 v66, vcc, s14, v66
	v_addc_co_u32_e32 v67, vcc, 0, v67, vcc
	v_cmp_eq_u32_e32 vcc, 0, v1
	v_xor_b32_e32 v46, 0x80000000, v11
	v_mov_b32_e32 v47, v10
	v_xor_b32_e32 v50, 0x80000000, v15
	v_mov_b32_e32 v51, v14
	;; [unrolled: 2-line block ×4, first 2 shown]
	s_or_b64 s[10:11], vcc, s[10:11]
	s_waitcnt vmcnt(1)
	v_pk_fma_f32 v[60:61], v[4:5], v[36:37], v[82:83] op_sel_hi:[1,0,1]
	v_pk_fma_f32 v[62:63], v[16:17], v[36:37], v[84:85] op_sel_hi:[1,0,1]
	;; [unrolled: 1-line block ×4, first 2 shown]
	v_pk_fma_f32 v[4:5], v[4:5], v[36:37], v[60:61] op_sel:[1,1,0] op_sel_hi:[0,1,1] neg_lo:[1,0,0]
	v_pk_fma_f32 v[16:17], v[16:17], v[36:37], v[62:63] op_sel:[1,1,0] op_sel_hi:[0,1,1] neg_lo:[1,0,0]
	;; [unrolled: 1-line block ×4, first 2 shown]
	v_mov_b32_e32 v82, v39
	v_pk_fma_f32 v[4:5], v[6:7], v[38:39], v[4:5] op_sel_hi:[1,0,1]
	v_pk_fma_f32 v[6:7], v[18:19], v[38:39], v[16:17] op_sel_hi:[1,0,1]
	;; [unrolled: 1-line block ×8, first 2 shown]
	s_waitcnt vmcnt(0)
	v_pk_fma_f32 v[4:5], v[8:9], v[40:41], v[4:5] op_sel_hi:[1,0,1]
	v_pk_fma_f32 v[6:7], v[12:13], v[40:41], v[6:7] op_sel_hi:[1,0,1]
	;; [unrolled: 1-line block ×4, first 2 shown]
	v_pk_fma_f32 v[4:5], v[8:9], v[40:41], v[4:5] op_sel:[1,1,0] op_sel_hi:[0,1,1] neg_lo:[1,0,0]
	v_pk_fma_f32 v[6:7], v[12:13], v[40:41], v[6:7] op_sel:[1,1,0] op_sel_hi:[0,1,1] neg_lo:[1,0,0]
	;; [unrolled: 1-line block ×4, first 2 shown]
	v_mov_b32_e32 v86, v43
	v_pk_fma_f32 v[4:5], v[10:11], v[42:43], v[4:5] op_sel_hi:[1,0,1]
	v_pk_fma_f32 v[6:7], v[14:15], v[42:43], v[6:7] op_sel_hi:[1,0,1]
	;; [unrolled: 1-line block ×8, first 2 shown]
	s_andn2_b64 exec, exec, s[10:11]
	s_cbranch_execnz .LBB11_23
; %bb.24:
	s_or_b64 exec, exec, s[10:11]
.LBB11_25:
	s_or_b64 exec, exec, s[2:3]
	v_cmp_lt_u32_e32 vcc, 23, v0
	s_and_saveexec_b64 s[10:11], vcc
	s_cbranch_execz .LBB11_29
; %bb.26:
	s_mov_b64 s[14:15], 0
	v_mov_b32_e32 v75, s13
	v_mov_b32_e32 v90, s7
.LBB11_27:                              ; =>This Inner Loop Header: Depth=1
	v_ashrrev_i32_e32 v65, 31, v64
	v_lshlrev_b64 v[60:61], 2, v[64:65]
	v_add_co_u32_e32 v86, vcc, s12, v60
	v_addc_co_u32_e32 v87, vcc, v75, v61, vcc
	global_load_dwordx4 v[4:7], v[66:67], off offset:48
	global_load_dwordx4 v[44:47], v[66:67], off offset:32
	;; [unrolled: 1-line block ×3, first 2 shown]
	global_load_dwordx4 v[56:59], v[66:67], off
	global_load_dwordx4 v[16:19], v[66:67], off offset:112
	global_load_dwordx4 v[0:3], v[66:67], off offset:96
	;; [unrolled: 1-line block ×11, first 2 shown]
	global_load_dword v60, v[86:87], off
	v_add_u32_e32 v64, 32, v64
	s_waitcnt vmcnt(14)
	v_xor_b32_e32 v98, 0x80000000, v47
	v_mov_b32_e32 v99, v46
	s_waitcnt vmcnt(12)
	v_xor_b32_e32 v92, 0x80000000, v59
	v_mov_b32_e32 v93, v58
	;; [unrolled: 3-line block ×3, first 2 shown]
	s_waitcnt vmcnt(0)
	v_subrev_u32_e32 v60, s16, v60
	v_lshlrev_b32_e32 v60, 2, v60
	v_ashrrev_i32_e32 v61, 31, v60
	v_lshlrev_b64 v[60:61], 3, v[60:61]
	v_add_co_u32_e32 v94, vcc, s6, v60
	v_addc_co_u32_e32 v95, vcc, v90, v61, vcc
	global_load_dwordx4 v[60:63], v[94:95], off
	s_waitcnt vmcnt(0)
	v_pk_fma_f32 v[82:83], v[56:57], v[60:61], v[82:83] op_sel_hi:[1,0,1]
	v_pk_fma_f32 v[56:57], v[56:57], v[60:61], v[82:83] op_sel:[1,1,0] op_sel_hi:[0,1,1] neg_lo:[1,0,0]
	v_pk_fma_f32 v[96:97], v[58:59], v[62:63], v[56:57] op_sel_hi:[1,0,1]
	v_pk_fma_f32 v[56:57], v[44:45], v[60:61], v[84:85] op_sel_hi:[1,0,1]
	v_pk_fma_f32 v[44:45], v[44:45], v[60:61], v[56:57] op_sel:[1,1,0] op_sel_hi:[0,1,1] neg_lo:[1,0,0]
	v_pk_fma_f32 v[56:57], v[12:13], v[60:61], v[80:81] op_sel_hi:[1,0,1]
	v_pk_fma_f32 v[12:13], v[12:13], v[60:61], v[56:57] op_sel:[1,1,0] op_sel_hi:[0,1,1] neg_lo:[1,0,0]
	v_pk_fma_f32 v[80:81], v[14:15], v[62:63], v[12:13] op_sel_hi:[1,0,1]
	v_pk_fma_f32 v[12:13], v[0:1], v[60:61], v[78:79] op_sel_hi:[1,0,1]
	v_pk_fma_f32 v[0:1], v[0:1], v[60:61], v[12:13] op_sel:[1,1,0] op_sel_hi:[0,1,1] neg_lo:[1,0,0]
	v_pk_fma_f32 v[44:45], v[46:47], v[62:63], v[44:45] op_sel_hi:[1,0,1]
	v_xor_b32_e32 v46, 0x80000000, v15
	v_mov_b32_e32 v47, v14
	v_pk_fma_f32 v[60:61], v[2:3], v[62:63], v[0:1] op_sel_hi:[1,0,1]
	v_mov_b32_e32 v62, v63
	v_pk_fma_f32 v[78:79], v[92:93], v[62:63], v[96:97] op_sel_hi:[1,0,1]
	v_pk_fma_f32 v[92:93], v[98:99], v[62:63], v[44:45] op_sel_hi:[1,0,1]
	;; [unrolled: 1-line block ×3, first 2 shown]
	global_load_dwordx4 v[44:47], v[94:95], off offset:16
	v_pk_fma_f32 v[98:99], v[100:101], v[62:63], v[60:61] op_sel_hi:[1,0,1]
	v_mov_b32_e32 v95, v18
	v_xor_b32_e32 v94, 0x80000000, v19
	v_xor_b32_e32 v96, 0x80000000, v11
	v_mov_b32_e32 v97, v10
	global_load_dwordx4 v[82:85], v[66:67], off offset:1088
	global_load_dwordx4 v[0:3], v[66:67], off offset:2096
	;; [unrolled: 1-line block ×4, first 2 shown]
	s_waitcnt vmcnt(4)
	v_pk_fma_f32 v[60:61], v[8:9], v[44:45], v[78:79] op_sel_hi:[1,0,1]
	v_pk_fma_f32 v[78:79], v[4:5], v[44:45], v[92:93] op_sel_hi:[1,0,1]
	v_pk_fma_f32 v[4:5], v[4:5], v[44:45], v[78:79] op_sel:[1,1,0] op_sel_hi:[0,1,1] neg_lo:[1,0,0]
	v_pk_fma_f32 v[78:79], v[6:7], v[46:47], v[4:5] op_sel_hi:[1,0,1]
	v_pk_fma_f32 v[4:5], v[28:29], v[44:45], v[80:81] op_sel_hi:[1,0,1]
	v_pk_fma_f32 v[4:5], v[28:29], v[44:45], v[4:5] op_sel:[1,1,0] op_sel_hi:[0,1,1] neg_lo:[1,0,0]
	v_pk_fma_f32 v[28:29], v[16:17], v[44:45], v[98:99] op_sel_hi:[1,0,1]
	v_pk_fma_f32 v[16:17], v[16:17], v[44:45], v[28:29] op_sel:[1,1,0] op_sel_hi:[0,1,1] neg_lo:[1,0,0]
	v_pk_fma_f32 v[16:17], v[18:19], v[46:47], v[16:17] op_sel_hi:[1,0,1]
	global_load_dword v18, v[86:87], off offset:32
	v_pk_fma_f32 v[8:9], v[8:9], v[44:45], v[60:61] op_sel:[1,1,0] op_sel_hi:[0,1,1] neg_lo:[1,0,0]
	v_pk_fma_f32 v[8:9], v[10:11], v[46:47], v[8:9] op_sel_hi:[1,0,1]
	v_xor_b32_e32 v10, 0x80000000, v7
	v_mov_b32_e32 v11, v6
	v_xor_b32_e32 v92, 0x80000000, v31
	v_mov_b32_e32 v93, v30
	v_pk_fma_f32 v[80:81], v[30:31], v[46:47], v[4:5] op_sel_hi:[1,0,1]
	global_load_dwordx4 v[60:63], v[66:67], off offset:2048
	s_waitcnt vmcnt(5)
	v_xor_b32_e32 v102, 0x80000000, v85
	v_mov_b32_e32 v103, v84
	global_load_dwordx4 v[4:7], v[66:67], off offset:2160
	global_load_dwordx4 v[28:31], v[66:67], off offset:2128
	s_waitcnt vmcnt(3)
	v_subrev_u32_e32 v18, s16, v18
	v_lshlrev_b32_e32 v18, 2, v18
	v_ashrrev_i32_e32 v19, 31, v18
	v_lshlrev_b64 v[18:19], 3, v[18:19]
	v_add_co_u32_e32 v98, vcc, s6, v18
	v_addc_co_u32_e32 v99, vcc, v90, v19, vcc
	v_mov_b32_e32 v18, v47
	v_pk_fma_f32 v[8:9], v[96:97], v[18:19], v[8:9] op_sel_hi:[1,0,1]
	v_pk_fma_f32 v[10:11], v[10:11], v[18:19], v[78:79] op_sel_hi:[1,0,1]
	;; [unrolled: 1-line block ×4, first 2 shown]
	global_load_dwordx4 v[16:19], v[98:99], off
	v_xor_b32_e32 v80, 0x80000000, v55
	v_mov_b32_e32 v81, v54
	v_xor_b32_e32 v96, 0x80000000, v23
	v_mov_b32_e32 v97, v22
	global_load_dwordx4 v[44:47], v[66:67], off offset:2144
	s_waitcnt vmcnt(1)
	v_pk_fma_f32 v[8:9], v[52:53], v[16:17], v[8:9] op_sel_hi:[1,0,1]
	v_pk_fma_f32 v[8:9], v[52:53], v[16:17], v[8:9] op_sel:[1,1,0] op_sel_hi:[0,1,1] neg_lo:[1,0,0]
	v_pk_fma_f32 v[94:95], v[54:55], v[18:19], v[8:9] op_sel_hi:[1,0,1]
	v_pk_fma_f32 v[8:9], v[20:21], v[16:17], v[10:11] op_sel_hi:[1,0,1]
	v_pk_fma_f32 v[8:9], v[20:21], v[16:17], v[8:9] op_sel:[1,1,0] op_sel_hi:[0,1,1] neg_lo:[1,0,0]
	v_pk_fma_f32 v[100:101], v[22:23], v[18:19], v[8:9] op_sel_hi:[1,0,1]
	;; [unrolled: 3-line block ×3, first 2 shown]
	v_pk_fma_f32 v[8:9], v[48:49], v[16:17], v[92:93] op_sel_hi:[1,0,1]
	v_pk_fma_f32 v[8:9], v[48:49], v[16:17], v[8:9] op_sel:[1,1,0] op_sel_hi:[0,1,1] neg_lo:[1,0,0]
	v_xor_b32_e32 v82, 0x80000000, v51
	v_mov_b32_e32 v83, v50
	v_pk_fma_f32 v[48:49], v[50:51], v[18:19], v[8:9] op_sel_hi:[1,0,1]
	v_mov_b32_e32 v50, v19
	v_pk_fma_f32 v[80:81], v[80:81], v[50:51], v[94:95] op_sel_hi:[1,0,1]
	v_pk_fma_f32 v[84:85], v[96:97], v[50:51], v[100:101] op_sel_hi:[1,0,1]
	;; [unrolled: 1-line block ×4, first 2 shown]
	global_load_dwordx4 v[48:51], v[98:99], off offset:16
	v_xor_b32_e32 v92, 0x80000000, v35
	v_mov_b32_e32 v93, v34
	v_xor_b32_e32 v96, 0x80000000, v43
	v_mov_b32_e32 v97, v42
	global_load_dwordx4 v[52:55], v[66:67], off offset:2112
	global_load_dwordx4 v[8:11], v[66:67], off offset:3120
	;; [unrolled: 1-line block ×4, first 2 shown]
	v_xor_b32_e32 v94, 0x80000000, v27
	v_mov_b32_e32 v95, v26
	v_xor_b32_e32 v98, 0x80000000, v39
	v_mov_b32_e32 v99, v38
	s_waitcnt vmcnt(4)
	v_pk_fma_f32 v[84:85], v[24:25], v[48:49], v[84:85] op_sel_hi:[1,0,1]
	v_pk_fma_f32 v[24:25], v[24:25], v[48:49], v[84:85] op_sel:[1,1,0] op_sel_hi:[0,1,1] neg_lo:[1,0,0]
	v_pk_fma_f32 v[84:85], v[26:27], v[50:51], v[24:25] op_sel_hi:[1,0,1]
	v_pk_fma_f32 v[24:25], v[40:41], v[48:49], v[78:79] op_sel_hi:[1,0,1]
	v_pk_fma_f32 v[24:25], v[40:41], v[48:49], v[24:25] op_sel:[1,1,0] op_sel_hi:[0,1,1] neg_lo:[1,0,0]
	v_pk_fma_f32 v[40:41], v[36:37], v[48:49], v[82:83] op_sel_hi:[1,0,1]
	v_pk_fma_f32 v[80:81], v[32:33], v[48:49], v[80:81] op_sel_hi:[1,0,1]
	v_pk_fma_f32 v[36:37], v[36:37], v[48:49], v[40:41] op_sel:[1,1,0] op_sel_hi:[0,1,1] neg_lo:[1,0,0]
	v_pk_fma_f32 v[32:33], v[32:33], v[48:49], v[80:81] op_sel:[1,1,0] op_sel_hi:[0,1,1] neg_lo:[1,0,0]
	v_pk_fma_f32 v[48:49], v[38:39], v[50:51], v[36:37] op_sel_hi:[1,0,1]
	global_load_dword v36, v[86:87], off offset:64
	v_pk_fma_f32 v[80:81], v[34:35], v[50:51], v[32:33] op_sel_hi:[1,0,1]
	v_pk_fma_f32 v[78:79], v[42:43], v[50:51], v[24:25] op_sel_hi:[1,0,1]
	v_mov_b32_e32 v50, v51
	global_load_dwordx4 v[32:35], v[66:67], off offset:3072
	global_load_dwordx4 v[24:27], v[66:67], off offset:3184
	;; [unrolled: 1-line block ×3, first 2 shown]
	v_pk_fma_f32 v[92:93], v[92:93], v[50:51], v[80:81] op_sel_hi:[1,0,1]
	v_pk_fma_f32 v[84:85], v[94:95], v[50:51], v[84:85] op_sel_hi:[1,0,1]
	v_xor_b32_e32 v94, 0x80000000, v63
	v_mov_b32_e32 v95, v62
	s_waitcnt vmcnt(3)
	v_subrev_u32_e32 v36, s16, v36
	v_lshlrev_b32_e32 v36, 2, v36
	v_ashrrev_i32_e32 v37, 31, v36
	v_lshlrev_b64 v[36:37], 3, v[36:37]
	v_add_co_u32_e32 v82, vcc, s6, v36
	v_addc_co_u32_e32 v83, vcc, v90, v37, vcc
	global_load_dwordx4 v[36:39], v[66:67], off offset:3152
	global_load_dword v65, v[86:87], off offset:96
	v_pk_fma_f32 v[86:87], v[96:97], v[50:51], v[78:79] op_sel_hi:[1,0,1]
	global_load_dwordx4 v[78:81], v[82:83], off
	v_pk_fma_f32 v[96:97], v[98:99], v[50:51], v[48:49] op_sel_hi:[1,0,1]
	v_xor_b32_e32 v98, 0x80000000, v47
	v_mov_b32_e32 v99, v46
	s_waitcnt vmcnt(0)
	v_pk_fma_f32 v[48:49], v[60:61], v[78:79], v[92:93] op_sel_hi:[1,0,1]
	v_pk_fma_f32 v[48:49], v[60:61], v[78:79], v[48:49] op_sel:[1,1,0] op_sel_hi:[0,1,1] neg_lo:[1,0,0]
	v_pk_fma_f32 v[60:61], v[62:63], v[80:81], v[48:49] op_sel_hi:[1,0,1]
	v_pk_fma_f32 v[48:49], v[56:57], v[78:79], v[84:85] op_sel_hi:[1,0,1]
	v_pk_fma_f32 v[48:49], v[56:57], v[78:79], v[48:49] op_sel:[1,1,0] op_sel_hi:[0,1,1] neg_lo:[1,0,0]
	v_pk_fma_f32 v[56:57], v[52:53], v[78:79], v[86:87] op_sel_hi:[1,0,1]
	v_pk_fma_f32 v[52:53], v[52:53], v[78:79], v[56:57] op_sel:[1,1,0] op_sel_hi:[0,1,1] neg_lo:[1,0,0]
	v_pk_fma_f32 v[86:87], v[54:55], v[80:81], v[52:53] op_sel_hi:[1,0,1]
	v_subrev_u32_e32 v52, s16, v65
	v_lshlrev_b32_e32 v52, 2, v52
	v_ashrrev_i32_e32 v53, 31, v52
	v_lshlrev_b64 v[52:53], 3, v[52:53]
	v_add_co_u32_e64 v56, s[2:3], s6, v52
	v_xor_b32_e32 v92, 0x80000000, v55
	v_mov_b32_e32 v93, v54
	v_addc_co_u32_e64 v57, s[2:3], v90, v53, s[2:3]
	global_load_dwordx4 v[52:55], v[82:83], off offset:16
	v_xor_b32_e32 v62, 0x80000000, v59
	v_mov_b32_e32 v63, v58
	v_pk_fma_f32 v[84:85], v[58:59], v[80:81], v[48:49] op_sel_hi:[1,0,1]
	v_pk_fma_f32 v[58:59], v[44:45], v[78:79], v[96:97] op_sel_hi:[1,0,1]
	v_pk_fma_f32 v[44:45], v[44:45], v[78:79], v[58:59] op_sel:[1,1,0] op_sel_hi:[0,1,1] neg_lo:[1,0,0]
	global_load_dwordx4 v[48:51], v[66:67], off offset:3136
	v_pk_fma_f32 v[78:79], v[46:47], v[80:81], v[44:45] op_sel_hi:[1,0,1]
	global_load_dwordx4 v[44:47], v[56:57], off
	v_mov_b32_e32 v80, v81
	global_load_dwordx4 v[56:59], v[56:57], off offset:16
	v_pk_fma_f32 v[60:61], v[94:95], v[80:81], v[60:61] op_sel_hi:[1,0,1]
	v_pk_fma_f32 v[62:63], v[62:63], v[80:81], v[84:85] op_sel_hi:[1,0,1]
	;; [unrolled: 1-line block ×4, first 2 shown]
	v_xor_b32_e32 v82, 0x80000000, v15
	v_mov_b32_e32 v83, v14
	v_xor_b32_e32 v84, 0x80000000, v3
	v_mov_b32_e32 v85, v2
	;; [unrolled: 2-line block ×5, first 2 shown]
	v_add_co_u32_e32 v66, vcc, 0x1000, v66
	v_addc_co_u32_e32 v67, vcc, 0, v67, vcc
	v_cmp_ge_i32_e32 vcc, v64, v88
	s_or_b64 s[14:15], vcc, s[14:15]
	s_waitcnt vmcnt(3)
	v_pk_fma_f32 v[60:61], v[12:13], v[52:53], v[60:61] op_sel_hi:[1,0,1]
	v_pk_fma_f32 v[62:63], v[0:1], v[52:53], v[62:63] op_sel_hi:[1,0,1]
	;; [unrolled: 1-line block ×4, first 2 shown]
	v_pk_fma_f32 v[12:13], v[12:13], v[52:53], v[60:61] op_sel:[1,1,0] op_sel_hi:[0,1,1] neg_lo:[1,0,0]
	v_pk_fma_f32 v[0:1], v[0:1], v[52:53], v[62:63] op_sel:[1,1,0] op_sel_hi:[0,1,1] neg_lo:[1,0,0]
	;; [unrolled: 1-line block ×4, first 2 shown]
	v_pk_fma_f32 v[12:13], v[14:15], v[54:55], v[12:13] op_sel_hi:[1,0,1]
	v_pk_fma_f32 v[0:1], v[2:3], v[54:55], v[0:1] op_sel_hi:[1,0,1]
	;; [unrolled: 1-line block ×4, first 2 shown]
	v_mov_b32_e32 v52, v55
	v_pk_fma_f32 v[12:13], v[82:83], v[52:53], v[12:13] op_sel_hi:[1,0,1]
	v_pk_fma_f32 v[0:1], v[84:85], v[52:53], v[0:1] op_sel_hi:[1,0,1]
	;; [unrolled: 1-line block ×4, first 2 shown]
	s_waitcnt vmcnt(1)
	v_pk_fma_f32 v[12:13], v[32:33], v[44:45], v[12:13] op_sel_hi:[1,0,1]
	v_pk_fma_f32 v[0:1], v[20:21], v[44:45], v[0:1] op_sel_hi:[1,0,1]
	;; [unrolled: 1-line block ×4, first 2 shown]
	v_pk_fma_f32 v[12:13], v[32:33], v[44:45], v[12:13] op_sel:[1,1,0] op_sel_hi:[0,1,1] neg_lo:[1,0,0]
	v_pk_fma_f32 v[0:1], v[20:21], v[44:45], v[0:1] op_sel:[1,1,0] op_sel_hi:[0,1,1] neg_lo:[1,0,0]
	;; [unrolled: 1-line block ×4, first 2 shown]
	v_xor_b32_e32 v60, 0x80000000, v23
	v_mov_b32_e32 v61, v22
	v_xor_b32_e32 v62, 0x80000000, v51
	v_mov_b32_e32 v63, v50
	;; [unrolled: 2-line block ×3, first 2 shown]
	v_mov_b32_e32 v54, v47
	v_pk_fma_f32 v[12:13], v[34:35], v[46:47], v[12:13] op_sel_hi:[1,0,1]
	v_pk_fma_f32 v[0:1], v[22:23], v[46:47], v[0:1] op_sel_hi:[1,0,1]
	;; [unrolled: 1-line block ×8, first 2 shown]
	s_waitcnt vmcnt(0)
	v_pk_fma_f32 v[12:13], v[16:17], v[56:57], v[12:13] op_sel_hi:[1,0,1]
	v_pk_fma_f32 v[0:1], v[8:9], v[56:57], v[0:1] op_sel_hi:[1,0,1]
	;; [unrolled: 1-line block ×4, first 2 shown]
	v_pk_fma_f32 v[12:13], v[16:17], v[56:57], v[12:13] op_sel:[1,1,0] op_sel_hi:[0,1,1] neg_lo:[1,0,0]
	v_pk_fma_f32 v[0:1], v[8:9], v[56:57], v[0:1] op_sel:[1,1,0] op_sel_hi:[0,1,1] neg_lo:[1,0,0]
	;; [unrolled: 1-line block ×4, first 2 shown]
	v_xor_b32_e32 v14, 0x80000000, v19
	v_mov_b32_e32 v15, v18
	v_xor_b32_e32 v2, 0x80000000, v11
	v_mov_b32_e32 v3, v10
	;; [unrolled: 2-line block ×4, first 2 shown]
	v_mov_b32_e32 v78, v59
	v_pk_fma_f32 v[12:13], v[18:19], v[58:59], v[12:13] op_sel_hi:[1,0,1]
	v_pk_fma_f32 v[0:1], v[10:11], v[58:59], v[0:1] op_sel_hi:[1,0,1]
	v_pk_fma_f32 v[8:9], v[38:39], v[58:59], v[8:9] op_sel_hi:[1,0,1]
	v_pk_fma_f32 v[4:5], v[26:27], v[58:59], v[4:5] op_sel_hi:[1,0,1]
	v_pk_fma_f32 v[82:83], v[14:15], v[78:79], v[12:13] op_sel_hi:[1,0,1]
	v_pk_fma_f32 v[84:85], v[2:3], v[78:79], v[0:1] op_sel_hi:[1,0,1]
	v_pk_fma_f32 v[80:81], v[30:31], v[78:79], v[8:9] op_sel_hi:[1,0,1]
	v_pk_fma_f32 v[78:79], v[6:7], v[78:79], v[4:5] op_sel_hi:[1,0,1]
	s_andn2_b64 exec, exec, s[14:15]
	s_cbranch_execnz .LBB11_27
; %bb.28:
	s_or_b64 exec, exec, s[14:15]
.LBB11_29:
	s_or_b64 exec, exec, s[10:11]
.LBB11_30:
	s_or_b64 exec, exec, s[8:9]
	s_cbranch_execz .LBB11_32
	s_branch .LBB11_43
.LBB11_31:
                                        ; implicit-def: $vgpr83
                                        ; implicit-def: $vgpr79
                                        ; implicit-def: $vgpr81
                                        ; implicit-def: $vgpr85
.LBB11_32:
	s_mov_b32 s8, 0
	v_mov_b32_e32 v83, 0
	v_mov_b32_e32 v82, 0
	;; [unrolled: 1-line block ×8, first 2 shown]
	s_and_saveexec_b64 s[2:3], s[0:1]
	s_cbranch_execz .LBB11_42
; %bb.33:
	v_add_u32_e32 v0, v89, v73
	v_subrev_u32_e32 v0, s16, v0
	v_add_u32_e32 v0, 8, v0
	v_max_i32_e32 v0, v0, v88
	v_not_b32_e32 v1, v89
	v_add3_u32 v0, v0, s16, v1
	v_sub_u32_e32 v0, v0, v73
	v_lshrrev_b32_e32 v1, 3, v0
	v_add_u32_e32 v1, 1, v1
	v_and_b32_e32 v1, 3, v1
	s_mov_b32 s9, s8
	v_cmp_ne_u32_e32 vcc, 0, v1
	v_pk_mov_b32 v[82:83], s[8:9], s[8:9] op_sel:[0,1]
	v_pk_mov_b32 v[78:79], s[8:9], s[8:9] op_sel:[0,1]
	;; [unrolled: 1-line block ×4, first 2 shown]
	s_and_saveexec_b64 s[0:1], vcc
	s_cbranch_execz .LBB11_37
; %bb.34:
	v_mov_b32_e32 v84, 0
	v_lshlrev_b32_e32 v1, 7, v1
	s_mov_b64 s[8:9], 0
	v_mov_b32_e32 v2, s13
	v_mov_b32_e32 v3, s7
	s_movk_i32 s10, 0x400
	v_mov_b32_e32 v85, v84
	v_mov_b32_e32 v80, v84
	;; [unrolled: 1-line block ×7, first 2 shown]
.LBB11_35:                              ; =>This Inner Loop Header: Depth=1
	v_ashrrev_i32_e32 v75, 31, v74
	v_lshlrev_b64 v[4:5], 2, v[74:75]
	v_add_co_u32_e32 v32, vcc, s12, v4
	v_addc_co_u32_e32 v33, vcc, v2, v5, vcc
	global_load_dword v34, v[32:33], off
	global_load_dwordx4 v[4:7], v[76:77], off offset:48
	global_load_dwordx4 v[8:11], v[76:77], off offset:32
	;; [unrolled: 1-line block ×3, first 2 shown]
	global_load_dwordx4 v[16:19], v[76:77], off
	global_load_dwordx4 v[20:23], v[76:77], off offset:96
	global_load_dwordx4 v[24:27], v[76:77], off offset:80
	;; [unrolled: 1-line block ×3, first 2 shown]
	v_add_u32_e32 v1, 0xffffff80, v1
	v_add_u32_e32 v74, 8, v74
	s_waitcnt vmcnt(7)
	v_subrev_u32_e32 v32, s16, v34
	v_lshlrev_b32_e32 v32, 2, v32
	v_ashrrev_i32_e32 v33, 31, v32
	v_lshlrev_b64 v[32:33], 3, v[32:33]
	v_add_co_u32_e32 v44, vcc, s6, v32
	v_addc_co_u32_e32 v45, vcc, v3, v33, vcc
	global_load_dwordx4 v[32:35], v[44:45], off
	global_load_dwordx4 v[36:39], v[44:45], off offset:16
	global_load_dwordx4 v[40:43], v[76:77], off offset:112
	s_waitcnt vmcnt(6)
	v_xor_b32_e32 v44, 0x80000000, v19
	v_mov_b32_e32 v45, v18
	v_xor_b32_e32 v52, 0x80000000, v15
	v_mov_b32_e32 v53, v14
	;; [unrolled: 2-line block ×4, first 2 shown]
	v_add_co_u32_e32 v76, vcc, s10, v76
	s_waitcnt vmcnt(3)
	v_xor_b32_e32 v48, 0x80000000, v31
	v_mov_b32_e32 v49, v30
	v_xor_b32_e32 v56, 0x80000000, v27
	v_mov_b32_e32 v57, v26
	v_addc_co_u32_e32 v77, vcc, 0, v77, vcc
	v_cmp_eq_u32_e32 vcc, 0, v1
	v_xor_b32_e32 v50, 0x80000000, v23
	v_mov_b32_e32 v51, v22
	s_or_b64 s[8:9], vcc, s[8:9]
	s_waitcnt vmcnt(2)
	v_pk_fma_f32 v[60:61], v[16:17], v[32:33], v[82:83] op_sel_hi:[1,0,1]
	v_pk_fma_f32 v[18:19], v[18:19], v[32:33], v[84:85] op_sel_hi:[1,0,1]
	;; [unrolled: 1-line block ×4, first 2 shown]
	v_pk_fma_f32 v[16:17], v[16:17], v[32:33], v[60:61] op_sel:[1,1,0] op_sel_hi:[0,1,1] neg_lo:[1,0,0]
	v_pk_fma_f32 v[12:13], v[12:13], v[32:33], v[62:63] op_sel:[1,1,0] op_sel_hi:[0,1,1] neg_lo:[1,0,0]
	v_pk_fma_f32 v[18:19], v[44:45], v[32:33], v[18:19] op_sel:[0,1,0]
	v_pk_fma_f32 v[14:15], v[52:53], v[32:33], v[14:15] op_sel:[0,1,0]
	v_mov_b32_e32 v64, v35
	v_pk_fma_f32 v[16:17], v[8:9], v[34:35], v[16:17] op_sel_hi:[1,0,1]
	v_pk_fma_f32 v[10:11], v[10:11], v[34:35], v[18:19] op_sel_hi:[1,0,1]
	;; [unrolled: 1-line block ×4, first 2 shown]
	v_pk_fma_f32 v[8:9], v[8:9], v[64:65], v[16:17] op_sel:[1,0,0] op_sel_hi:[0,0,1] neg_lo:[1,0,0]
	v_pk_fma_f32 v[10:11], v[46:47], v[64:65], v[10:11] op_sel_hi:[1,0,1]
	v_pk_fma_f32 v[4:5], v[4:5], v[64:65], v[12:13] op_sel:[1,0,0] op_sel_hi:[0,0,1] neg_lo:[1,0,0]
	v_pk_fma_f32 v[6:7], v[54:55], v[64:65], v[6:7] op_sel_hi:[1,0,1]
	s_waitcnt vmcnt(1)
	v_pk_fma_f32 v[8:9], v[28:29], v[36:37], v[8:9] op_sel_hi:[1,0,1]
	v_pk_fma_f32 v[10:11], v[30:31], v[36:37], v[10:11] op_sel_hi:[1,0,1]
	;; [unrolled: 1-line block ×4, first 2 shown]
	v_pk_fma_f32 v[8:9], v[28:29], v[36:37], v[8:9] op_sel:[1,1,0] op_sel_hi:[0,1,1] neg_lo:[1,0,0]
	v_pk_fma_f32 v[10:11], v[48:49], v[36:37], v[10:11] op_sel:[0,1,0]
	v_pk_fma_f32 v[4:5], v[24:25], v[36:37], v[4:5] op_sel:[1,1,0] op_sel_hi:[0,1,1] neg_lo:[1,0,0]
	v_pk_fma_f32 v[6:7], v[56:57], v[36:37], v[6:7] op_sel:[0,1,0]
	s_waitcnt vmcnt(0)
	v_xor_b32_e32 v58, 0x80000000, v43
	v_mov_b32_e32 v59, v42
	v_mov_b32_e32 v66, v39
	v_pk_fma_f32 v[8:9], v[20:21], v[38:39], v[8:9] op_sel_hi:[1,0,1]
	v_pk_fma_f32 v[10:11], v[22:23], v[38:39], v[10:11] op_sel_hi:[1,0,1]
	;; [unrolled: 1-line block ×4, first 2 shown]
	v_pk_fma_f32 v[82:83], v[20:21], v[66:67], v[8:9] op_sel:[1,0,0] op_sel_hi:[0,0,1] neg_lo:[1,0,0]
	v_pk_fma_f32 v[84:85], v[50:51], v[66:67], v[10:11] op_sel_hi:[1,0,1]
	v_pk_fma_f32 v[80:81], v[40:41], v[66:67], v[4:5] op_sel:[1,0,0] op_sel_hi:[0,0,1] neg_lo:[1,0,0]
	v_pk_fma_f32 v[78:79], v[58:59], v[66:67], v[6:7] op_sel_hi:[1,0,1]
	s_andn2_b64 exec, exec, s[8:9]
	s_cbranch_execnz .LBB11_35
; %bb.36:
	s_or_b64 exec, exec, s[8:9]
.LBB11_37:
	s_or_b64 exec, exec, s[0:1]
	v_cmp_lt_u32_e32 vcc, 23, v0
	s_and_saveexec_b64 s[0:1], vcc
	s_cbranch_execz .LBB11_41
; %bb.38:
	s_mov_b64 s[8:9], 0
	v_mov_b32_e32 v86, s13
	v_mov_b32_e32 v87, s7
.LBB11_39:                              ; =>This Inner Loop Header: Depth=1
	v_ashrrev_i32_e32 v75, 31, v74
	v_lshlrev_b64 v[52:53], 2, v[74:75]
	v_add_co_u32_e32 v52, vcc, s12, v52
	v_addc_co_u32_e32 v53, vcc, v86, v53, vcc
	global_load_dwordx4 v[20:23], v[76:77], off offset:48
	global_load_dwordx4 v[32:35], v[76:77], off offset:32
	;; [unrolled: 1-line block ×3, first 2 shown]
	global_load_dwordx4 v[48:51], v[76:77], off
	global_load_dwordx4 v[0:3], v[76:77], off offset:112
	global_load_dwordx4 v[4:7], v[76:77], off offset:96
	;; [unrolled: 1-line block ×12, first 2 shown]
	global_load_dword v54, v[52:53], off
	global_load_dword v75, v[52:53], off offset:32
	global_load_dword v89, v[52:53], off offset:64
	;; [unrolled: 1-line block ×3, first 2 shown]
	v_add_u32_e32 v74, 32, v74
	s_waitcnt vmcnt(19)
	v_xor_b32_e32 v98, 0x80000000, v23
	v_mov_b32_e32 v99, v22
	s_waitcnt vmcnt(16)
	v_xor_b32_e32 v94, 0x80000000, v51
	v_mov_b32_e32 v95, v50
	s_waitcnt vmcnt(3)
	v_subrev_u32_e32 v52, s16, v54
	v_lshlrev_b32_e32 v52, 2, v52
	v_ashrrev_i32_e32 v53, 31, v52
	v_lshlrev_b64 v[52:53], 3, v[52:53]
	v_add_co_u32_e32 v96, vcc, s6, v52
	v_addc_co_u32_e32 v97, vcc, v87, v53, vcc
	global_load_dwordx4 v[52:55], v[96:97], off
	global_load_dwordx4 v[90:93], v[96:97], off offset:16
	s_waitcnt vmcnt(1)
	v_pk_fma_f32 v[82:83], v[48:49], v[52:53], v[82:83] op_sel_hi:[1,0,1]
	v_pk_fma_f32 v[50:51], v[50:51], v[52:53], v[84:85] op_sel_hi:[1,0,1]
	v_pk_fma_f32 v[82:83], v[48:49], v[52:53], v[82:83] op_sel:[1,1,0] op_sel_hi:[0,1,1] neg_lo:[1,0,0]
	v_xor_b32_e32 v84, 0x80000000, v47
	v_mov_b32_e32 v85, v46
	v_pk_fma_f32 v[48:49], v[44:45], v[52:53], v[80:81] op_sel_hi:[1,0,1]
	v_pk_fma_f32 v[78:79], v[46:47], v[52:53], v[78:79] op_sel_hi:[1,0,1]
	v_pk_fma_f32 v[94:95], v[94:95], v[52:53], v[50:51] op_sel:[0,1,0]
	v_pk_fma_f32 v[80:81], v[44:45], v[52:53], v[48:49] op_sel:[1,1,0] op_sel_hi:[0,1,1] neg_lo:[1,0,0]
	v_pk_fma_f32 v[52:53], v[84:85], v[52:53], v[78:79] op_sel:[0,1,0]
	v_xor_b32_e32 v78, 0x80000000, v35
	v_mov_b32_e32 v79, v34
	v_pk_fma_f32 v[84:85], v[34:35], v[54:55], v[94:95] op_sel_hi:[1,0,1]
	v_mov_b32_e32 v96, v55
	v_pk_fma_f32 v[82:83], v[32:33], v[54:55], v[82:83] op_sel_hi:[1,0,1]
	v_pk_fma_f32 v[80:81], v[20:21], v[54:55], v[80:81] op_sel_hi:[1,0,1]
	;; [unrolled: 1-line block ×4, first 2 shown]
	v_pk_fma_f32 v[82:83], v[32:33], v[96:97], v[82:83] op_sel:[1,0,0] op_sel_hi:[0,0,1] neg_lo:[1,0,0]
	v_pk_fma_f32 v[80:81], v[20:21], v[96:97], v[80:81] op_sel:[1,0,0] op_sel_hi:[0,0,1] neg_lo:[1,0,0]
	v_pk_fma_f32 v[84:85], v[98:99], v[96:97], v[94:95] op_sel_hi:[1,0,1]
	v_xor_b32_e32 v94, 0x80000000, v27
	v_mov_b32_e32 v95, v26
	s_waitcnt vmcnt(0)
	v_pk_fma_f32 v[78:79], v[26:27], v[90:91], v[78:79] op_sel_hi:[1,0,1]
	v_pk_fma_f32 v[82:83], v[24:25], v[90:91], v[82:83] op_sel_hi:[1,0,1]
	v_pk_fma_f32 v[78:79], v[94:95], v[90:91], v[78:79] op_sel:[0,1,0]
	v_xor_b32_e32 v94, 0x80000000, v15
	v_mov_b32_e32 v95, v14
	v_pk_fma_f32 v[80:81], v[12:13], v[90:91], v[80:81] op_sel_hi:[1,0,1]
	v_pk_fma_f32 v[84:85], v[14:15], v[90:91], v[84:85] op_sel_hi:[1,0,1]
	v_pk_fma_f32 v[82:83], v[24:25], v[90:91], v[82:83] op_sel:[1,1,0] op_sel_hi:[0,1,1] neg_lo:[1,0,0]
	v_pk_fma_f32 v[80:81], v[12:13], v[90:91], v[80:81] op_sel:[1,1,0] op_sel_hi:[0,1,1] neg_lo:[1,0,0]
	v_pk_fma_f32 v[84:85], v[94:95], v[90:91], v[84:85] op_sel:[0,1,0]
	v_pk_fma_f32 v[82:83], v[4:5], v[92:93], v[82:83] op_sel_hi:[1,0,1]
	v_pk_fma_f32 v[78:79], v[6:7], v[92:93], v[78:79] op_sel_hi:[1,0,1]
	;; [unrolled: 1-line block ×4, first 2 shown]
	v_mov_b32_e32 v92, v93
	v_pk_fma_f32 v[94:95], v[4:5], v[92:93], v[82:83] op_sel:[1,0,0] op_sel_hi:[0,0,1] neg_lo:[1,0,0]
	v_mov_b32_e32 v83, v2
	v_subrev_u32_e32 v2, s16, v75
	v_lshlrev_b32_e32 v2, 2, v2
	v_xor_b32_e32 v82, 0x80000000, v3
	v_ashrrev_i32_e32 v3, 31, v2
	v_lshlrev_b64 v[2:3], 3, v[2:3]
	v_add_co_u32_e32 v2, vcc, s6, v2
	v_xor_b32_e32 v90, 0x80000000, v7
	v_mov_b32_e32 v91, v6
	v_addc_co_u32_e32 v3, vcc, v87, v3, vcc
	global_load_dwordx4 v[44:47], v[76:77], off offset:2096
	global_load_dwordx4 v[48:51], v[76:77], off offset:2080
	global_load_dwordx4 v[32:35], v[76:77], off offset:2064
	global_load_dwordx4 v[52:55], v[76:77], off offset:2048
	global_load_dwordx4 v[20:23], v[76:77], off offset:2160
	global_load_dwordx4 v[24:27], v[76:77], off offset:2144
	global_load_dwordx4 v[12:15], v[76:77], off offset:2128
	global_load_dwordx4 v[4:7], v[76:77], off offset:2112
	v_pk_fma_f32 v[0:1], v[0:1], v[92:93], v[80:81] op_sel:[1,0,0] op_sel_hi:[0,0,1] neg_lo:[1,0,0]
	v_pk_fma_f32 v[90:91], v[90:91], v[92:93], v[78:79] op_sel_hi:[1,0,1]
	v_pk_fma_f32 v[92:93], v[82:83], v[92:93], v[84:85] op_sel_hi:[1,0,1]
	global_load_dwordx4 v[78:81], v[2:3], off
	global_load_dwordx4 v[82:85], v[2:3], off offset:16
	v_xor_b32_e32 v96, 0x80000000, v39
	v_mov_b32_e32 v97, v38
	v_subrev_u32_e32 v75, s16, v102
	s_waitcnt vmcnt(7)
	v_xor_b32_e32 v100, 0x80000000, v35
	v_mov_b32_e32 v101, v34
	s_waitcnt vmcnt(1)
	v_pk_fma_f32 v[2:3], v[36:37], v[78:79], v[94:95] op_sel_hi:[1,0,1]
	v_pk_fma_f32 v[38:39], v[38:39], v[78:79], v[90:91] op_sel_hi:[1,0,1]
	v_xor_b32_e32 v90, 0x80000000, v31
	v_mov_b32_e32 v91, v30
	v_pk_fma_f32 v[0:1], v[28:29], v[78:79], v[0:1] op_sel_hi:[1,0,1]
	v_pk_fma_f32 v[92:93], v[30:31], v[78:79], v[92:93] op_sel_hi:[1,0,1]
	v_pk_fma_f32 v[36:37], v[36:37], v[78:79], v[2:3] op_sel:[1,1,0] op_sel_hi:[0,1,1] neg_lo:[1,0,0]
	v_pk_fma_f32 v[94:95], v[28:29], v[78:79], v[0:1] op_sel:[1,1,0] op_sel_hi:[0,1,1] neg_lo:[1,0,0]
	v_pk_fma_f32 v[38:39], v[96:97], v[78:79], v[38:39] op_sel:[0,1,0]
	v_pk_fma_f32 v[78:79], v[90:91], v[78:79], v[92:93] op_sel:[0,1,0]
	v_xor_b32_e32 v90, 0x80000000, v19
	v_mov_b32_e32 v91, v18
	v_pk_fma_f32 v[36:37], v[16:17], v[80:81], v[36:37] op_sel_hi:[1,0,1]
	v_pk_fma_f32 v[38:39], v[18:19], v[80:81], v[38:39] op_sel_hi:[1,0,1]
	;; [unrolled: 1-line block ×4, first 2 shown]
	v_mov_b32_e32 v80, v81
	v_pk_fma_f32 v[94:95], v[16:17], v[80:81], v[36:37] op_sel:[1,0,0] op_sel_hi:[0,0,1] neg_lo:[1,0,0]
	v_xor_b32_e32 v36, 0x80000000, v11
	v_mov_b32_e32 v37, v10
	v_pk_fma_f32 v[90:91], v[90:91], v[80:81], v[38:39] op_sel_hi:[1,0,1]
	v_pk_fma_f32 v[92:93], v[8:9], v[80:81], v[92:93] op_sel:[1,0,0] op_sel_hi:[0,0,1] neg_lo:[1,0,0]
	v_pk_fma_f32 v[78:79], v[36:37], v[80:81], v[78:79] op_sel_hi:[1,0,1]
	v_xor_b32_e32 v80, 0x80000000, v67
	v_mov_b32_e32 v81, v66
	s_waitcnt vmcnt(0)
	v_pk_fma_f32 v[90:91], v[66:67], v[82:83], v[90:91] op_sel_hi:[1,0,1]
	v_pk_fma_f32 v[94:95], v[64:65], v[82:83], v[94:95] op_sel_hi:[1,0,1]
	v_pk_fma_f32 v[80:81], v[80:81], v[82:83], v[90:91] op_sel:[0,1,0]
	v_xor_b32_e32 v90, 0x80000000, v63
	v_mov_b32_e32 v91, v62
	v_pk_fma_f32 v[92:93], v[60:61], v[82:83], v[92:93] op_sel_hi:[1,0,1]
	v_pk_fma_f32 v[78:79], v[62:63], v[82:83], v[78:79] op_sel_hi:[1,0,1]
	v_pk_fma_f32 v[94:95], v[64:65], v[82:83], v[94:95] op_sel:[1,1,0] op_sel_hi:[0,1,1] neg_lo:[1,0,0]
	v_pk_fma_f32 v[92:93], v[60:61], v[82:83], v[92:93] op_sel:[1,1,0] op_sel_hi:[0,1,1] neg_lo:[1,0,0]
	v_pk_fma_f32 v[78:79], v[90:91], v[82:83], v[78:79] op_sel:[0,1,0]
	v_pk_fma_f32 v[90:91], v[56:57], v[84:85], v[94:95] op_sel_hi:[1,0,1]
	v_pk_fma_f32 v[80:81], v[58:59], v[84:85], v[80:81] op_sel_hi:[1,0,1]
	;; [unrolled: 1-line block ×4, first 2 shown]
	v_mov_b32_e32 v84, v85
	v_pk_fma_f32 v[92:93], v[40:41], v[84:85], v[92:93] op_sel:[1,0,0] op_sel_hi:[0,0,1] neg_lo:[1,0,0]
	v_subrev_u32_e32 v40, s16, v89
	global_load_dwordx4 v[0:3], v[76:77], off offset:3120
	global_load_dwordx4 v[28:31], v[76:77], off offset:3104
	;; [unrolled: 1-line block ×7, first 2 shown]
	v_xor_b32_e32 v82, 0x80000000, v59
	v_mov_b32_e32 v83, v58
	v_pk_fma_f32 v[90:91], v[56:57], v[84:85], v[90:91] op_sel:[1,0,0] op_sel_hi:[0,0,1] neg_lo:[1,0,0]
	global_load_dwordx4 v[56:59], v[76:77], off offset:3184
	v_add_co_u32_e32 v76, vcc, 0x1000, v76
	v_lshlrev_b32_e32 v40, 2, v40
	v_addc_co_u32_e32 v77, vcc, 0, v77, vcc
	v_ashrrev_i32_e32 v41, 31, v40
	v_cmp_ge_i32_e32 vcc, v74, v88
	v_lshlrev_b64 v[40:41], 3, v[40:41]
	s_or_b64 s[8:9], vcc, s[8:9]
	v_add_co_u32_e32 v98, vcc, s6, v40
	v_xor_b32_e32 v94, 0x80000000, v43
	v_mov_b32_e32 v95, v42
	v_addc_co_u32_e32 v99, vcc, v87, v41, vcc
	v_pk_fma_f32 v[82:83], v[82:83], v[84:85], v[80:81] op_sel_hi:[1,0,1]
	v_pk_fma_f32 v[84:85], v[94:95], v[84:85], v[78:79] op_sel_hi:[1,0,1]
	global_load_dwordx4 v[40:43], v[98:99], off
	global_load_dwordx4 v[78:81], v[98:99], off offset:16
	v_xor_b32_e32 v96, 0x80000000, v55
	v_mov_b32_e32 v97, v54
	s_waitcnt vmcnt(1)
	v_pk_fma_f32 v[90:91], v[52:53], v[40:41], v[90:91] op_sel_hi:[1,0,1]
	v_pk_fma_f32 v[54:55], v[54:55], v[40:41], v[82:83] op_sel_hi:[1,0,1]
	v_pk_fma_f32 v[82:83], v[52:53], v[40:41], v[90:91] op_sel:[1,1,0] op_sel_hi:[0,1,1] neg_lo:[1,0,0]
	v_lshlrev_b32_e32 v52, 2, v75
	v_ashrrev_i32_e32 v53, 31, v52
	v_lshlrev_b64 v[52:53], 3, v[52:53]
	v_add_co_u32_e32 v52, vcc, s6, v52
	v_addc_co_u32_e32 v53, vcc, v87, v53, vcc
	v_pk_fma_f32 v[92:93], v[32:33], v[40:41], v[92:93] op_sel_hi:[1,0,1]
	v_pk_fma_f32 v[84:85], v[34:35], v[40:41], v[84:85] op_sel_hi:[1,0,1]
	v_pk_fma_f32 v[92:93], v[32:33], v[40:41], v[92:93] op_sel:[1,1,0] op_sel_hi:[0,1,1] neg_lo:[1,0,0]
	global_load_dwordx4 v[32:35], v[52:53], off
	v_pk_fma_f32 v[94:95], v[96:97], v[40:41], v[54:55] op_sel:[0,1,0]
	global_load_dwordx4 v[52:55], v[52:53], off offset:16
	v_pk_fma_f32 v[40:41], v[100:101], v[40:41], v[84:85] op_sel:[0,1,0]
	v_xor_b32_e32 v90, 0x80000000, v51
	v_mov_b32_e32 v91, v50
	v_pk_fma_f32 v[82:83], v[48:49], v[42:43], v[82:83] op_sel_hi:[1,0,1]
	v_pk_fma_f32 v[50:51], v[50:51], v[42:43], v[94:95] op_sel_hi:[1,0,1]
	;; [unrolled: 1-line block ×4, first 2 shown]
	v_mov_b32_e32 v42, v43
	v_xor_b32_e32 v94, 0x80000000, v47
	v_mov_b32_e32 v95, v46
	v_pk_fma_f32 v[46:47], v[48:49], v[42:43], v[82:83] op_sel:[1,0,0] op_sel_hi:[0,0,1] neg_lo:[1,0,0]
	v_pk_fma_f32 v[44:45], v[44:45], v[42:43], v[92:93] op_sel:[1,0,0] op_sel_hi:[0,0,1] neg_lo:[1,0,0]
	v_pk_fma_f32 v[50:51], v[90:91], v[42:43], v[50:51] op_sel_hi:[1,0,1]
	v_pk_fma_f32 v[40:41], v[94:95], v[42:43], v[40:41] op_sel_hi:[1,0,1]
	v_xor_b32_e32 v84, 0x80000000, v7
	v_mov_b32_e32 v85, v6
	v_xor_b32_e32 v48, 0x80000000, v15
	v_mov_b32_e32 v49, v14
	s_waitcnt vmcnt(2)
	v_pk_fma_f32 v[46:47], v[4:5], v[78:79], v[46:47] op_sel_hi:[1,0,1]
	v_pk_fma_f32 v[6:7], v[6:7], v[78:79], v[50:51] op_sel_hi:[1,0,1]
	;; [unrolled: 1-line block ×4, first 2 shown]
	v_pk_fma_f32 v[4:5], v[4:5], v[78:79], v[46:47] op_sel:[1,1,0] op_sel_hi:[0,1,1] neg_lo:[1,0,0]
	v_pk_fma_f32 v[12:13], v[12:13], v[78:79], v[44:45] op_sel:[1,1,0] op_sel_hi:[0,1,1] neg_lo:[1,0,0]
	v_pk_fma_f32 v[6:7], v[84:85], v[78:79], v[6:7] op_sel:[0,1,0]
	v_pk_fma_f32 v[14:15], v[48:49], v[78:79], v[14:15] op_sel:[0,1,0]
	v_xor_b32_e32 v82, 0x80000000, v27
	v_mov_b32_e32 v83, v26
	v_xor_b32_e32 v92, 0x80000000, v23
	v_mov_b32_e32 v93, v22
	v_mov_b32_e32 v84, v81
	v_pk_fma_f32 v[4:5], v[24:25], v[80:81], v[4:5] op_sel_hi:[1,0,1]
	v_pk_fma_f32 v[6:7], v[26:27], v[80:81], v[6:7] op_sel_hi:[1,0,1]
	;; [unrolled: 1-line block ×4, first 2 shown]
	v_pk_fma_f32 v[4:5], v[24:25], v[84:85], v[4:5] op_sel:[1,0,0] op_sel_hi:[0,0,1] neg_lo:[1,0,0]
	v_pk_fma_f32 v[12:13], v[20:21], v[84:85], v[12:13] op_sel:[1,0,0] op_sel_hi:[0,0,1] neg_lo:[1,0,0]
	v_pk_fma_f32 v[6:7], v[82:83], v[84:85], v[6:7] op_sel_hi:[1,0,1]
	v_pk_fma_f32 v[14:15], v[92:93], v[84:85], v[14:15] op_sel_hi:[1,0,1]
	v_xor_b32_e32 v96, 0x80000000, v11
	v_mov_b32_e32 v97, v10
	v_xor_b32_e32 v46, 0x80000000, v19
	v_mov_b32_e32 v47, v18
	;; [unrolled: 2-line block ×8, first 2 shown]
	s_waitcnt vmcnt(1)
	v_pk_fma_f32 v[4:5], v[8:9], v[32:33], v[4:5] op_sel_hi:[1,0,1]
	v_pk_fma_f32 v[6:7], v[10:11], v[32:33], v[6:7] op_sel_hi:[1,0,1]
	;; [unrolled: 1-line block ×4, first 2 shown]
	v_pk_fma_f32 v[4:5], v[8:9], v[32:33], v[4:5] op_sel:[1,1,0] op_sel_hi:[0,1,1] neg_lo:[1,0,0]
	v_pk_fma_f32 v[6:7], v[96:97], v[32:33], v[6:7] op_sel:[0,1,0]
	v_pk_fma_f32 v[8:9], v[16:17], v[32:33], v[10:11] op_sel:[1,1,0] op_sel_hi:[0,1,1] neg_lo:[1,0,0]
	v_pk_fma_f32 v[10:11], v[46:47], v[32:33], v[12:13] op_sel:[0,1,0]
	v_mov_b32_e32 v48, v35
	v_pk_fma_f32 v[4:5], v[28:29], v[34:35], v[4:5] op_sel_hi:[1,0,1]
	v_pk_fma_f32 v[6:7], v[30:31], v[34:35], v[6:7] op_sel_hi:[1,0,1]
	;; [unrolled: 1-line block ×4, first 2 shown]
	v_pk_fma_f32 v[4:5], v[28:29], v[48:49], v[4:5] op_sel:[1,0,0] op_sel_hi:[0,0,1] neg_lo:[1,0,0]
	v_pk_fma_f32 v[6:7], v[90:91], v[48:49], v[6:7] op_sel_hi:[1,0,1]
	v_pk_fma_f32 v[0:1], v[0:1], v[48:49], v[8:9] op_sel:[1,0,0] op_sel_hi:[0,0,1] neg_lo:[1,0,0]
	v_pk_fma_f32 v[2:3], v[50:51], v[48:49], v[2:3] op_sel_hi:[1,0,1]
	s_waitcnt vmcnt(0)
	v_pk_fma_f32 v[4:5], v[64:65], v[52:53], v[4:5] op_sel_hi:[1,0,1]
	v_pk_fma_f32 v[6:7], v[66:67], v[52:53], v[6:7] op_sel_hi:[1,0,1]
	;; [unrolled: 1-line block ×4, first 2 shown]
	v_pk_fma_f32 v[4:5], v[64:65], v[52:53], v[4:5] op_sel:[1,1,0] op_sel_hi:[0,1,1] neg_lo:[1,0,0]
	v_pk_fma_f32 v[6:7], v[42:43], v[52:53], v[6:7] op_sel:[0,1,0]
	v_pk_fma_f32 v[0:1], v[36:37], v[52:53], v[0:1] op_sel:[1,1,0] op_sel_hi:[0,1,1] neg_lo:[1,0,0]
	v_pk_fma_f32 v[2:3], v[40:41], v[52:53], v[2:3] op_sel:[0,1,0]
	v_mov_b32_e32 v22, v55
	v_pk_fma_f32 v[4:5], v[60:61], v[54:55], v[4:5] op_sel_hi:[1,0,1]
	v_pk_fma_f32 v[6:7], v[62:63], v[54:55], v[6:7] op_sel_hi:[1,0,1]
	v_pk_fma_f32 v[0:1], v[56:57], v[54:55], v[0:1] op_sel_hi:[1,0,1]
	v_pk_fma_f32 v[2:3], v[58:59], v[54:55], v[2:3] op_sel_hi:[1,0,1]
	v_pk_fma_f32 v[82:83], v[60:61], v[22:23], v[4:5] op_sel:[1,0,0] op_sel_hi:[0,0,1] neg_lo:[1,0,0]
	v_pk_fma_f32 v[84:85], v[94:95], v[22:23], v[6:7] op_sel_hi:[1,0,1]
	v_pk_fma_f32 v[80:81], v[56:57], v[22:23], v[0:1] op_sel:[1,0,0] op_sel_hi:[0,0,1] neg_lo:[1,0,0]
	v_pk_fma_f32 v[78:79], v[44:45], v[22:23], v[2:3] op_sel_hi:[1,0,1]
	s_andn2_b64 exec, exec, s[8:9]
	s_cbranch_execnz .LBB11_39
; %bb.40:
	s_or_b64 exec, exec, s[8:9]
.LBB11_41:
	s_or_b64 exec, exec, s[0:1]
.LBB11_42:
	s_or_b64 exec, exec, s[2:3]
.LBB11_43:
	v_mov_b32_dpp v6, v85 row_shr:1 row_mask:0xf bank_mask:0xf
	v_add_f32_e32 v6, v85, v6
	v_mov_b32_dpp v0, v82 row_shr:1 row_mask:0xf bank_mask:0xf
	v_mov_b32_dpp v2, v83 row_shr:1 row_mask:0xf bank_mask:0xf
	;; [unrolled: 1-line block ×3, first 2 shown]
	v_add_f32_e32 v7, v6, v7
	v_mov_b32_dpp v6, v80 row_shr:1 row_mask:0xf bank_mask:0xf
	v_add_f32_e32 v6, v80, v6
	v_mov_b32_dpp v4, v84 row_shr:1 row_mask:0xf bank_mask:0xf
	;; [unrolled: 2-line block ×4, first 2 shown]
	v_add_f32_e32 v6, v81, v6
	v_add_f32_e32 v2, v83, v2
	;; [unrolled: 1-line block ×3, first 2 shown]
	v_mov_b32_dpp v8, v6 row_shr:2 row_mask:0xf bank_mask:0xf
	v_add_f32_e32 v13, v6, v8
	v_mov_b32_dpp v6, v78 row_shr:1 row_mask:0xf bank_mask:0xf
	v_add_f32_e32 v6, v78, v6
	v_mov_b32_dpp v1, v0 row_shr:2 row_mask:0xf bank_mask:0xf
	v_mov_b32_dpp v3, v2 row_shr:2 row_mask:0xf bank_mask:0xf
	;; [unrolled: 1-line block ×3, first 2 shown]
	v_add_f32_e32 v16, v6, v8
	v_mov_b32_dpp v6, v79 row_shr:1 row_mask:0xf bank_mask:0xf
	v_add_f32_e32 v6, v79, v6
	v_mov_b32_dpp v5, v4 row_shr:2 row_mask:0xf bank_mask:0xf
	v_add_f32_e32 v0, v0, v1
	v_mov_b32_dpp v8, v6 row_shr:2 row_mask:0xf bank_mask:0xf
	v_add_f32_e32 v2, v2, v3
	v_add_f32_e32 v4, v4, v5
	;; [unrolled: 1-line block ×3, first 2 shown]
	v_mov_b32_dpp v1, v0 row_shr:4 row_mask:0xf bank_mask:0xe
	v_mov_b32_dpp v3, v2 row_shr:4 row_mask:0xf bank_mask:0xe
	;; [unrolled: 1-line block ×8, first 2 shown]
	v_cmp_eq_u32_e32 vcc, 7, v73
	s_and_b64 exec, exec, vcc
	s_cbranch_execz .LBB11_14
; %bb.44:
	s_load_dwordx2 s[2:3], s[4:5], 0x50
	v_add_f32_e32 v8, v0, v1
	v_and_b32_e32 v1, 0x7fffffff, v70
	v_cmp_eq_u32_e32 vcc, 0, v1
	v_cmp_eq_f32_e64 s[0:1], 0, v71
	v_add_f32_e32 v14, v2, v3
	v_add_f32_e32 v6, v4, v5
	;; [unrolled: 1-line block ×7, first 2 shown]
	s_and_b64 s[0:1], vcc, s[0:1]
	v_lshlrev_b32_e32 v16, 2, v72
	s_and_saveexec_b64 s[4:5], s[0:1]
	s_xor_b64 s[0:1], exec, s[4:5]
	s_cbranch_execz .LBB11_46
; %bb.45:
	v_xor_b32_e32 v18, 0x80000000, v69
	v_ashrrev_i32_e32 v17, 31, v16
	v_mov_b32_e32 v19, v68
	v_lshlrev_b64 v[16:17], 3, v[16:17]
	v_pk_mul_f32 v[14:15], v[14:15], v[18:19] op_sel_hi:[0,1]
	s_waitcnt lgkmcnt(0)
	v_mov_b32_e32 v1, s3
	v_add_co_u32_e32 v20, vcc, s2, v16
	v_pk_fma_f32 v[14:15], v[68:69], v[8:9], v[14:15] op_sel_hi:[1,0,1]
	v_pk_mul_f32 v[8:9], v[12:13], v[18:19] op_sel_hi:[0,1]
	v_addc_co_u32_e32 v21, vcc, v1, v17, vcc
	v_pk_fma_f32 v[16:17], v[68:69], v[6:7], v[8:9] op_sel_hi:[1,0,1]
	v_pk_mul_f32 v[6:7], v[10:11], v[18:19] op_sel_hi:[0,1]
	v_pk_mul_f32 v[4:5], v[4:5], v[18:19] op_sel_hi:[0,1]
	v_pk_fma_f32 v[2:3], v[68:69], v[2:3], v[6:7] op_sel_hi:[1,0,1]
	v_pk_fma_f32 v[4:5], v[68:69], v[0:1], v[4:5] op_sel_hi:[1,0,1]
	global_store_dwordx4 v[20:21], v[14:17], off
	global_store_dwordx4 v[20:21], v[2:5], off offset:16
                                        ; implicit-def: $vgpr69
                                        ; implicit-def: $vgpr70
                                        ; implicit-def: $vgpr8
                                        ; implicit-def: $vgpr14
                                        ; implicit-def: $vgpr6
                                        ; implicit-def: $vgpr12
                                        ; implicit-def: $vgpr2
                                        ; implicit-def: $vgpr10
                                        ; implicit-def: $vgpr0
                                        ; implicit-def: $vgpr4
                                        ; implicit-def: $vgpr16
.LBB11_46:
	s_andn2_saveexec_b64 s[0:1], s[0:1]
	s_cbranch_execz .LBB11_14
; %bb.47:
	v_ashrrev_i32_e32 v17, 31, v16
	v_lshlrev_b64 v[16:17], 3, v[16:17]
	s_waitcnt lgkmcnt(0)
	v_mov_b32_e32 v1, s3
	v_add_co_u32_e32 v24, vcc, s2, v16
	v_addc_co_u32_e32 v25, vcc, v1, v17, vcc
	global_load_dwordx4 v[16:19], v[24:25], off
	global_load_dwordx4 v[20:23], v[24:25], off offset:16
	v_xor_b32_e32 v26, 0x80000000, v69
	v_mov_b32_e32 v27, v68
	v_pk_mul_f32 v[14:15], v[14:15], v[26:27] op_sel_hi:[0,1]
	v_pk_mul_f32 v[12:13], v[12:13], v[26:27] op_sel_hi:[0,1]
	;; [unrolled: 1-line block ×4, first 2 shown]
	v_pk_fma_f32 v[8:9], v[68:69], v[8:9], v[14:15] op_sel_hi:[1,0,1]
	v_pk_fma_f32 v[6:7], v[68:69], v[6:7], v[12:13] op_sel_hi:[1,0,1]
	v_xor_b32_e32 v28, 0x80000000, v71
	v_mov_b32_e32 v29, v70
	v_pk_fma_f32 v[2:3], v[68:69], v[2:3], v[10:11] op_sel_hi:[1,0,1]
	v_pk_fma_f32 v[0:1], v[68:69], v[0:1], v[4:5] op_sel_hi:[1,0,1]
	s_waitcnt vmcnt(1)
	v_pk_fma_f32 v[4:5], v[70:71], v[16:17], v[8:9] op_sel_hi:[1,0,1]
	v_pk_fma_f32 v[6:7], v[70:71], v[18:19], v[6:7] op_sel_hi:[1,0,1]
	v_mov_b32_e32 v8, v19
	s_waitcnt vmcnt(0)
	v_pk_fma_f32 v[10:11], v[70:71], v[20:21], v[2:3] op_sel_hi:[1,0,1]
	v_pk_fma_f32 v[12:13], v[70:71], v[22:23], v[0:1] op_sel_hi:[1,0,1]
	v_mov_b32_e32 v14, v23
	v_pk_fma_f32 v[0:1], v[28:29], v[16:17], v[4:5] op_sel:[0,1,0]
	v_pk_fma_f32 v[2:3], v[28:29], v[8:9], v[6:7] op_sel_hi:[1,0,1]
	v_pk_fma_f32 v[4:5], v[28:29], v[20:21], v[10:11] op_sel:[0,1,0]
	v_pk_fma_f32 v[6:7], v[28:29], v[14:15], v[12:13] op_sel_hi:[1,0,1]
	global_store_dwordx4 v[24:25], v[0:3], off
	global_store_dwordx4 v[24:25], v[4:7], off offset:16
	s_endpgm
	.section	.rodata,"a",@progbits
	.p2align	6, 0x0
	.amdhsa_kernel _ZN9rocsparseL18bsrxmvn_4x4_kernelILj128ELj8E21rocsparse_complex_numIfEiiS2_S2_S2_EEvT3_20rocsparse_direction_NS_24const_host_device_scalarIT1_EES3_PKS3_PKT2_SC_S9_PKT4_PKT5_S7_PT6_21rocsparse_index_base_b
		.amdhsa_group_segment_fixed_size 0
		.amdhsa_private_segment_fixed_size 0
		.amdhsa_kernarg_size 96
		.amdhsa_user_sgpr_count 6
		.amdhsa_user_sgpr_private_segment_buffer 1
		.amdhsa_user_sgpr_dispatch_ptr 0
		.amdhsa_user_sgpr_queue_ptr 0
		.amdhsa_user_sgpr_kernarg_segment_ptr 1
		.amdhsa_user_sgpr_dispatch_id 0
		.amdhsa_user_sgpr_flat_scratch_init 0
		.amdhsa_user_sgpr_kernarg_preload_length 0
		.amdhsa_user_sgpr_kernarg_preload_offset 0
		.amdhsa_user_sgpr_private_segment_size 0
		.amdhsa_uses_dynamic_stack 0
		.amdhsa_system_sgpr_private_segment_wavefront_offset 0
		.amdhsa_system_sgpr_workgroup_id_x 1
		.amdhsa_system_sgpr_workgroup_id_y 0
		.amdhsa_system_sgpr_workgroup_id_z 0
		.amdhsa_system_sgpr_workgroup_info 0
		.amdhsa_system_vgpr_workitem_id 0
		.amdhsa_next_free_vgpr 104
		.amdhsa_next_free_sgpr 18
		.amdhsa_accum_offset 104
		.amdhsa_reserve_vcc 1
		.amdhsa_reserve_flat_scratch 0
		.amdhsa_float_round_mode_32 0
		.amdhsa_float_round_mode_16_64 0
		.amdhsa_float_denorm_mode_32 3
		.amdhsa_float_denorm_mode_16_64 3
		.amdhsa_dx10_clamp 1
		.amdhsa_ieee_mode 1
		.amdhsa_fp16_overflow 0
		.amdhsa_tg_split 0
		.amdhsa_exception_fp_ieee_invalid_op 0
		.amdhsa_exception_fp_denorm_src 0
		.amdhsa_exception_fp_ieee_div_zero 0
		.amdhsa_exception_fp_ieee_overflow 0
		.amdhsa_exception_fp_ieee_underflow 0
		.amdhsa_exception_fp_ieee_inexact 0
		.amdhsa_exception_int_div_zero 0
	.end_amdhsa_kernel
	.section	.text._ZN9rocsparseL18bsrxmvn_4x4_kernelILj128ELj8E21rocsparse_complex_numIfEiiS2_S2_S2_EEvT3_20rocsparse_direction_NS_24const_host_device_scalarIT1_EES3_PKS3_PKT2_SC_S9_PKT4_PKT5_S7_PT6_21rocsparse_index_base_b,"axG",@progbits,_ZN9rocsparseL18bsrxmvn_4x4_kernelILj128ELj8E21rocsparse_complex_numIfEiiS2_S2_S2_EEvT3_20rocsparse_direction_NS_24const_host_device_scalarIT1_EES3_PKS3_PKT2_SC_S9_PKT4_PKT5_S7_PT6_21rocsparse_index_base_b,comdat
.Lfunc_end11:
	.size	_ZN9rocsparseL18bsrxmvn_4x4_kernelILj128ELj8E21rocsparse_complex_numIfEiiS2_S2_S2_EEvT3_20rocsparse_direction_NS_24const_host_device_scalarIT1_EES3_PKS3_PKT2_SC_S9_PKT4_PKT5_S7_PT6_21rocsparse_index_base_b, .Lfunc_end11-_ZN9rocsparseL18bsrxmvn_4x4_kernelILj128ELj8E21rocsparse_complex_numIfEiiS2_S2_S2_EEvT3_20rocsparse_direction_NS_24const_host_device_scalarIT1_EES3_PKS3_PKT2_SC_S9_PKT4_PKT5_S7_PT6_21rocsparse_index_base_b
                                        ; -- End function
	.section	.AMDGPU.csdata,"",@progbits
; Kernel info:
; codeLenInByte = 6944
; NumSgprs: 22
; NumVgprs: 104
; NumAgprs: 0
; TotalNumVgprs: 104
; ScratchSize: 0
; MemoryBound: 0
; FloatMode: 240
; IeeeMode: 1
; LDSByteSize: 0 bytes/workgroup (compile time only)
; SGPRBlocks: 2
; VGPRBlocks: 12
; NumSGPRsForWavesPerEU: 22
; NumVGPRsForWavesPerEU: 104
; AccumOffset: 104
; Occupancy: 4
; WaveLimiterHint : 1
; COMPUTE_PGM_RSRC2:SCRATCH_EN: 0
; COMPUTE_PGM_RSRC2:USER_SGPR: 6
; COMPUTE_PGM_RSRC2:TRAP_HANDLER: 0
; COMPUTE_PGM_RSRC2:TGID_X_EN: 1
; COMPUTE_PGM_RSRC2:TGID_Y_EN: 0
; COMPUTE_PGM_RSRC2:TGID_Z_EN: 0
; COMPUTE_PGM_RSRC2:TIDIG_COMP_CNT: 0
; COMPUTE_PGM_RSRC3_GFX90A:ACCUM_OFFSET: 25
; COMPUTE_PGM_RSRC3_GFX90A:TG_SPLIT: 0
	.section	.text._ZN9rocsparseL18bsrxmvn_4x4_kernelILj128ELj16E21rocsparse_complex_numIfEiiS2_S2_S2_EEvT3_20rocsparse_direction_NS_24const_host_device_scalarIT1_EES3_PKS3_PKT2_SC_S9_PKT4_PKT5_S7_PT6_21rocsparse_index_base_b,"axG",@progbits,_ZN9rocsparseL18bsrxmvn_4x4_kernelILj128ELj16E21rocsparse_complex_numIfEiiS2_S2_S2_EEvT3_20rocsparse_direction_NS_24const_host_device_scalarIT1_EES3_PKS3_PKT2_SC_S9_PKT4_PKT5_S7_PT6_21rocsparse_index_base_b,comdat
	.globl	_ZN9rocsparseL18bsrxmvn_4x4_kernelILj128ELj16E21rocsparse_complex_numIfEiiS2_S2_S2_EEvT3_20rocsparse_direction_NS_24const_host_device_scalarIT1_EES3_PKS3_PKT2_SC_S9_PKT4_PKT5_S7_PT6_21rocsparse_index_base_b ; -- Begin function _ZN9rocsparseL18bsrxmvn_4x4_kernelILj128ELj16E21rocsparse_complex_numIfEiiS2_S2_S2_EEvT3_20rocsparse_direction_NS_24const_host_device_scalarIT1_EES3_PKS3_PKT2_SC_S9_PKT4_PKT5_S7_PT6_21rocsparse_index_base_b
	.p2align	8
	.type	_ZN9rocsparseL18bsrxmvn_4x4_kernelILj128ELj16E21rocsparse_complex_numIfEiiS2_S2_S2_EEvT3_20rocsparse_direction_NS_24const_host_device_scalarIT1_EES3_PKS3_PKT2_SC_S9_PKT4_PKT5_S7_PT6_21rocsparse_index_base_b,@function
_ZN9rocsparseL18bsrxmvn_4x4_kernelILj128ELj16E21rocsparse_complex_numIfEiiS2_S2_S2_EEvT3_20rocsparse_direction_NS_24const_host_device_scalarIT1_EES3_PKS3_PKT2_SC_S9_PKT4_PKT5_S7_PT6_21rocsparse_index_base_b: ; @_ZN9rocsparseL18bsrxmvn_4x4_kernelILj128ELj16E21rocsparse_complex_numIfEiiS2_S2_S2_EEvT3_20rocsparse_direction_NS_24const_host_device_scalarIT1_EES3_PKS3_PKT2_SC_S9_PKT4_PKT5_S7_PT6_21rocsparse_index_base_b
; %bb.0:
	s_load_dwordx2 s[16:17], s[4:5], 0x58
	s_load_dwordx2 s[8:9], s[4:5], 0x8
	;; [unrolled: 1-line block ×3, first 2 shown]
	s_waitcnt lgkmcnt(0)
	s_bitcmp1_b32 s17, 0
	s_cselect_b64 s[0:1], -1, 0
	s_xor_b64 s[10:11], s[0:1], -1
	s_and_b64 vcc, exec, s[0:1]
	v_mov_b32_e32 v72, s8
	s_cbranch_vccnz .LBB12_2
; %bb.1:
	v_pk_mov_b32 v[2:3], s[8:9], s[8:9] op_sel:[0,1]
	flat_load_dword v72, v[2:3]
.LBB12_2:
	v_cndmask_b32_e64 v1, 0, 1, s[10:11]
	v_cmp_ne_u32_e64 s[0:1], 1, v1
	s_andn2_b64 vcc, exec, s[10:11]
	v_mov_b32_e32 v73, s9
	s_cbranch_vccz .LBB12_15
; %bb.3:
	s_and_b64 vcc, exec, s[0:1]
	v_mov_b32_e32 v74, s2
	s_cbranch_vccz .LBB12_16
.LBB12_4:
	s_and_b64 vcc, exec, s[0:1]
	v_mov_b32_e32 v75, s3
	s_cbranch_vccnz .LBB12_6
.LBB12_5:
	v_pk_mov_b32 v[2:3], s[2:3], s[2:3] op_sel:[0,1]
	flat_load_dword v75, v[2:3] offset:4
.LBB12_6:
	s_waitcnt vmcnt(0) lgkmcnt(0)
	v_and_b32_e32 v1, 0x7fffffff, v72
	v_cmp_eq_u32_e32 vcc, 0, v1
	v_cmp_eq_f32_e64 s[0:1], 0, v73
	s_and_b64 s[8:9], vcc, s[0:1]
	s_mov_b64 s[0:1], -1
	s_and_saveexec_b64 s[2:3], s[8:9]
; %bb.7:
	v_and_b32_e32 v1, 0x7fffffff, v75
	v_cmp_neq_f32_e32 vcc, 1.0, v74
	v_cmp_ne_u32_e64 s[0:1], 0, v1
	s_or_b64 s[0:1], vcc, s[0:1]
	s_orn2_b64 s[0:1], s[0:1], exec
; %bb.8:
	s_or_b64 exec, exec, s[2:3]
	s_and_saveexec_b64 s[2:3], s[0:1]
	s_cbranch_execz .LBB12_14
; %bb.9:
	s_load_dwordx2 s[8:9], s[4:5], 0x18
	s_load_dwordx2 s[0:1], s[4:5], 0x0
	v_lshrrev_b32_e32 v1, 4, v0
	v_lshl_or_b32 v76, s6, 3, v1
	s_mov_b64 s[2:3], 0
	s_waitcnt lgkmcnt(0)
	s_cmp_lg_u64 s[8:9], 0
	s_cbranch_scc0 .LBB12_17
; %bb.10:
	s_load_dword s6, s[4:5], 0x10
                                        ; implicit-def: $vgpr1
	s_waitcnt lgkmcnt(0)
	v_cmp_gt_i32_e32 vcc, s6, v76
	s_and_saveexec_b64 s[6:7], vcc
	s_xor_b64 s[6:7], exec, s[6:7]
	s_cbranch_execz .LBB12_12
; %bb.11:
	v_ashrrev_i32_e32 v77, 31, v76
	v_lshlrev_b64 v[2:3], 2, v[76:77]
	v_mov_b32_e32 v1, s9
	v_add_co_u32_e32 v2, vcc, s8, v2
	v_addc_co_u32_e32 v3, vcc, v1, v3, vcc
	global_load_dword v1, v[2:3], off
	s_mov_b64 s[2:3], exec
	s_waitcnt vmcnt(0)
	v_subrev_u32_e32 v1, s16, v1
.LBB12_12:
	s_or_b64 exec, exec, s[6:7]
	s_branch .LBB12_18
.LBB12_13:
	v_cmp_gt_i32_e32 vcc, s0, v76
	s_andn2_b64 s[2:3], s[2:3], exec
	s_and_b64 s[6:7], vcc, exec
	s_or_b64 s[2:3], s[2:3], s[6:7]
	s_and_b64 exec, exec, s[2:3]
	s_cbranch_execnz .LBB12_19
.LBB12_14:
	s_endpgm
.LBB12_15:
	v_pk_mov_b32 v[2:3], s[8:9], s[8:9] op_sel:[0,1]
	flat_load_dword v73, v[2:3] offset:4
	s_and_b64 vcc, exec, s[0:1]
	v_mov_b32_e32 v74, s2
	s_cbranch_vccnz .LBB12_4
.LBB12_16:
	v_pk_mov_b32 v[2:3], s[2:3], s[2:3] op_sel:[0,1]
	flat_load_dword v74, v[2:3]
	s_and_b64 vcc, exec, s[0:1]
	v_mov_b32_e32 v75, s3
	s_cbranch_vccz .LBB12_5
	s_branch .LBB12_6
.LBB12_17:
                                        ; implicit-def: $vgpr1
	s_cbranch_execnz .LBB12_13
.LBB12_18:
	v_mov_b32_e32 v76, v1
	s_and_b64 exec, exec, s[2:3]
	s_cbranch_execz .LBB12_14
.LBB12_19:
	s_load_dwordx8 s[8:15], s[4:5], 0x20
	v_ashrrev_i32_e32 v77, 31, v76
	v_lshlrev_b64 v[2:3], 2, v[76:77]
	v_and_b32_e32 v77, 15, v0
	s_load_dwordx2 s[6:7], s[4:5], 0x40
	s_waitcnt lgkmcnt(0)
	v_mov_b32_e32 v1, s9
	v_add_co_u32_e32 v4, vcc, s8, v2
	v_addc_co_u32_e32 v5, vcc, v1, v3, vcc
	v_add_co_u32_e32 v1, vcc, 4, v4
	global_load_dword v90, v[4:5], off
	v_addc_co_u32_e32 v4, vcc, 0, v5, vcc
	v_mov_b32_e32 v5, s11
	v_add_co_u32_e32 v2, vcc, s10, v2
	s_cmp_eq_u64 s[10:11], 0
	v_addc_co_u32_e32 v3, vcc, v5, v3, vcc
	s_cselect_b64 vcc, -1, 0
	v_cndmask_b32_e32 v3, v3, v4, vcc
	v_cndmask_b32_e32 v2, v2, v1, vcc
	global_load_dword v1, v[2:3], off
	v_mov_b32_e32 v2, s15
	s_cmp_eq_u32 s1, 1
	s_waitcnt vmcnt(1)
	v_subrev_u32_e32 v0, s16, v90
	v_add_u32_e32 v78, v0, v77
	v_ashrrev_i32_e32 v79, 31, v78
	s_waitcnt vmcnt(0)
	v_subrev_u32_e32 v92, s16, v1
	v_lshlrev_b64 v[0:1], 7, v[78:79]
	v_add_co_u32_e32 v80, vcc, s14, v0
	v_addc_co_u32_e32 v81, vcc, v2, v1, vcc
	v_cmp_lt_i32_e64 s[0:1], v78, v92
	s_cbranch_scc1 .LBB12_31
; %bb.20:
	s_mov_b32 s2, 0
	v_mov_b32_e32 v89, 0
	v_mov_b32_e32 v88, 0
	;; [unrolled: 1-line block ×8, first 2 shown]
	s_and_saveexec_b64 s[8:9], s[0:1]
	s_cbranch_execz .LBB12_30
; %bb.21:
	v_add_u32_e32 v0, v90, v77
	v_subrev_u32_e32 v0, s16, v0
	v_add_u32_e32 v0, 16, v0
	v_max_i32_e32 v0, v0, v92
	v_not_b32_e32 v1, v90
	v_add3_u32 v0, v0, s16, v1
	v_sub_u32_e32 v0, v0, v77
	v_lshrrev_b32_e32 v1, 4, v0
	v_add_u32_e32 v1, 1, v1
	v_and_b32_e32 v1, 3, v1
	s_mov_b32 s3, s2
	v_cmp_ne_u32_e32 vcc, 0, v1
	v_pk_mov_b32 v[88:89], s[2:3], s[2:3] op_sel:[0,1]
	v_pk_mov_b32 v[82:83], s[2:3], s[2:3] op_sel:[0,1]
	;; [unrolled: 1-line block ×5, first 2 shown]
	v_mov_b32_e32 v60, v78
	s_and_saveexec_b64 s[2:3], vcc
	s_cbranch_execz .LBB12_25
; %bb.22:
	v_mov_b32_e32 v86, 0
	v_lshlrev_b32_e32 v1, 7, v1
	s_mov_b64 s[10:11], 0
	v_mov_b32_e32 v2, s13
	v_mov_b32_e32 v3, s7
	s_movk_i32 s14, 0x800
	v_mov_b32_e32 v60, v78
	v_pk_mov_b32 v[62:63], v[80:81], v[80:81] op_sel:[0,1]
	v_mov_b32_e32 v87, v86
	v_mov_b32_e32 v84, v86
	;; [unrolled: 1-line block ×7, first 2 shown]
.LBB12_23:                              ; =>This Inner Loop Header: Depth=1
	v_ashrrev_i32_e32 v61, 31, v60
	v_lshlrev_b64 v[4:5], 2, v[60:61]
	v_add_co_u32_e32 v36, vcc, s12, v4
	v_addc_co_u32_e32 v37, vcc, v2, v5, vcc
	global_load_dword v38, v[36:37], off
	global_load_dwordx4 v[4:7], v[62:63], off
	global_load_dwordx4 v[8:11], v[62:63], off offset:16
	global_load_dwordx4 v[12:15], v[62:63], off offset:48
	;; [unrolled: 1-line block ×7, first 2 shown]
	v_add_u32_e32 v1, 0xffffff80, v1
	v_add_u32_e32 v60, 16, v60
	s_waitcnt vmcnt(8)
	v_subrev_u32_e32 v36, s16, v38
	v_lshlrev_b32_e32 v36, 2, v36
	v_ashrrev_i32_e32 v37, 31, v36
	v_lshlrev_b64 v[36:37], 3, v[36:37]
	v_add_co_u32_e32 v44, vcc, s6, v36
	v_addc_co_u32_e32 v45, vcc, v3, v37, vcc
	global_load_dwordx4 v[36:39], v[44:45], off
	global_load_dwordx4 v[40:43], v[44:45], off offset:16
	s_waitcnt vmcnt(9)
	v_xor_b32_e32 v44, 0x80000000, v7
	v_mov_b32_e32 v45, v6
	s_waitcnt vmcnt(6)
	v_xor_b32_e32 v48, 0x80000000, v19
	v_mov_b32_e32 v49, v18
	;; [unrolled: 3-line block ×3, first 2 shown]
	v_xor_b32_e32 v56, 0x80000000, v27
	v_mov_b32_e32 v57, v26
	v_add_co_u32_e32 v62, vcc, s14, v62
	v_addc_co_u32_e32 v63, vcc, 0, v63, vcc
	v_cmp_eq_u32_e32 vcc, 0, v1
	v_xor_b32_e32 v46, 0x80000000, v11
	v_mov_b32_e32 v47, v10
	v_xor_b32_e32 v50, 0x80000000, v15
	v_mov_b32_e32 v51, v14
	;; [unrolled: 2-line block ×4, first 2 shown]
	s_or_b64 s[10:11], vcc, s[10:11]
	s_waitcnt vmcnt(1)
	v_pk_fma_f32 v[64:65], v[4:5], v[36:37], v[88:89] op_sel_hi:[1,0,1]
	v_pk_fma_f32 v[66:67], v[16:17], v[36:37], v[86:87] op_sel_hi:[1,0,1]
	;; [unrolled: 1-line block ×4, first 2 shown]
	v_pk_fma_f32 v[4:5], v[4:5], v[36:37], v[64:65] op_sel:[1,1,0] op_sel_hi:[0,1,1] neg_lo:[1,0,0]
	v_pk_fma_f32 v[16:17], v[16:17], v[36:37], v[66:67] op_sel:[1,1,0] op_sel_hi:[0,1,1] neg_lo:[1,0,0]
	;; [unrolled: 1-line block ×4, first 2 shown]
	v_mov_b32_e32 v82, v39
	v_pk_fma_f32 v[4:5], v[6:7], v[38:39], v[4:5] op_sel_hi:[1,0,1]
	v_pk_fma_f32 v[6:7], v[18:19], v[38:39], v[16:17] op_sel_hi:[1,0,1]
	;; [unrolled: 1-line block ×8, first 2 shown]
	s_waitcnt vmcnt(0)
	v_pk_fma_f32 v[4:5], v[8:9], v[40:41], v[4:5] op_sel_hi:[1,0,1]
	v_pk_fma_f32 v[6:7], v[12:13], v[40:41], v[6:7] op_sel_hi:[1,0,1]
	;; [unrolled: 1-line block ×4, first 2 shown]
	v_pk_fma_f32 v[4:5], v[8:9], v[40:41], v[4:5] op_sel:[1,1,0] op_sel_hi:[0,1,1] neg_lo:[1,0,0]
	v_pk_fma_f32 v[6:7], v[12:13], v[40:41], v[6:7] op_sel:[1,1,0] op_sel_hi:[0,1,1] neg_lo:[1,0,0]
	;; [unrolled: 1-line block ×4, first 2 shown]
	v_mov_b32_e32 v94, v43
	v_pk_fma_f32 v[4:5], v[10:11], v[42:43], v[4:5] op_sel_hi:[1,0,1]
	v_pk_fma_f32 v[6:7], v[14:15], v[42:43], v[6:7] op_sel_hi:[1,0,1]
	;; [unrolled: 1-line block ×8, first 2 shown]
	s_andn2_b64 exec, exec, s[10:11]
	s_cbranch_execnz .LBB12_23
; %bb.24:
	s_or_b64 exec, exec, s[10:11]
.LBB12_25:
	s_or_b64 exec, exec, s[2:3]
	v_cmp_lt_u32_e32 vcc, 47, v0
	s_and_saveexec_b64 s[10:11], vcc
	s_cbranch_execz .LBB12_29
; %bb.26:
	s_mov_b64 s[14:15], 0
	v_mov_b32_e32 v79, s13
	v_mov_b32_e32 v91, s7
	s_movk_i32 s17, 0x1000
.LBB12_27:                              ; =>This Inner Loop Header: Depth=1
	v_ashrrev_i32_e32 v61, 31, v60
	v_lshlrev_b64 v[48:49], 2, v[60:61]
	v_add_co_u32_e32 v64, vcc, s12, v48
	v_addc_co_u32_e32 v65, vcc, v79, v49, vcc
	global_load_dwordx4 v[0:3], v[62:63], off offset:48
	global_load_dwordx4 v[94:97], v[62:63], off offset:32
	;; [unrolled: 1-line block ×3, first 2 shown]
	global_load_dwordx4 v[66:69], v[62:63], off
	global_load_dwordx4 v[20:23], v[62:63], off offset:112
	global_load_dwordx4 v[40:43], v[62:63], off offset:96
	;; [unrolled: 1-line block ×11, first 2 shown]
	global_load_dword v48, v[64:65], off
	v_add_u32_e32 v60, 64, v60
	s_waitcnt vmcnt(12)
	v_xor_b32_e32 v58, 0x80000000, v69
	v_mov_b32_e32 v59, v68
	s_waitcnt vmcnt(10)
	v_xor_b32_e32 v98, 0x80000000, v43
	v_mov_b32_e32 v99, v42
	s_waitcnt vmcnt(0)
	v_subrev_u32_e32 v48, s16, v48
	v_lshlrev_b32_e32 v48, 2, v48
	v_ashrrev_i32_e32 v49, 31, v48
	v_lshlrev_b64 v[48:49], 3, v[48:49]
	v_add_co_u32_e32 v56, vcc, s6, v48
	v_addc_co_u32_e32 v57, vcc, v91, v49, vcc
	global_load_dwordx4 v[48:51], v[56:57], off
	s_waitcnt vmcnt(0)
	v_pk_fma_f32 v[70:71], v[66:67], v[48:49], v[88:89] op_sel_hi:[1,0,1]
	v_pk_fma_f32 v[66:67], v[66:67], v[48:49], v[70:71] op_sel:[1,1,0] op_sel_hi:[0,1,1] neg_lo:[1,0,0]
	v_pk_fma_f32 v[70:71], v[94:95], v[48:49], v[86:87] op_sel_hi:[1,0,1]
	v_pk_fma_f32 v[84:85], v[52:53], v[48:49], v[84:85] op_sel_hi:[1,0,1]
	v_pk_fma_f32 v[70:71], v[94:95], v[48:49], v[70:71] op_sel:[1,1,0] op_sel_hi:[0,1,1] neg_lo:[1,0,0]
	v_pk_fma_f32 v[52:53], v[52:53], v[48:49], v[84:85] op_sel:[1,1,0] op_sel_hi:[0,1,1] neg_lo:[1,0,0]
	v_pk_fma_f32 v[68:69], v[68:69], v[50:51], v[66:67] op_sel_hi:[1,0,1]
	v_xor_b32_e32 v66, 0x80000000, v97
	v_mov_b32_e32 v67, v96
	v_pk_fma_f32 v[70:71], v[96:97], v[50:51], v[70:71] op_sel_hi:[1,0,1]
	v_pk_fma_f32 v[96:97], v[54:55], v[50:51], v[52:53] op_sel_hi:[1,0,1]
	;; [unrolled: 1-line block ×3, first 2 shown]
	v_pk_fma_f32 v[40:41], v[40:41], v[48:49], v[52:53] op_sel:[1,1,0] op_sel_hi:[0,1,1] neg_lo:[1,0,0]
	v_pk_fma_f32 v[48:49], v[42:43], v[50:51], v[40:41] op_sel_hi:[1,0,1]
	v_mov_b32_e32 v50, v51
	v_pk_fma_f32 v[82:83], v[58:59], v[50:51], v[68:69] op_sel_hi:[1,0,1]
	global_load_dwordx4 v[56:59], v[56:57], off offset:16
	v_xor_b32_e32 v94, 0x80000000, v55
	v_mov_b32_e32 v95, v54
	v_pk_fma_f32 v[70:71], v[66:67], v[50:51], v[70:71] op_sel_hi:[1,0,1]
	v_pk_fma_f32 v[94:95], v[94:95], v[50:51], v[96:97] op_sel_hi:[1,0,1]
	;; [unrolled: 1-line block ×3, first 2 shown]
	v_add_co_u32_e64 v84, s[2:3], s17, v62
	v_addc_co_u32_e64 v85, s[2:3], 0, v63, s[2:3]
	v_xor_b32_e32 v98, 0x80000000, v11
	v_mov_b32_e32 v99, v10
	global_load_dwordx4 v[86:89], v[62:63], off offset:2112
	global_load_dwordx4 v[40:43], v[84:85], off offset:48
	;; [unrolled: 1-line block ×3, first 2 shown]
	global_load_dwordx4 v[66:69], v[84:85], off
	v_add_co_u32_e32 v62, vcc, 0x2000, v62
	v_addc_co_u32_e32 v63, vcc, 0, v63, vcc
	v_cmp_ge_i32_e32 vcc, v60, v92
	s_or_b64 s[14:15], vcc, s[14:15]
	s_waitcnt vmcnt(4)
	v_pk_fma_f32 v[48:49], v[8:9], v[56:57], v[82:83] op_sel_hi:[1,0,1]
	v_pk_fma_f32 v[8:9], v[8:9], v[56:57], v[48:49] op_sel:[1,1,0] op_sel_hi:[0,1,1] neg_lo:[1,0,0]
	v_pk_fma_f32 v[48:49], v[0:1], v[56:57], v[70:71] op_sel_hi:[1,0,1]
	v_pk_fma_f32 v[70:71], v[24:25], v[56:57], v[94:95] op_sel_hi:[1,0,1]
	v_pk_fma_f32 v[24:25], v[24:25], v[56:57], v[70:71] op_sel:[1,1,0] op_sel_hi:[0,1,1] neg_lo:[1,0,0]
	v_pk_fma_f32 v[70:71], v[26:27], v[58:59], v[24:25] op_sel_hi:[1,0,1]
	global_load_dword v24, v[64:65], off offset:64
	v_pk_fma_f32 v[0:1], v[0:1], v[56:57], v[48:49] op_sel:[1,1,0] op_sel_hi:[0,1,1] neg_lo:[1,0,0]
	global_load_dwordx4 v[48:51], v[84:85], off offset:16
	v_pk_fma_f32 v[8:9], v[10:11], v[58:59], v[8:9] op_sel_hi:[1,0,1]
	v_xor_b32_e32 v10, 0x80000000, v3
	v_mov_b32_e32 v11, v2
	v_pk_fma_f32 v[0:1], v[2:3], v[58:59], v[0:1] op_sel_hi:[1,0,1]
	v_mov_b32_e32 v95, v22
	v_xor_b32_e32 v2, 0x80000000, v27
	v_mov_b32_e32 v3, v26
	v_xor_b32_e32 v94, 0x80000000, v23
	s_waitcnt vmcnt(1)
	v_subrev_u32_e32 v24, s16, v24
	v_lshlrev_b32_e32 v24, 2, v24
	v_ashrrev_i32_e32 v25, 31, v24
	v_lshlrev_b64 v[24:25], 3, v[24:25]
	v_add_co_u32_e64 v82, s[2:3], s6, v24
	v_addc_co_u32_e64 v83, s[2:3], v91, v25, s[2:3]
	v_pk_fma_f32 v[24:25], v[20:21], v[56:57], v[96:97] op_sel_hi:[1,0,1]
	v_pk_fma_f32 v[20:21], v[20:21], v[56:57], v[24:25] op_sel:[1,1,0] op_sel_hi:[0,1,1] neg_lo:[1,0,0]
	v_pk_fma_f32 v[20:21], v[22:23], v[58:59], v[20:21] op_sel_hi:[1,0,1]
	v_mov_b32_e32 v22, v59
	v_pk_fma_f32 v[96:97], v[98:99], v[22:23], v[8:9] op_sel_hi:[1,0,1]
	v_pk_fma_f32 v[0:1], v[10:11], v[22:23], v[0:1] op_sel_hi:[1,0,1]
	global_load_dwordx4 v[8:11], v[82:83], off
	v_pk_fma_f32 v[2:3], v[2:3], v[22:23], v[70:71] op_sel_hi:[1,0,1]
	v_pk_fma_f32 v[20:21], v[94:95], v[22:23], v[20:21] op_sel_hi:[1,0,1]
	v_xor_b32_e32 v70, 0x80000000, v31
	v_mov_b32_e32 v71, v30
	v_xor_b32_e32 v98, 0x80000000, v39
	v_mov_b32_e32 v99, v38
	global_load_dwordx4 v[24:27], v[84:85], off offset:112
	global_load_dwordx4 v[56:59], v[84:85], off offset:96
	s_waitcnt vmcnt(2)
	v_pk_fma_f32 v[0:1], v[28:29], v[8:9], v[0:1] op_sel_hi:[1,0,1]
	v_pk_fma_f32 v[0:1], v[28:29], v[8:9], v[0:1] op_sel:[1,1,0] op_sel_hi:[0,1,1] neg_lo:[1,0,0]
	v_pk_fma_f32 v[28:29], v[30:31], v[10:11], v[0:1] op_sel_hi:[1,0,1]
	v_pk_fma_f32 v[0:1], v[86:87], v[8:9], v[2:3] op_sel_hi:[1,0,1]
	v_pk_fma_f32 v[0:1], v[86:87], v[8:9], v[0:1] op_sel:[1,1,0] op_sel_hi:[0,1,1] neg_lo:[1,0,0]
	v_pk_fma_f32 v[94:95], v[88:89], v[10:11], v[0:1] op_sel_hi:[1,0,1]
	v_pk_fma_f32 v[0:1], v[44:45], v[8:9], v[20:21] op_sel_hi:[1,0,1]
	v_pk_fma_f32 v[0:1], v[44:45], v[8:9], v[0:1] op_sel:[1,1,0] op_sel_hi:[0,1,1] neg_lo:[1,0,0]
	v_pk_fma_f32 v[22:23], v[36:37], v[8:9], v[96:97] op_sel_hi:[1,0,1]
	v_xor_b32_e32 v30, 0x80000000, v89
	v_mov_b32_e32 v31, v88
	v_mov_b32_e32 v97, v46
	v_pk_fma_f32 v[44:45], v[46:47], v[10:11], v[0:1] op_sel_hi:[1,0,1]
	v_mov_b32_e32 v46, v11
	v_pk_fma_f32 v[70:71], v[70:71], v[46:47], v[28:29] op_sel_hi:[1,0,1]
	v_pk_fma_f32 v[94:95], v[30:31], v[46:47], v[94:95] op_sel_hi:[1,0,1]
	global_load_dwordx4 v[28:31], v[82:83], off offset:16
	v_pk_fma_f32 v[22:23], v[36:37], v[8:9], v[22:23] op_sel:[1,1,0] op_sel_hi:[0,1,1] neg_lo:[1,0,0]
	v_pk_fma_f32 v[22:23], v[38:39], v[10:11], v[22:23] op_sel_hi:[1,0,1]
	v_pk_fma_f32 v[98:99], v[98:99], v[46:47], v[22:23] op_sel_hi:[1,0,1]
	v_xor_b32_e32 v96, 0x80000000, v47
	v_pk_fma_f32 v[44:45], v[96:97], v[46:47], v[44:45] op_sel_hi:[1,0,1]
	v_xor_b32_e32 v46, 0x80000000, v19
	v_mov_b32_e32 v47, v18
	global_load_dwordx4 v[36:39], v[84:85], off offset:80
	global_load_dwordx4 v[86:89], v[84:85], off offset:64
	;; [unrolled: 1-line block ×5, first 2 shown]
	v_xor_b32_e32 v96, 0x80000000, v35
	v_mov_b32_e32 v97, v34
	s_waitcnt vmcnt(5)
	v_pk_fma_f32 v[82:83], v[16:17], v[28:29], v[98:99] op_sel_hi:[1,0,1]
	v_pk_fma_f32 v[16:17], v[16:17], v[28:29], v[82:83] op_sel:[1,1,0] op_sel_hi:[0,1,1] neg_lo:[1,0,0]
	v_pk_fma_f32 v[16:17], v[18:19], v[30:31], v[16:17] op_sel_hi:[1,0,1]
	v_pk_fma_f32 v[18:19], v[12:13], v[28:29], v[70:71] op_sel_hi:[1,0,1]
	v_pk_fma_f32 v[12:13], v[12:13], v[28:29], v[18:19] op_sel:[1,1,0] op_sel_hi:[0,1,1] neg_lo:[1,0,0]
	v_pk_fma_f32 v[18:19], v[32:33], v[28:29], v[94:95] op_sel_hi:[1,0,1]
	v_pk_fma_f32 v[18:19], v[32:33], v[28:29], v[18:19] op_sel:[1,1,0] op_sel_hi:[0,1,1] neg_lo:[1,0,0]
	v_pk_fma_f32 v[32:33], v[34:35], v[30:31], v[18:19] op_sel_hi:[1,0,1]
	global_load_dword v18, v[64:65], off offset:128
	v_pk_fma_f32 v[70:71], v[14:15], v[30:31], v[12:13] op_sel_hi:[1,0,1]
	v_xor_b32_e32 v82, 0x80000000, v15
	v_mov_b32_e32 v83, v14
	global_load_dwordx4 v[12:15], v[84:85], off offset:2048
	v_xor_b32_e32 v34, 0x80000000, v7
	v_mov_b32_e32 v35, v6
	s_waitcnt vmcnt(1)
	v_subrev_u32_e32 v18, s16, v18
	v_lshlrev_b32_e32 v18, 2, v18
	v_ashrrev_i32_e32 v19, 31, v18
	v_lshlrev_b64 v[18:19], 3, v[18:19]
	v_add_co_u32_e64 v94, s[2:3], s6, v18
	v_addc_co_u32_e64 v95, s[2:3], v91, v19, s[2:3]
	v_pk_fma_f32 v[18:19], v[4:5], v[28:29], v[44:45] op_sel_hi:[1,0,1]
	v_pk_fma_f32 v[4:5], v[4:5], v[28:29], v[18:19] op_sel:[1,1,0] op_sel_hi:[0,1,1] neg_lo:[1,0,0]
	v_pk_fma_f32 v[28:29], v[6:7], v[30:31], v[4:5] op_sel_hi:[1,0,1]
	v_mov_b32_e32 v30, v31
	global_load_dwordx4 v[4:7], v[84:85], off offset:2160
	v_pk_fma_f32 v[98:99], v[46:47], v[30:31], v[16:17] op_sel_hi:[1,0,1]
	global_load_dwordx4 v[16:19], v[84:85], off offset:2144
	global_load_dword v61, v[64:65], off offset:192
	global_load_dwordx4 v[44:47], v[94:95], off
	v_pk_fma_f32 v[64:65], v[82:83], v[30:31], v[70:71] op_sel_hi:[1,0,1]
	v_pk_fma_f32 v[82:83], v[96:97], v[30:31], v[32:33] op_sel_hi:[1,0,1]
	;; [unrolled: 1-line block ×3, first 2 shown]
	v_xor_b32_e32 v70, 0x80000000, v69
	v_mov_b32_e32 v71, v68
	s_waitcnt vmcnt(0)
	v_pk_fma_f32 v[32:33], v[52:53], v[44:45], v[64:65] op_sel_hi:[1,0,1]
	v_pk_fma_f32 v[32:33], v[52:53], v[44:45], v[32:33] op_sel:[1,1,0] op_sel_hi:[0,1,1] neg_lo:[1,0,0]
	v_pk_fma_f32 v[52:53], v[86:87], v[44:45], v[82:83] op_sel_hi:[1,0,1]
	v_pk_fma_f32 v[52:53], v[86:87], v[44:45], v[52:53] op_sel:[1,1,0] op_sel_hi:[0,1,1] neg_lo:[1,0,0]
	v_pk_fma_f32 v[82:83], v[88:89], v[46:47], v[52:53] op_sel_hi:[1,0,1]
	v_subrev_u32_e32 v52, s16, v61
	v_lshlrev_b32_e32 v52, 2, v52
	v_pk_fma_f32 v[28:29], v[66:67], v[44:45], v[98:99] op_sel_hi:[1,0,1]
	v_ashrrev_i32_e32 v53, 31, v52
	v_pk_fma_f32 v[28:29], v[66:67], v[44:45], v[28:29] op_sel:[1,1,0] op_sel_hi:[0,1,1] neg_lo:[1,0,0]
	v_lshlrev_b64 v[52:53], 3, v[52:53]
	v_pk_fma_f32 v[66:67], v[68:69], v[46:47], v[28:29] op_sel_hi:[1,0,1]
	global_load_dwordx4 v[28:31], v[84:85], off offset:2128
	v_pk_fma_f32 v[64:65], v[54:55], v[46:47], v[32:33] op_sel_hi:[1,0,1]
	global_load_dwordx4 v[32:35], v[84:85], off offset:2112
	v_mov_b32_e32 v85, v88
	v_add_co_u32_e64 v88, s[2:3], s6, v52
	v_xor_b32_e32 v68, 0x80000000, v55
	v_mov_b32_e32 v69, v54
	v_xor_b32_e32 v84, 0x80000000, v89
	v_addc_co_u32_e64 v89, s[2:3], v91, v53, s[2:3]
	global_load_dwordx4 v[52:55], v[94:95], off offset:16
	v_pk_fma_f32 v[94:95], v[56:57], v[44:45], v[96:97] op_sel_hi:[1,0,1]
	v_pk_fma_f32 v[44:45], v[56:57], v[44:45], v[94:95] op_sel:[1,1,0] op_sel_hi:[0,1,1] neg_lo:[1,0,0]
	v_xor_b32_e32 v86, 0x80000000, v59
	v_mov_b32_e32 v87, v58
	v_pk_fma_f32 v[94:95], v[58:59], v[46:47], v[44:45] op_sel_hi:[1,0,1]
	global_load_dwordx4 v[56:59], v[88:89], off
	v_mov_b32_e32 v96, v47
	global_load_dwordx4 v[44:47], v[88:89], off offset:16
	v_pk_fma_f32 v[66:67], v[70:71], v[96:97], v[66:67] op_sel_hi:[1,0,1]
	v_pk_fma_f32 v[64:65], v[68:69], v[96:97], v[64:65] op_sel_hi:[1,0,1]
	;; [unrolled: 1-line block ×4, first 2 shown]
	v_xor_b32_e32 v70, 0x80000000, v51
	v_mov_b32_e32 v71, v50
	v_xor_b32_e32 v68, 0x80000000, v43
	v_mov_b32_e32 v69, v42
	;; [unrolled: 2-line block ×5, first 2 shown]
	s_waitcnt vmcnt(2)
	v_pk_fma_f32 v[66:67], v[48:49], v[52:53], v[66:67] op_sel_hi:[1,0,1]
	v_pk_fma_f32 v[64:65], v[40:41], v[52:53], v[64:65] op_sel_hi:[1,0,1]
	;; [unrolled: 1-line block ×4, first 2 shown]
	v_pk_fma_f32 v[48:49], v[48:49], v[52:53], v[66:67] op_sel:[1,1,0] op_sel_hi:[0,1,1] neg_lo:[1,0,0]
	v_pk_fma_f32 v[40:41], v[40:41], v[52:53], v[64:65] op_sel:[1,1,0] op_sel_hi:[0,1,1] neg_lo:[1,0,0]
	;; [unrolled: 1-line block ×4, first 2 shown]
	v_pk_fma_f32 v[48:49], v[50:51], v[54:55], v[48:49] op_sel_hi:[1,0,1]
	v_pk_fma_f32 v[40:41], v[42:43], v[54:55], v[40:41] op_sel_hi:[1,0,1]
	;; [unrolled: 1-line block ×4, first 2 shown]
	v_mov_b32_e32 v52, v55
	v_pk_fma_f32 v[48:49], v[70:71], v[52:53], v[48:49] op_sel_hi:[1,0,1]
	v_pk_fma_f32 v[40:41], v[68:69], v[52:53], v[40:41] op_sel_hi:[1,0,1]
	;; [unrolled: 1-line block ×4, first 2 shown]
	s_waitcnt vmcnt(1)
	v_pk_fma_f32 v[48:49], v[12:13], v[56:57], v[48:49] op_sel_hi:[1,0,1]
	v_pk_fma_f32 v[40:41], v[20:21], v[56:57], v[40:41] op_sel_hi:[1,0,1]
	;; [unrolled: 1-line block ×4, first 2 shown]
	v_pk_fma_f32 v[12:13], v[12:13], v[56:57], v[48:49] op_sel:[1,1,0] op_sel_hi:[0,1,1] neg_lo:[1,0,0]
	v_pk_fma_f32 v[20:21], v[20:21], v[56:57], v[40:41] op_sel:[1,1,0] op_sel_hi:[0,1,1] neg_lo:[1,0,0]
	;; [unrolled: 1-line block ×4, first 2 shown]
	v_xor_b32_e32 v66, 0x80000000, v23
	v_mov_b32_e32 v67, v22
	v_xor_b32_e32 v64, 0x80000000, v35
	v_mov_b32_e32 v65, v34
	;; [unrolled: 2-line block ×3, first 2 shown]
	v_mov_b32_e32 v54, v59
	v_pk_fma_f32 v[12:13], v[14:15], v[58:59], v[12:13] op_sel_hi:[1,0,1]
	v_pk_fma_f32 v[14:15], v[22:23], v[58:59], v[20:21] op_sel_hi:[1,0,1]
	;; [unrolled: 1-line block ×8, first 2 shown]
	s_waitcnt vmcnt(0)
	v_pk_fma_f32 v[12:13], v[8:9], v[44:45], v[12:13] op_sel_hi:[1,0,1]
	v_pk_fma_f32 v[14:15], v[0:1], v[44:45], v[14:15] op_sel_hi:[1,0,1]
	;; [unrolled: 1-line block ×4, first 2 shown]
	v_pk_fma_f32 v[8:9], v[8:9], v[44:45], v[12:13] op_sel:[1,1,0] op_sel_hi:[0,1,1] neg_lo:[1,0,0]
	v_pk_fma_f32 v[0:1], v[0:1], v[44:45], v[14:15] op_sel:[1,1,0] op_sel_hi:[0,1,1] neg_lo:[1,0,0]
	;; [unrolled: 1-line block ×4, first 2 shown]
	v_xor_b32_e32 v50, 0x80000000, v11
	v_mov_b32_e32 v51, v10
	v_xor_b32_e32 v42, 0x80000000, v3
	v_mov_b32_e32 v43, v2
	;; [unrolled: 2-line block ×4, first 2 shown]
	v_mov_b32_e32 v96, v47
	v_pk_fma_f32 v[8:9], v[10:11], v[46:47], v[8:9] op_sel_hi:[1,0,1]
	v_pk_fma_f32 v[0:1], v[2:3], v[46:47], v[0:1] op_sel_hi:[1,0,1]
	;; [unrolled: 1-line block ×8, first 2 shown]
	s_andn2_b64 exec, exec, s[14:15]
	s_cbranch_execnz .LBB12_27
; %bb.28:
	s_or_b64 exec, exec, s[14:15]
.LBB12_29:
	s_or_b64 exec, exec, s[10:11]
.LBB12_30:
	s_or_b64 exec, exec, s[8:9]
	s_cbranch_execz .LBB12_32
	s_branch .LBB12_43
.LBB12_31:
                                        ; implicit-def: $vgpr89
                                        ; implicit-def: $vgpr83
                                        ; implicit-def: $vgpr85
                                        ; implicit-def: $vgpr87
.LBB12_32:
	s_mov_b32 s8, 0
	v_mov_b32_e32 v89, 0
	v_mov_b32_e32 v88, 0
	;; [unrolled: 1-line block ×8, first 2 shown]
	s_and_saveexec_b64 s[2:3], s[0:1]
	s_cbranch_execz .LBB12_42
; %bb.33:
	v_add_u32_e32 v0, v90, v77
	v_subrev_u32_e32 v0, s16, v0
	v_add_u32_e32 v0, 16, v0
	v_max_i32_e32 v0, v0, v92
	v_not_b32_e32 v1, v90
	v_add3_u32 v0, v0, s16, v1
	v_sub_u32_e32 v0, v0, v77
	v_lshrrev_b32_e32 v1, 4, v0
	v_add_u32_e32 v1, 1, v1
	v_and_b32_e32 v1, 3, v1
	s_mov_b32 s9, s8
	v_cmp_ne_u32_e32 vcc, 0, v1
	v_pk_mov_b32 v[88:89], s[8:9], s[8:9] op_sel:[0,1]
	v_pk_mov_b32 v[82:83], s[8:9], s[8:9] op_sel:[0,1]
	;; [unrolled: 1-line block ×4, first 2 shown]
	s_and_saveexec_b64 s[0:1], vcc
	s_cbranch_execz .LBB12_37
; %bb.34:
	v_mov_b32_e32 v86, 0
	v_lshlrev_b32_e32 v1, 7, v1
	s_mov_b64 s[8:9], 0
	v_mov_b32_e32 v2, s13
	v_mov_b32_e32 v3, s7
	s_movk_i32 s10, 0x800
	v_mov_b32_e32 v87, v86
	v_mov_b32_e32 v84, v86
	;; [unrolled: 1-line block ×7, first 2 shown]
.LBB12_35:                              ; =>This Inner Loop Header: Depth=1
	v_ashrrev_i32_e32 v79, 31, v78
	v_lshlrev_b64 v[4:5], 2, v[78:79]
	v_add_co_u32_e32 v32, vcc, s12, v4
	v_addc_co_u32_e32 v33, vcc, v2, v5, vcc
	global_load_dword v34, v[32:33], off
	global_load_dwordx4 v[4:7], v[80:81], off offset:48
	global_load_dwordx4 v[8:11], v[80:81], off offset:32
	;; [unrolled: 1-line block ×3, first 2 shown]
	global_load_dwordx4 v[16:19], v[80:81], off
	global_load_dwordx4 v[20:23], v[80:81], off offset:96
	global_load_dwordx4 v[24:27], v[80:81], off offset:80
	;; [unrolled: 1-line block ×3, first 2 shown]
	v_add_u32_e32 v1, 0xffffff80, v1
	v_add_u32_e32 v78, 16, v78
	s_waitcnt vmcnt(7)
	v_subrev_u32_e32 v32, s16, v34
	v_lshlrev_b32_e32 v32, 2, v32
	v_ashrrev_i32_e32 v33, 31, v32
	v_lshlrev_b64 v[32:33], 3, v[32:33]
	v_add_co_u32_e32 v44, vcc, s6, v32
	v_addc_co_u32_e32 v45, vcc, v3, v33, vcc
	global_load_dwordx4 v[32:35], v[44:45], off
	global_load_dwordx4 v[36:39], v[44:45], off offset:16
	global_load_dwordx4 v[40:43], v[80:81], off offset:112
	s_waitcnt vmcnt(6)
	v_xor_b32_e32 v44, 0x80000000, v19
	v_mov_b32_e32 v45, v18
	v_xor_b32_e32 v52, 0x80000000, v15
	v_mov_b32_e32 v53, v14
	;; [unrolled: 2-line block ×4, first 2 shown]
	v_add_co_u32_e32 v80, vcc, s10, v80
	s_waitcnt vmcnt(3)
	v_xor_b32_e32 v48, 0x80000000, v31
	v_mov_b32_e32 v49, v30
	v_xor_b32_e32 v56, 0x80000000, v27
	v_mov_b32_e32 v57, v26
	v_addc_co_u32_e32 v81, vcc, 0, v81, vcc
	v_cmp_eq_u32_e32 vcc, 0, v1
	v_xor_b32_e32 v50, 0x80000000, v23
	v_mov_b32_e32 v51, v22
	s_or_b64 s[8:9], vcc, s[8:9]
	s_waitcnt vmcnt(2)
	v_pk_fma_f32 v[60:61], v[16:17], v[32:33], v[88:89] op_sel_hi:[1,0,1]
	v_pk_fma_f32 v[18:19], v[18:19], v[32:33], v[86:87] op_sel_hi:[1,0,1]
	v_pk_fma_f32 v[62:63], v[12:13], v[32:33], v[84:85] op_sel_hi:[1,0,1]
	v_pk_fma_f32 v[14:15], v[14:15], v[32:33], v[82:83] op_sel_hi:[1,0,1]
	v_pk_fma_f32 v[16:17], v[16:17], v[32:33], v[60:61] op_sel:[1,1,0] op_sel_hi:[0,1,1] neg_lo:[1,0,0]
	v_pk_fma_f32 v[12:13], v[12:13], v[32:33], v[62:63] op_sel:[1,1,0] op_sel_hi:[0,1,1] neg_lo:[1,0,0]
	v_pk_fma_f32 v[18:19], v[44:45], v[32:33], v[18:19] op_sel:[0,1,0]
	v_pk_fma_f32 v[14:15], v[52:53], v[32:33], v[14:15] op_sel:[0,1,0]
	v_mov_b32_e32 v64, v35
	v_pk_fma_f32 v[16:17], v[8:9], v[34:35], v[16:17] op_sel_hi:[1,0,1]
	v_pk_fma_f32 v[10:11], v[10:11], v[34:35], v[18:19] op_sel_hi:[1,0,1]
	;; [unrolled: 1-line block ×4, first 2 shown]
	v_pk_fma_f32 v[8:9], v[8:9], v[64:65], v[16:17] op_sel:[1,0,0] op_sel_hi:[0,0,1] neg_lo:[1,0,0]
	v_pk_fma_f32 v[10:11], v[46:47], v[64:65], v[10:11] op_sel_hi:[1,0,1]
	v_pk_fma_f32 v[4:5], v[4:5], v[64:65], v[12:13] op_sel:[1,0,0] op_sel_hi:[0,0,1] neg_lo:[1,0,0]
	v_pk_fma_f32 v[6:7], v[54:55], v[64:65], v[6:7] op_sel_hi:[1,0,1]
	s_waitcnt vmcnt(1)
	v_pk_fma_f32 v[8:9], v[28:29], v[36:37], v[8:9] op_sel_hi:[1,0,1]
	v_pk_fma_f32 v[10:11], v[30:31], v[36:37], v[10:11] op_sel_hi:[1,0,1]
	;; [unrolled: 1-line block ×4, first 2 shown]
	v_pk_fma_f32 v[8:9], v[28:29], v[36:37], v[8:9] op_sel:[1,1,0] op_sel_hi:[0,1,1] neg_lo:[1,0,0]
	v_pk_fma_f32 v[10:11], v[48:49], v[36:37], v[10:11] op_sel:[0,1,0]
	v_pk_fma_f32 v[4:5], v[24:25], v[36:37], v[4:5] op_sel:[1,1,0] op_sel_hi:[0,1,1] neg_lo:[1,0,0]
	v_pk_fma_f32 v[6:7], v[56:57], v[36:37], v[6:7] op_sel:[0,1,0]
	s_waitcnt vmcnt(0)
	v_xor_b32_e32 v58, 0x80000000, v43
	v_mov_b32_e32 v59, v42
	v_mov_b32_e32 v66, v39
	v_pk_fma_f32 v[8:9], v[20:21], v[38:39], v[8:9] op_sel_hi:[1,0,1]
	v_pk_fma_f32 v[10:11], v[22:23], v[38:39], v[10:11] op_sel_hi:[1,0,1]
	;; [unrolled: 1-line block ×4, first 2 shown]
	v_pk_fma_f32 v[88:89], v[20:21], v[66:67], v[8:9] op_sel:[1,0,0] op_sel_hi:[0,0,1] neg_lo:[1,0,0]
	v_pk_fma_f32 v[86:87], v[50:51], v[66:67], v[10:11] op_sel_hi:[1,0,1]
	v_pk_fma_f32 v[84:85], v[40:41], v[66:67], v[4:5] op_sel:[1,0,0] op_sel_hi:[0,0,1] neg_lo:[1,0,0]
	v_pk_fma_f32 v[82:83], v[58:59], v[66:67], v[6:7] op_sel_hi:[1,0,1]
	s_andn2_b64 exec, exec, s[8:9]
	s_cbranch_execnz .LBB12_35
; %bb.36:
	s_or_b64 exec, exec, s[8:9]
.LBB12_37:
	s_or_b64 exec, exec, s[0:1]
	v_cmp_lt_u32_e32 vcc, 47, v0
	s_and_saveexec_b64 s[8:9], vcc
	s_cbranch_execz .LBB12_41
; %bb.38:
	s_mov_b64 s[10:11], 0
	v_mov_b32_e32 v93, s13
	v_mov_b32_e32 v94, s7
	s_movk_i32 s7, 0x1000
.LBB12_39:                              ; =>This Inner Loop Header: Depth=1
	v_ashrrev_i32_e32 v79, 31, v78
	v_lshlrev_b64 v[64:65], 2, v[78:79]
	v_add_co_u32_e32 v64, vcc, s12, v64
	v_addc_co_u32_e32 v65, vcc, v93, v65, vcc
	global_load_dwordx4 v[4:7], v[80:81], off offset:48
	global_load_dwordx4 v[12:15], v[80:81], off offset:32
	;; [unrolled: 1-line block ×3, first 2 shown]
	global_load_dwordx4 v[56:59], v[80:81], off
	global_load_dwordx4 v[0:3], v[80:81], off offset:112
	global_load_dwordx4 v[8:11], v[80:81], off offset:96
	;; [unrolled: 1-line block ×12, first 2 shown]
	global_load_dword v66, v[64:65], off
	global_load_dword v79, v[64:65], off offset:64
	global_load_dword v95, v[64:65], off offset:128
	;; [unrolled: 1-line block ×3, first 2 shown]
	v_add_u32_e32 v78, 64, v78
	s_waitcnt vmcnt(16)
	v_xor_b32_e32 v90, 0x80000000, v59
	v_mov_b32_e32 v91, v58
	s_waitcnt vmcnt(10)
	v_xor_b32_e32 v98, 0x80000000, v35
	v_mov_b32_e32 v99, v34
	s_waitcnt vmcnt(3)
	v_subrev_u32_e32 v64, s16, v66
	v_lshlrev_b32_e32 v64, 2, v64
	v_ashrrev_i32_e32 v65, 31, v64
	v_lshlrev_b64 v[64:65], 3, v[64:65]
	v_add_co_u32_e32 v96, vcc, s6, v64
	v_addc_co_u32_e32 v97, vcc, v94, v65, vcc
	global_load_dwordx4 v[68:71], v[96:97], off
	global_load_dwordx4 v[64:67], v[96:97], off offset:16
	s_waitcnt vmcnt(1)
	v_pk_fma_f32 v[88:89], v[56:57], v[68:69], v[88:89] op_sel_hi:[1,0,1]
	v_pk_fma_f32 v[86:87], v[58:59], v[68:69], v[86:87] op_sel_hi:[1,0,1]
	v_pk_fma_f32 v[58:59], v[56:57], v[68:69], v[88:89] op_sel:[1,1,0] op_sel_hi:[0,1,1] neg_lo:[1,0,0]
	v_xor_b32_e32 v88, 0x80000000, v23
	v_mov_b32_e32 v89, v22
	v_pk_fma_f32 v[84:85], v[20:21], v[68:69], v[84:85] op_sel_hi:[1,0,1]
	v_pk_fma_f32 v[82:83], v[22:23], v[68:69], v[82:83] op_sel_hi:[1,0,1]
	v_pk_fma_f32 v[96:97], v[20:21], v[68:69], v[84:85] op_sel:[1,1,0] op_sel_hi:[0,1,1] neg_lo:[1,0,0]
	v_pk_fma_f32 v[86:87], v[90:91], v[68:69], v[86:87] op_sel:[0,1,0]
	v_pk_fma_f32 v[68:69], v[88:89], v[68:69], v[82:83] op_sel:[0,1,0]
	v_pk_fma_f32 v[58:59], v[12:13], v[70:71], v[58:59] op_sel_hi:[1,0,1]
	v_pk_fma_f32 v[86:87], v[14:15], v[70:71], v[86:87] op_sel_hi:[1,0,1]
	;; [unrolled: 1-line block ×4, first 2 shown]
	v_mov_b32_e32 v70, v71
	v_xor_b32_e32 v90, 0x80000000, v15
	v_mov_b32_e32 v91, v14
	v_xor_b32_e32 v96, 0x80000000, v7
	v_mov_b32_e32 v97, v6
	v_pk_fma_f32 v[58:59], v[12:13], v[70:71], v[58:59] op_sel:[1,0,0] op_sel_hi:[0,0,1] neg_lo:[1,0,0]
	v_pk_fma_f32 v[88:89], v[4:5], v[70:71], v[88:89] op_sel:[1,0,0] op_sel_hi:[0,0,1] neg_lo:[1,0,0]
	v_pk_fma_f32 v[86:87], v[90:91], v[70:71], v[86:87] op_sel_hi:[1,0,1]
	v_pk_fma_f32 v[68:69], v[96:97], v[70:71], v[68:69] op_sel_hi:[1,0,1]
	v_xor_b32_e32 v70, 0x80000000, v27
	v_mov_b32_e32 v71, v26
	s_waitcnt vmcnt(0)
	v_pk_fma_f32 v[58:59], v[24:25], v[64:65], v[58:59] op_sel_hi:[1,0,1]
	v_pk_fma_f32 v[86:87], v[26:27], v[64:65], v[86:87] op_sel_hi:[1,0,1]
	v_xor_b32_e32 v90, 0x80000000, v19
	v_mov_b32_e32 v91, v18
	v_pk_fma_f32 v[88:89], v[16:17], v[64:65], v[88:89] op_sel_hi:[1,0,1]
	v_pk_fma_f32 v[68:69], v[18:19], v[64:65], v[68:69] op_sel_hi:[1,0,1]
	v_pk_fma_f32 v[58:59], v[24:25], v[64:65], v[58:59] op_sel:[1,1,0] op_sel_hi:[0,1,1] neg_lo:[1,0,0]
	v_pk_fma_f32 v[88:89], v[16:17], v[64:65], v[88:89] op_sel:[1,1,0] op_sel_hi:[0,1,1] neg_lo:[1,0,0]
	v_pk_fma_f32 v[86:87], v[70:71], v[64:65], v[86:87] op_sel:[0,1,0]
	v_pk_fma_f32 v[64:65], v[90:91], v[64:65], v[68:69] op_sel:[0,1,0]
	v_pk_fma_f32 v[58:59], v[8:9], v[66:67], v[58:59] op_sel_hi:[1,0,1]
	v_pk_fma_f32 v[86:87], v[10:11], v[66:67], v[86:87] op_sel_hi:[1,0,1]
	;; [unrolled: 1-line block ×4, first 2 shown]
	v_mov_b32_e32 v66, v67
	v_pk_fma_f32 v[58:59], v[8:9], v[66:67], v[58:59] op_sel:[1,0,0] op_sel_hi:[0,0,1] neg_lo:[1,0,0]
	v_mov_b32_e32 v9, v2
	v_subrev_u32_e32 v2, s16, v79
	v_pk_fma_f32 v[88:89], v[0:1], v[66:67], v[88:89] op_sel:[1,0,0] op_sel_hi:[0,0,1] neg_lo:[1,0,0]
	v_lshlrev_b32_e32 v0, 2, v2
	v_ashrrev_i32_e32 v1, 31, v0
	v_lshlrev_b64 v[0:1], 3, v[0:1]
	v_mov_b32_e32 v91, v10
	v_add_co_u32_e64 v10, s[0:1], s6, v0
	v_xor_b32_e32 v90, 0x80000000, v11
	v_addc_co_u32_e64 v11, s[0:1], v94, v1, s[0:1]
	v_xor_b32_e32 v8, 0x80000000, v3
	global_load_dwordx4 v[0:3], v[10:11], off
	v_pk_fma_f32 v[64:65], v[8:9], v[66:67], v[64:65] op_sel_hi:[1,0,1]
	global_load_dwordx4 v[8:11], v[10:11], off offset:16
	v_pk_fma_f32 v[86:87], v[90:91], v[66:67], v[86:87] op_sel_hi:[1,0,1]
	v_xor_b32_e32 v96, 0x80000000, v43
	v_mov_b32_e32 v97, v42
	v_add_co_u32_e32 v56, vcc, s7, v80
	v_addc_co_u32_e32 v57, vcc, 0, v81, vcc
	global_load_dwordx4 v[20:23], v[56:57], off offset:48
	global_load_dwordx4 v[82:85], v[56:57], off offset:32
	global_load_dwordx4 v[4:7], v[56:57], off
	global_load_dwordx4 v[12:15], v[56:57], off offset:16
	global_load_dwordx4 v[24:27], v[56:57], off offset:112
	;; [unrolled: 1-line block ×4, first 2 shown]
	v_add_co_u32_e32 v80, vcc, 0x2000, v80
	v_addc_co_u32_e32 v81, vcc, 0, v81, vcc
	v_cmp_ge_i32_e32 vcc, v78, v92
	s_or_b64 s[10:11], vcc, s[10:11]
	v_subrev_u32_e32 v79, s16, v104
	s_waitcnt vmcnt(8)
	v_pk_fma_f32 v[58:59], v[40:41], v[0:1], v[58:59] op_sel_hi:[1,0,1]
	v_pk_fma_f32 v[88:89], v[36:37], v[0:1], v[88:89] op_sel_hi:[1,0,1]
	v_pk_fma_f32 v[66:67], v[42:43], v[0:1], v[86:87] op_sel_hi:[1,0,1]
	v_pk_fma_f32 v[58:59], v[40:41], v[0:1], v[58:59] op_sel:[1,1,0] op_sel_hi:[0,1,1] neg_lo:[1,0,0]
	global_load_dwordx4 v[40:43], v[56:57], off offset:64
	v_xor_b32_e32 v86, 0x80000000, v39
	v_mov_b32_e32 v87, v38
	v_pk_fma_f32 v[64:65], v[38:39], v[0:1], v[64:65] op_sel_hi:[1,0,1]
	v_pk_fma_f32 v[88:89], v[36:37], v[0:1], v[88:89] op_sel:[1,1,0] op_sel_hi:[0,1,1] neg_lo:[1,0,0]
	v_pk_fma_f32 v[90:91], v[96:97], v[0:1], v[66:67] op_sel:[0,1,0]
	v_pk_fma_f32 v[0:1], v[86:87], v[0:1], v[64:65] op_sel:[0,1,0]
	v_pk_fma_f32 v[58:59], v[32:33], v[2:3], v[58:59] op_sel_hi:[1,0,1]
	v_pk_fma_f32 v[88:89], v[28:29], v[2:3], v[88:89] op_sel_hi:[1,0,1]
	v_mov_b32_e32 v96, v3
	v_pk_fma_f32 v[86:87], v[34:35], v[2:3], v[90:91] op_sel_hi:[1,0,1]
	v_pk_fma_f32 v[90:91], v[30:31], v[2:3], v[0:1] op_sel_hi:[1,0,1]
	v_pk_fma_f32 v[32:33], v[32:33], v[96:97], v[58:59] op_sel:[1,0,0] op_sel_hi:[0,0,1] neg_lo:[1,0,0]
	v_xor_b32_e32 v34, 0x80000000, v31
	v_mov_b32_e32 v35, v30
	v_pk_fma_f32 v[58:59], v[28:29], v[96:97], v[88:89] op_sel:[1,0,0] op_sel_hi:[0,0,1] neg_lo:[1,0,0]
	v_pk_fma_f32 v[86:87], v[98:99], v[96:97], v[86:87] op_sel_hi:[1,0,1]
	v_pk_fma_f32 v[88:89], v[34:35], v[96:97], v[90:91] op_sel_hi:[1,0,1]
	s_waitcnt vmcnt(8)
	v_pk_fma_f32 v[32:33], v[60:61], v[8:9], v[32:33] op_sel_hi:[1,0,1]
	v_pk_fma_f32 v[58:59], v[52:53], v[8:9], v[58:59] op_sel_hi:[1,0,1]
	v_xor_b32_e32 v90, 0x80000000, v63
	v_mov_b32_e32 v91, v62
	v_pk_fma_f32 v[62:63], v[62:63], v[8:9], v[86:87] op_sel_hi:[1,0,1]
	v_pk_fma_f32 v[86:87], v[60:61], v[8:9], v[32:33] op_sel:[1,1,0] op_sel_hi:[0,1,1] neg_lo:[1,0,0]
	v_xor_b32_e32 v60, 0x80000000, v55
	v_mov_b32_e32 v61, v54
	v_pk_fma_f32 v[88:89], v[54:55], v[8:9], v[88:89] op_sel_hi:[1,0,1]
	v_pk_fma_f32 v[96:97], v[52:53], v[8:9], v[58:59] op_sel:[1,1,0] op_sel_hi:[0,1,1] neg_lo:[1,0,0]
	v_pk_fma_f32 v[62:63], v[90:91], v[8:9], v[62:63] op_sel:[0,1,0]
	v_pk_fma_f32 v[8:9], v[60:61], v[8:9], v[88:89] op_sel:[0,1,0]
	v_pk_fma_f32 v[88:89], v[44:45], v[10:11], v[96:97] op_sel_hi:[1,0,1]
	v_mov_b32_e32 v96, v11
	global_load_dwordx4 v[36:39], v[56:57], off offset:2096
	global_load_dwordx4 v[64:67], v[56:57], off offset:2080
	;; [unrolled: 1-line block ×7, first 2 shown]
	v_pk_fma_f32 v[86:87], v[48:49], v[10:11], v[86:87] op_sel_hi:[1,0,1]
	v_pk_fma_f32 v[62:63], v[50:51], v[10:11], v[62:63] op_sel_hi:[1,0,1]
	;; [unrolled: 1-line block ×3, first 2 shown]
	global_load_dwordx4 v[8:11], v[56:57], off offset:2160
	v_pk_fma_f32 v[56:57], v[44:45], v[96:97], v[88:89] op_sel:[1,0,0] op_sel_hi:[0,0,1] neg_lo:[1,0,0]
	v_subrev_u32_e32 v44, s16, v95
	v_lshlrev_b32_e32 v44, 2, v44
	v_ashrrev_i32_e32 v45, 31, v44
	v_lshlrev_b64 v[44:45], 3, v[44:45]
	v_add_co_u32_e32 v100, vcc, s6, v44
	v_pk_fma_f32 v[86:87], v[48:49], v[96:97], v[86:87] op_sel:[1,0,0] op_sel_hi:[0,0,1] neg_lo:[1,0,0]
	v_xor_b32_e32 v48, 0x80000000, v47
	v_mov_b32_e32 v49, v46
	v_addc_co_u32_e32 v101, vcc, v94, v45, vcc
	v_xor_b32_e32 v98, 0x80000000, v51
	v_mov_b32_e32 v99, v50
	v_pk_fma_f32 v[90:91], v[48:49], v[96:97], v[90:91] op_sel_hi:[1,0,1]
	global_load_dwordx4 v[44:47], v[100:101], off
	global_load_dwordx4 v[48:51], v[100:101], off offset:16
	v_pk_fma_f32 v[62:63], v[98:99], v[96:97], v[62:63] op_sel_hi:[1,0,1]
	s_waitcnt vmcnt(15)
	v_xor_b32_e32 v88, 0x80000000, v7
	v_mov_b32_e32 v89, v6
	s_waitcnt vmcnt(14)
	v_xor_b32_e32 v102, 0x80000000, v15
	v_mov_b32_e32 v103, v14
	v_xor_b32_e32 v98, 0x80000000, v85
	v_mov_b32_e32 v99, v84
	s_waitcnt vmcnt(1)
	v_pk_fma_f32 v[86:87], v[4:5], v[44:45], v[86:87] op_sel_hi:[1,0,1]
	v_pk_fma_f32 v[86:87], v[4:5], v[44:45], v[86:87] op_sel:[1,1,0] op_sel_hi:[0,1,1] neg_lo:[1,0,0]
	v_lshlrev_b32_e32 v4, 2, v79
	v_ashrrev_i32_e32 v5, 31, v4
	v_lshlrev_b64 v[4:5], 3, v[4:5]
	v_add_co_u32_e32 v96, vcc, s6, v4
	v_addc_co_u32_e32 v97, vcc, v94, v5, vcc
	v_pk_fma_f32 v[4:5], v[12:13], v[44:45], v[56:57] op_sel_hi:[1,0,1]
	v_pk_fma_f32 v[62:63], v[6:7], v[44:45], v[62:63] op_sel_hi:[1,0,1]
	;; [unrolled: 1-line block ×3, first 2 shown]
	v_pk_fma_f32 v[90:91], v[12:13], v[44:45], v[4:5] op_sel:[1,1,0] op_sel_hi:[0,1,1] neg_lo:[1,0,0]
	global_load_dwordx4 v[4:7], v[96:97], off
	global_load_dwordx4 v[12:15], v[96:97], off offset:16
	v_pk_fma_f32 v[62:63], v[88:89], v[44:45], v[62:63] op_sel:[0,1,0]
	v_pk_fma_f32 v[44:45], v[102:103], v[44:45], v[56:57] op_sel:[0,1,0]
	v_pk_fma_f32 v[86:87], v[82:83], v[46:47], v[86:87] op_sel_hi:[1,0,1]
	v_pk_fma_f32 v[62:63], v[84:85], v[46:47], v[62:63] op_sel_hi:[1,0,1]
	;; [unrolled: 1-line block ×4, first 2 shown]
	v_mov_b32_e32 v46, v47
	v_xor_b32_e32 v88, 0x80000000, v23
	v_mov_b32_e32 v89, v22
	v_pk_fma_f32 v[22:23], v[82:83], v[46:47], v[86:87] op_sel:[1,0,0] op_sel_hi:[0,0,1] neg_lo:[1,0,0]
	v_pk_fma_f32 v[20:21], v[20:21], v[46:47], v[84:85] op_sel:[1,0,0] op_sel_hi:[0,0,1] neg_lo:[1,0,0]
	v_pk_fma_f32 v[62:63], v[98:99], v[46:47], v[62:63] op_sel_hi:[1,0,1]
	v_pk_fma_f32 v[44:45], v[88:89], v[46:47], v[44:45] op_sel_hi:[1,0,1]
	v_xor_b32_e32 v56, 0x80000000, v43
	v_mov_b32_e32 v57, v42
	v_xor_b32_e32 v82, 0x80000000, v71
	v_mov_b32_e32 v83, v70
	s_waitcnt vmcnt(2)
	v_pk_fma_f32 v[22:23], v[40:41], v[48:49], v[22:23] op_sel_hi:[1,0,1]
	v_pk_fma_f32 v[42:43], v[42:43], v[48:49], v[62:63] op_sel_hi:[1,0,1]
	;; [unrolled: 1-line block ×4, first 2 shown]
	v_pk_fma_f32 v[22:23], v[40:41], v[48:49], v[22:23] op_sel:[1,1,0] op_sel_hi:[0,1,1] neg_lo:[1,0,0]
	v_pk_fma_f32 v[20:21], v[68:69], v[48:49], v[20:21] op_sel:[1,1,0] op_sel_hi:[0,1,1] neg_lo:[1,0,0]
	v_pk_fma_f32 v[42:43], v[56:57], v[48:49], v[42:43] op_sel:[0,1,0]
	v_pk_fma_f32 v[44:45], v[82:83], v[48:49], v[44:45] op_sel:[0,1,0]
	v_xor_b32_e32 v86, 0x80000000, v19
	v_mov_b32_e32 v87, v18
	v_xor_b32_e32 v84, 0x80000000, v27
	v_mov_b32_e32 v85, v26
	v_mov_b32_e32 v56, v51
	v_pk_fma_f32 v[22:23], v[16:17], v[50:51], v[22:23] op_sel_hi:[1,0,1]
	v_pk_fma_f32 v[18:19], v[18:19], v[50:51], v[42:43] op_sel_hi:[1,0,1]
	;; [unrolled: 1-line block ×4, first 2 shown]
	v_pk_fma_f32 v[16:17], v[16:17], v[56:57], v[22:23] op_sel:[1,0,0] op_sel_hi:[0,0,1] neg_lo:[1,0,0]
	v_pk_fma_f32 v[20:21], v[24:25], v[56:57], v[20:21] op_sel:[1,0,0] op_sel_hi:[0,0,1] neg_lo:[1,0,0]
	v_pk_fma_f32 v[18:19], v[86:87], v[56:57], v[18:19] op_sel_hi:[1,0,1]
	v_pk_fma_f32 v[22:23], v[84:85], v[56:57], v[26:27] op_sel_hi:[1,0,1]
	v_xor_b32_e32 v90, 0x80000000, v31
	v_mov_b32_e32 v91, v30
	v_xor_b32_e32 v40, 0x80000000, v3
	v_mov_b32_e32 v41, v2
	;; [unrolled: 2-line block ×8, first 2 shown]
	s_waitcnt vmcnt(1)
	v_pk_fma_f32 v[16:17], v[28:29], v[4:5], v[16:17] op_sel_hi:[1,0,1]
	v_pk_fma_f32 v[18:19], v[30:31], v[4:5], v[18:19] op_sel_hi:[1,0,1]
	v_pk_fma_f32 v[20:21], v[0:1], v[4:5], v[20:21] op_sel_hi:[1,0,1]
	v_pk_fma_f32 v[2:3], v[2:3], v[4:5], v[22:23] op_sel_hi:[1,0,1]
	v_pk_fma_f32 v[16:17], v[28:29], v[4:5], v[16:17] op_sel:[1,1,0] op_sel_hi:[0,1,1] neg_lo:[1,0,0]
	v_pk_fma_f32 v[18:19], v[90:91], v[4:5], v[18:19] op_sel:[0,1,0]
	v_pk_fma_f32 v[0:1], v[0:1], v[4:5], v[20:21] op_sel:[1,1,0] op_sel_hi:[0,1,1] neg_lo:[1,0,0]
	v_pk_fma_f32 v[2:3], v[40:41], v[4:5], v[2:3] op_sel:[0,1,0]
	v_mov_b32_e32 v48, v7
	v_pk_fma_f32 v[4:5], v[64:65], v[6:7], v[16:17] op_sel_hi:[1,0,1]
	v_pk_fma_f32 v[16:17], v[66:67], v[6:7], v[18:19] op_sel_hi:[1,0,1]
	;; [unrolled: 1-line block ×4, first 2 shown]
	v_pk_fma_f32 v[4:5], v[64:65], v[48:49], v[4:5] op_sel:[1,0,0] op_sel_hi:[0,0,1] neg_lo:[1,0,0]
	v_pk_fma_f32 v[6:7], v[96:97], v[48:49], v[16:17] op_sel_hi:[1,0,1]
	v_pk_fma_f32 v[0:1], v[36:37], v[48:49], v[0:1] op_sel:[1,0,0] op_sel_hi:[0,0,1] neg_lo:[1,0,0]
	v_pk_fma_f32 v[2:3], v[62:63], v[48:49], v[2:3] op_sel_hi:[1,0,1]
	s_waitcnt vmcnt(0)
	v_pk_fma_f32 v[4:5], v[52:53], v[12:13], v[4:5] op_sel_hi:[1,0,1]
	v_pk_fma_f32 v[6:7], v[54:55], v[12:13], v[6:7] op_sel_hi:[1,0,1]
	;; [unrolled: 1-line block ×4, first 2 shown]
	v_pk_fma_f32 v[4:5], v[52:53], v[12:13], v[4:5] op_sel:[1,1,0] op_sel_hi:[0,1,1] neg_lo:[1,0,0]
	v_pk_fma_f32 v[6:7], v[46:47], v[12:13], v[6:7] op_sel:[0,1,0]
	v_pk_fma_f32 v[0:1], v[32:33], v[12:13], v[0:1] op_sel:[1,1,0] op_sel_hi:[0,1,1] neg_lo:[1,0,0]
	v_pk_fma_f32 v[2:3], v[68:69], v[12:13], v[2:3] op_sel:[0,1,0]
	v_mov_b32_e32 v42, v15
	v_pk_fma_f32 v[4:5], v[58:59], v[14:15], v[4:5] op_sel_hi:[1,0,1]
	v_pk_fma_f32 v[6:7], v[60:61], v[14:15], v[6:7] op_sel_hi:[1,0,1]
	;; [unrolled: 1-line block ×4, first 2 shown]
	v_pk_fma_f32 v[88:89], v[58:59], v[42:43], v[4:5] op_sel:[1,0,0] op_sel_hi:[0,0,1] neg_lo:[1,0,0]
	v_pk_fma_f32 v[86:87], v[98:99], v[42:43], v[6:7] op_sel_hi:[1,0,1]
	v_pk_fma_f32 v[84:85], v[8:9], v[42:43], v[0:1] op_sel:[1,0,0] op_sel_hi:[0,0,1] neg_lo:[1,0,0]
	v_pk_fma_f32 v[82:83], v[70:71], v[42:43], v[2:3] op_sel_hi:[1,0,1]
	s_andn2_b64 exec, exec, s[10:11]
	s_cbranch_execnz .LBB12_39
; %bb.40:
	s_or_b64 exec, exec, s[10:11]
.LBB12_41:
	s_or_b64 exec, exec, s[8:9]
.LBB12_42:
	s_or_b64 exec, exec, s[2:3]
.LBB12_43:
	v_mov_b32_dpp v6, v87 row_shr:1 row_mask:0xf bank_mask:0xf
	v_add_f32_e32 v6, v87, v6
	v_mov_b32_dpp v0, v88 row_shr:1 row_mask:0xf bank_mask:0xf
	v_mov_b32_dpp v2, v89 row_shr:1 row_mask:0xf bank_mask:0xf
	;; [unrolled: 1-line block ×3, first 2 shown]
	v_add_f32_e32 v6, v6, v7
	v_mov_b32_dpp v4, v86 row_shr:1 row_mask:0xf bank_mask:0xf
	v_add_f32_e32 v0, v88, v0
	v_mov_b32_dpp v7, v6 row_shr:4 row_mask:0xf bank_mask:0xe
	;; [unrolled: 2-line block ×3, first 2 shown]
	v_add_f32_e32 v6, v84, v6
	v_add_f32_e32 v2, v89, v2
	;; [unrolled: 1-line block ×3, first 2 shown]
	v_mov_b32_dpp v8, v6 row_shr:2 row_mask:0xf bank_mask:0xf
	v_add_f32_e32 v6, v6, v8
	v_mov_b32_dpp v1, v0 row_shr:2 row_mask:0xf bank_mask:0xf
	v_mov_b32_dpp v3, v2 row_shr:2 row_mask:0xf bank_mask:0xf
	;; [unrolled: 1-line block ×3, first 2 shown]
	v_add_f32_e32 v10, v6, v8
	v_mov_b32_dpp v6, v85 row_shr:1 row_mask:0xf bank_mask:0xf
	v_add_f32_e32 v6, v85, v6
	v_mov_b32_dpp v5, v4 row_shr:2 row_mask:0xf bank_mask:0xf
	;; [unrolled: 2-line block ×3, first 2 shown]
	v_add_f32_e32 v6, v6, v8
	v_add_f32_e32 v2, v2, v3
	;; [unrolled: 1-line block ×3, first 2 shown]
	v_mov_b32_dpp v8, v6 row_shr:4 row_mask:0xf bank_mask:0xe
	v_add_f32_e32 v13, v6, v8
	v_mov_b32_dpp v6, v82 row_shr:1 row_mask:0xf bank_mask:0xf
	v_add_f32_e32 v6, v82, v6
	v_mov_b32_dpp v1, v0 row_shr:4 row_mask:0xf bank_mask:0xe
	v_mov_b32_dpp v3, v2 row_shr:4 row_mask:0xf bank_mask:0xe
	;; [unrolled: 1-line block ×3, first 2 shown]
	v_add_f32_e32 v6, v6, v8
	v_mov_b32_dpp v5, v4 row_shr:4 row_mask:0xf bank_mask:0xe
	v_add_f32_e32 v0, v0, v1
	v_mov_b32_dpp v8, v6 row_shr:4 row_mask:0xf bank_mask:0xe
	;; [unrolled: 2-line block ×3, first 2 shown]
	v_add_f32_e32 v6, v83, v6
	v_add_f32_e32 v2, v2, v3
	;; [unrolled: 1-line block ×3, first 2 shown]
	v_mov_b32_dpp v8, v6 row_shr:2 row_mask:0xf bank_mask:0xf
	v_add_f32_e32 v6, v6, v8
	v_mov_b32_dpp v1, v0 row_shr:8 row_mask:0xf bank_mask:0xc
	v_mov_b32_dpp v3, v2 row_shr:8 row_mask:0xf bank_mask:0xc
	;; [unrolled: 1-line block ×3, first 2 shown]
	v_add_f32_e32 v18, v6, v8
	v_mov_b32_dpp v5, v4 row_shr:8 row_mask:0xf bank_mask:0xc
	v_mov_b32_dpp v9, v7 row_shr:8 row_mask:0xf bank_mask:0xc
	;; [unrolled: 1-line block ×6, first 2 shown]
	v_cmp_eq_u32_e32 vcc, 15, v77
	s_and_b64 exec, exec, vcc
	s_cbranch_execz .LBB12_14
; %bb.44:
	s_load_dwordx2 s[2:3], s[4:5], 0x50
	v_add_f32_e32 v8, v0, v1
	v_and_b32_e32 v1, 0x7fffffff, v74
	v_cmp_eq_u32_e32 vcc, 0, v1
	v_cmp_eq_f32_e64 s[0:1], 0, v75
	v_add_f32_e32 v14, v2, v3
	v_add_f32_e32 v6, v4, v5
	;; [unrolled: 1-line block ×7, first 2 shown]
	s_and_b64 s[0:1], vcc, s[0:1]
	v_lshlrev_b32_e32 v16, 2, v76
	s_and_saveexec_b64 s[4:5], s[0:1]
	s_xor_b64 s[0:1], exec, s[4:5]
	s_cbranch_execz .LBB12_46
; %bb.45:
	v_xor_b32_e32 v18, 0x80000000, v73
	v_ashrrev_i32_e32 v17, 31, v16
	v_mov_b32_e32 v19, v72
	v_lshlrev_b64 v[16:17], 3, v[16:17]
	v_pk_mul_f32 v[14:15], v[14:15], v[18:19] op_sel_hi:[0,1]
	s_waitcnt lgkmcnt(0)
	v_mov_b32_e32 v1, s3
	v_add_co_u32_e32 v20, vcc, s2, v16
	v_pk_fma_f32 v[14:15], v[72:73], v[8:9], v[14:15] op_sel_hi:[1,0,1]
	v_pk_mul_f32 v[8:9], v[12:13], v[18:19] op_sel_hi:[0,1]
	v_addc_co_u32_e32 v21, vcc, v1, v17, vcc
	v_pk_fma_f32 v[16:17], v[72:73], v[6:7], v[8:9] op_sel_hi:[1,0,1]
	v_pk_mul_f32 v[6:7], v[10:11], v[18:19] op_sel_hi:[0,1]
	v_pk_mul_f32 v[4:5], v[4:5], v[18:19] op_sel_hi:[0,1]
	v_pk_fma_f32 v[2:3], v[72:73], v[2:3], v[6:7] op_sel_hi:[1,0,1]
	v_pk_fma_f32 v[4:5], v[72:73], v[0:1], v[4:5] op_sel_hi:[1,0,1]
	global_store_dwordx4 v[20:21], v[14:17], off
	global_store_dwordx4 v[20:21], v[2:5], off offset:16
                                        ; implicit-def: $vgpr73
                                        ; implicit-def: $vgpr74
                                        ; implicit-def: $vgpr8
                                        ; implicit-def: $vgpr14
                                        ; implicit-def: $vgpr6
                                        ; implicit-def: $vgpr12
                                        ; implicit-def: $vgpr2
                                        ; implicit-def: $vgpr10
                                        ; implicit-def: $vgpr0
                                        ; implicit-def: $vgpr4
                                        ; implicit-def: $vgpr16
.LBB12_46:
	s_andn2_saveexec_b64 s[0:1], s[0:1]
	s_cbranch_execz .LBB12_14
; %bb.47:
	v_ashrrev_i32_e32 v17, 31, v16
	v_lshlrev_b64 v[16:17], 3, v[16:17]
	s_waitcnt lgkmcnt(0)
	v_mov_b32_e32 v1, s3
	v_add_co_u32_e32 v24, vcc, s2, v16
	v_addc_co_u32_e32 v25, vcc, v1, v17, vcc
	global_load_dwordx4 v[16:19], v[24:25], off
	global_load_dwordx4 v[20:23], v[24:25], off offset:16
	v_xor_b32_e32 v26, 0x80000000, v73
	v_mov_b32_e32 v27, v72
	v_pk_mul_f32 v[14:15], v[14:15], v[26:27] op_sel_hi:[0,1]
	v_pk_mul_f32 v[12:13], v[12:13], v[26:27] op_sel_hi:[0,1]
	;; [unrolled: 1-line block ×4, first 2 shown]
	v_pk_fma_f32 v[8:9], v[72:73], v[8:9], v[14:15] op_sel_hi:[1,0,1]
	v_pk_fma_f32 v[6:7], v[72:73], v[6:7], v[12:13] op_sel_hi:[1,0,1]
	v_xor_b32_e32 v28, 0x80000000, v75
	v_mov_b32_e32 v29, v74
	v_pk_fma_f32 v[2:3], v[72:73], v[2:3], v[10:11] op_sel_hi:[1,0,1]
	v_pk_fma_f32 v[0:1], v[72:73], v[0:1], v[4:5] op_sel_hi:[1,0,1]
	s_waitcnt vmcnt(1)
	v_pk_fma_f32 v[4:5], v[74:75], v[16:17], v[8:9] op_sel_hi:[1,0,1]
	v_pk_fma_f32 v[6:7], v[74:75], v[18:19], v[6:7] op_sel_hi:[1,0,1]
	v_mov_b32_e32 v8, v19
	s_waitcnt vmcnt(0)
	v_pk_fma_f32 v[10:11], v[74:75], v[20:21], v[2:3] op_sel_hi:[1,0,1]
	v_pk_fma_f32 v[12:13], v[74:75], v[22:23], v[0:1] op_sel_hi:[1,0,1]
	v_mov_b32_e32 v14, v23
	v_pk_fma_f32 v[0:1], v[28:29], v[16:17], v[4:5] op_sel:[0,1,0]
	v_pk_fma_f32 v[2:3], v[28:29], v[8:9], v[6:7] op_sel_hi:[1,0,1]
	v_pk_fma_f32 v[4:5], v[28:29], v[20:21], v[10:11] op_sel:[0,1,0]
	v_pk_fma_f32 v[6:7], v[28:29], v[14:15], v[12:13] op_sel_hi:[1,0,1]
	global_store_dwordx4 v[24:25], v[0:3], off
	global_store_dwordx4 v[24:25], v[4:7], off offset:16
	s_endpgm
	.section	.rodata,"a",@progbits
	.p2align	6, 0x0
	.amdhsa_kernel _ZN9rocsparseL18bsrxmvn_4x4_kernelILj128ELj16E21rocsparse_complex_numIfEiiS2_S2_S2_EEvT3_20rocsparse_direction_NS_24const_host_device_scalarIT1_EES3_PKS3_PKT2_SC_S9_PKT4_PKT5_S7_PT6_21rocsparse_index_base_b
		.amdhsa_group_segment_fixed_size 0
		.amdhsa_private_segment_fixed_size 0
		.amdhsa_kernarg_size 96
		.amdhsa_user_sgpr_count 6
		.amdhsa_user_sgpr_private_segment_buffer 1
		.amdhsa_user_sgpr_dispatch_ptr 0
		.amdhsa_user_sgpr_queue_ptr 0
		.amdhsa_user_sgpr_kernarg_segment_ptr 1
		.amdhsa_user_sgpr_dispatch_id 0
		.amdhsa_user_sgpr_flat_scratch_init 0
		.amdhsa_user_sgpr_kernarg_preload_length 0
		.amdhsa_user_sgpr_kernarg_preload_offset 0
		.amdhsa_user_sgpr_private_segment_size 0
		.amdhsa_uses_dynamic_stack 0
		.amdhsa_system_sgpr_private_segment_wavefront_offset 0
		.amdhsa_system_sgpr_workgroup_id_x 1
		.amdhsa_system_sgpr_workgroup_id_y 0
		.amdhsa_system_sgpr_workgroup_id_z 0
		.amdhsa_system_sgpr_workgroup_info 0
		.amdhsa_system_vgpr_workitem_id 0
		.amdhsa_next_free_vgpr 105
		.amdhsa_next_free_sgpr 18
		.amdhsa_accum_offset 108
		.amdhsa_reserve_vcc 1
		.amdhsa_reserve_flat_scratch 0
		.amdhsa_float_round_mode_32 0
		.amdhsa_float_round_mode_16_64 0
		.amdhsa_float_denorm_mode_32 3
		.amdhsa_float_denorm_mode_16_64 3
		.amdhsa_dx10_clamp 1
		.amdhsa_ieee_mode 1
		.amdhsa_fp16_overflow 0
		.amdhsa_tg_split 0
		.amdhsa_exception_fp_ieee_invalid_op 0
		.amdhsa_exception_fp_denorm_src 0
		.amdhsa_exception_fp_ieee_div_zero 0
		.amdhsa_exception_fp_ieee_overflow 0
		.amdhsa_exception_fp_ieee_underflow 0
		.amdhsa_exception_fp_ieee_inexact 0
		.amdhsa_exception_int_div_zero 0
	.end_amdhsa_kernel
	.section	.text._ZN9rocsparseL18bsrxmvn_4x4_kernelILj128ELj16E21rocsparse_complex_numIfEiiS2_S2_S2_EEvT3_20rocsparse_direction_NS_24const_host_device_scalarIT1_EES3_PKS3_PKT2_SC_S9_PKT4_PKT5_S7_PT6_21rocsparse_index_base_b,"axG",@progbits,_ZN9rocsparseL18bsrxmvn_4x4_kernelILj128ELj16E21rocsparse_complex_numIfEiiS2_S2_S2_EEvT3_20rocsparse_direction_NS_24const_host_device_scalarIT1_EES3_PKS3_PKT2_SC_S9_PKT4_PKT5_S7_PT6_21rocsparse_index_base_b,comdat
.Lfunc_end12:
	.size	_ZN9rocsparseL18bsrxmvn_4x4_kernelILj128ELj16E21rocsparse_complex_numIfEiiS2_S2_S2_EEvT3_20rocsparse_direction_NS_24const_host_device_scalarIT1_EES3_PKS3_PKT2_SC_S9_PKT4_PKT5_S7_PT6_21rocsparse_index_base_b, .Lfunc_end12-_ZN9rocsparseL18bsrxmvn_4x4_kernelILj128ELj16E21rocsparse_complex_numIfEiiS2_S2_S2_EEvT3_20rocsparse_direction_NS_24const_host_device_scalarIT1_EES3_PKS3_PKT2_SC_S9_PKT4_PKT5_S7_PT6_21rocsparse_index_base_b
                                        ; -- End function
	.section	.AMDGPU.csdata,"",@progbits
; Kernel info:
; codeLenInByte = 7092
; NumSgprs: 22
; NumVgprs: 105
; NumAgprs: 0
; TotalNumVgprs: 105
; ScratchSize: 0
; MemoryBound: 0
; FloatMode: 240
; IeeeMode: 1
; LDSByteSize: 0 bytes/workgroup (compile time only)
; SGPRBlocks: 2
; VGPRBlocks: 13
; NumSGPRsForWavesPerEU: 22
; NumVGPRsForWavesPerEU: 105
; AccumOffset: 108
; Occupancy: 4
; WaveLimiterHint : 1
; COMPUTE_PGM_RSRC2:SCRATCH_EN: 0
; COMPUTE_PGM_RSRC2:USER_SGPR: 6
; COMPUTE_PGM_RSRC2:TRAP_HANDLER: 0
; COMPUTE_PGM_RSRC2:TGID_X_EN: 1
; COMPUTE_PGM_RSRC2:TGID_Y_EN: 0
; COMPUTE_PGM_RSRC2:TGID_Z_EN: 0
; COMPUTE_PGM_RSRC2:TIDIG_COMP_CNT: 0
; COMPUTE_PGM_RSRC3_GFX90A:ACCUM_OFFSET: 26
; COMPUTE_PGM_RSRC3_GFX90A:TG_SPLIT: 0
	.section	.text._ZN9rocsparseL18bsrxmvn_4x4_kernelILj128ELj32E21rocsparse_complex_numIfEiiS2_S2_S2_EEvT3_20rocsparse_direction_NS_24const_host_device_scalarIT1_EES3_PKS3_PKT2_SC_S9_PKT4_PKT5_S7_PT6_21rocsparse_index_base_b,"axG",@progbits,_ZN9rocsparseL18bsrxmvn_4x4_kernelILj128ELj32E21rocsparse_complex_numIfEiiS2_S2_S2_EEvT3_20rocsparse_direction_NS_24const_host_device_scalarIT1_EES3_PKS3_PKT2_SC_S9_PKT4_PKT5_S7_PT6_21rocsparse_index_base_b,comdat
	.globl	_ZN9rocsparseL18bsrxmvn_4x4_kernelILj128ELj32E21rocsparse_complex_numIfEiiS2_S2_S2_EEvT3_20rocsparse_direction_NS_24const_host_device_scalarIT1_EES3_PKS3_PKT2_SC_S9_PKT4_PKT5_S7_PT6_21rocsparse_index_base_b ; -- Begin function _ZN9rocsparseL18bsrxmvn_4x4_kernelILj128ELj32E21rocsparse_complex_numIfEiiS2_S2_S2_EEvT3_20rocsparse_direction_NS_24const_host_device_scalarIT1_EES3_PKS3_PKT2_SC_S9_PKT4_PKT5_S7_PT6_21rocsparse_index_base_b
	.p2align	8
	.type	_ZN9rocsparseL18bsrxmvn_4x4_kernelILj128ELj32E21rocsparse_complex_numIfEiiS2_S2_S2_EEvT3_20rocsparse_direction_NS_24const_host_device_scalarIT1_EES3_PKS3_PKT2_SC_S9_PKT4_PKT5_S7_PT6_21rocsparse_index_base_b,@function
_ZN9rocsparseL18bsrxmvn_4x4_kernelILj128ELj32E21rocsparse_complex_numIfEiiS2_S2_S2_EEvT3_20rocsparse_direction_NS_24const_host_device_scalarIT1_EES3_PKS3_PKT2_SC_S9_PKT4_PKT5_S7_PT6_21rocsparse_index_base_b: ; @_ZN9rocsparseL18bsrxmvn_4x4_kernelILj128ELj32E21rocsparse_complex_numIfEiiS2_S2_S2_EEvT3_20rocsparse_direction_NS_24const_host_device_scalarIT1_EES3_PKS3_PKT2_SC_S9_PKT4_PKT5_S7_PT6_21rocsparse_index_base_b
; %bb.0:
	s_load_dwordx2 s[16:17], s[4:5], 0x58
	s_load_dwordx2 s[8:9], s[4:5], 0x8
	;; [unrolled: 1-line block ×3, first 2 shown]
	s_waitcnt lgkmcnt(0)
	s_bitcmp1_b32 s17, 0
	s_cselect_b64 s[0:1], -1, 0
	s_xor_b64 s[10:11], s[0:1], -1
	s_and_b64 vcc, exec, s[0:1]
	v_mov_b32_e32 v52, s8
	s_cbranch_vccnz .LBB13_2
; %bb.1:
	v_pk_mov_b32 v[2:3], s[8:9], s[8:9] op_sel:[0,1]
	flat_load_dword v52, v[2:3]
.LBB13_2:
	v_cndmask_b32_e64 v1, 0, 1, s[10:11]
	v_cmp_ne_u32_e64 s[0:1], 1, v1
	s_andn2_b64 vcc, exec, s[10:11]
	v_mov_b32_e32 v53, s9
	s_cbranch_vccz .LBB13_15
; %bb.3:
	s_and_b64 vcc, exec, s[0:1]
	v_mov_b32_e32 v54, s2
	s_cbranch_vccz .LBB13_16
.LBB13_4:
	s_and_b64 vcc, exec, s[0:1]
	v_mov_b32_e32 v55, s3
	s_cbranch_vccnz .LBB13_6
.LBB13_5:
	v_pk_mov_b32 v[2:3], s[2:3], s[2:3] op_sel:[0,1]
	flat_load_dword v55, v[2:3] offset:4
.LBB13_6:
	s_waitcnt vmcnt(0) lgkmcnt(0)
	v_and_b32_e32 v1, 0x7fffffff, v52
	v_cmp_eq_u32_e32 vcc, 0, v1
	v_cmp_eq_f32_e64 s[0:1], 0, v53
	s_and_b64 s[8:9], vcc, s[0:1]
	s_mov_b64 s[0:1], -1
	s_and_saveexec_b64 s[2:3], s[8:9]
; %bb.7:
	v_and_b32_e32 v1, 0x7fffffff, v55
	v_cmp_neq_f32_e32 vcc, 1.0, v54
	v_cmp_ne_u32_e64 s[0:1], 0, v1
	s_or_b64 s[0:1], vcc, s[0:1]
	s_orn2_b64 s[0:1], s[0:1], exec
; %bb.8:
	s_or_b64 exec, exec, s[2:3]
	s_and_saveexec_b64 s[2:3], s[0:1]
	s_cbranch_execz .LBB13_14
; %bb.9:
	s_load_dwordx2 s[8:9], s[4:5], 0x18
	s_load_dwordx2 s[0:1], s[4:5], 0x0
	v_lshrrev_b32_e32 v1, 5, v0
	v_lshl_or_b32 v56, s6, 2, v1
	s_mov_b64 s[2:3], 0
	s_waitcnt lgkmcnt(0)
	s_cmp_lg_u64 s[8:9], 0
	s_cbranch_scc0 .LBB13_17
; %bb.10:
	s_load_dword s6, s[4:5], 0x10
                                        ; implicit-def: $vgpr1
	s_waitcnt lgkmcnt(0)
	v_cmp_gt_i32_e32 vcc, s6, v56
	s_and_saveexec_b64 s[6:7], vcc
	s_xor_b64 s[6:7], exec, s[6:7]
	s_cbranch_execz .LBB13_12
; %bb.11:
	v_ashrrev_i32_e32 v57, 31, v56
	v_lshlrev_b64 v[2:3], 2, v[56:57]
	v_mov_b32_e32 v1, s9
	v_add_co_u32_e32 v2, vcc, s8, v2
	v_addc_co_u32_e32 v3, vcc, v1, v3, vcc
	global_load_dword v1, v[2:3], off
	s_mov_b64 s[2:3], exec
	s_waitcnt vmcnt(0)
	v_subrev_u32_e32 v1, s16, v1
.LBB13_12:
	s_or_b64 exec, exec, s[6:7]
	s_branch .LBB13_18
.LBB13_13:
	v_cmp_gt_i32_e32 vcc, s0, v56
	s_andn2_b64 s[2:3], s[2:3], exec
	s_and_b64 s[6:7], vcc, exec
	s_or_b64 s[2:3], s[2:3], s[6:7]
	s_and_b64 exec, exec, s[2:3]
	s_cbranch_execnz .LBB13_19
.LBB13_14:
	s_endpgm
.LBB13_15:
	v_pk_mov_b32 v[2:3], s[8:9], s[8:9] op_sel:[0,1]
	flat_load_dword v53, v[2:3] offset:4
	s_and_b64 vcc, exec, s[0:1]
	v_mov_b32_e32 v54, s2
	s_cbranch_vccnz .LBB13_4
.LBB13_16:
	v_pk_mov_b32 v[2:3], s[2:3], s[2:3] op_sel:[0,1]
	flat_load_dword v54, v[2:3]
	s_and_b64 vcc, exec, s[0:1]
	v_mov_b32_e32 v55, s3
	s_cbranch_vccz .LBB13_5
	s_branch .LBB13_6
.LBB13_17:
                                        ; implicit-def: $vgpr1
	s_cbranch_execnz .LBB13_13
.LBB13_18:
	v_mov_b32_e32 v56, v1
	s_and_b64 exec, exec, s[2:3]
	s_cbranch_execz .LBB13_14
.LBB13_19:
	s_load_dwordx8 s[8:15], s[4:5], 0x20
	v_ashrrev_i32_e32 v57, 31, v56
	v_lshlrev_b64 v[2:3], 2, v[56:57]
	v_and_b32_e32 v57, 31, v0
	s_waitcnt lgkmcnt(0)
	v_mov_b32_e32 v1, s9
	v_add_co_u32_e32 v4, vcc, s8, v2
	v_addc_co_u32_e32 v5, vcc, v1, v3, vcc
	v_add_co_u32_e32 v1, vcc, 4, v4
	global_load_dword v73, v[4:5], off
	v_addc_co_u32_e32 v4, vcc, 0, v5, vcc
	v_mov_b32_e32 v5, s11
	v_add_co_u32_e32 v2, vcc, s10, v2
	s_cmp_eq_u64 s[10:11], 0
	v_addc_co_u32_e32 v3, vcc, v5, v3, vcc
	s_cselect_b64 vcc, -1, 0
	v_cndmask_b32_e32 v3, v3, v4, vcc
	v_cndmask_b32_e32 v2, v2, v1, vcc
	global_load_dword v1, v[2:3], off
	s_load_dwordx2 s[10:11], s[4:5], 0x40
	v_mov_b32_e32 v2, s15
	s_cmp_eq_u32 s1, 1
	s_waitcnt vmcnt(1)
	v_subrev_u32_e32 v0, s16, v73
	v_add_u32_e32 v58, v0, v57
	v_ashrrev_i32_e32 v59, 31, v58
	s_waitcnt vmcnt(0)
	v_subrev_u32_e32 v72, s16, v1
	v_lshlrev_b64 v[0:1], 7, v[58:59]
	v_add_co_u32_e32 v60, vcc, s14, v0
	v_addc_co_u32_e32 v61, vcc, v2, v1, vcc
	v_cmp_lt_i32_e64 s[0:1], v58, v72
	s_cbranch_scc1 .LBB13_31
; %bb.20:
	s_mov_b32 s2, 0
	v_mov_b32_e32 v43, 0
	v_mov_b32_e32 v42, 0
	;; [unrolled: 1-line block ×8, first 2 shown]
	s_and_saveexec_b64 s[14:15], s[0:1]
	s_cbranch_execz .LBB13_30
; %bb.21:
	v_add_u32_e32 v0, v73, v57
	v_subrev_u32_e32 v0, s16, v0
	v_add_u32_e32 v0, 32, v0
	v_max_i32_e32 v0, v0, v72
	v_not_b32_e32 v1, v73
	v_add3_u32 v0, v0, s16, v1
	v_sub_u32_e32 v0, v0, v57
	v_lshrrev_b32_e32 v1, 5, v0
	v_add_u32_e32 v1, 1, v1
	v_and_b32_e32 v1, 3, v1
	s_mov_b32 s3, s2
	v_cmp_ne_u32_e32 vcc, 0, v1
	v_pk_mov_b32 v[42:43], s[2:3], s[2:3] op_sel:[0,1]
	v_pk_mov_b32 v[32:33], s[2:3], s[2:3] op_sel:[0,1]
	;; [unrolled: 1-line block ×5, first 2 shown]
	v_mov_b32_e32 v62, v58
	s_and_saveexec_b64 s[2:3], vcc
	s_cbranch_execz .LBB13_25
; %bb.22:
	v_mov_b32_e32 v40, 0
	v_lshlrev_b32_e32 v1, 7, v1
	s_mov_b64 s[6:7], 0
	v_mov_b32_e32 v2, s13
	s_waitcnt lgkmcnt(0)
	v_mov_b32_e32 v3, s11
	s_movk_i32 s8, 0x1000
	v_mov_b32_e32 v62, v58
	v_pk_mov_b32 v[64:65], v[60:61], v[60:61] op_sel:[0,1]
	v_mov_b32_e32 v41, v40
	v_mov_b32_e32 v34, v40
	;; [unrolled: 1-line block ×7, first 2 shown]
.LBB13_23:                              ; =>This Inner Loop Header: Depth=1
	v_ashrrev_i32_e32 v63, 31, v62
	v_lshlrev_b64 v[4:5], 2, v[62:63]
	v_add_co_u32_e32 v44, vcc, s12, v4
	v_addc_co_u32_e32 v45, vcc, v2, v5, vcc
	global_load_dword v46, v[44:45], off
	global_load_dwordx4 v[4:7], v[64:65], off
	global_load_dwordx4 v[8:11], v[64:65], off offset:16
	global_load_dwordx4 v[12:15], v[64:65], off offset:48
	;; [unrolled: 1-line block ×7, first 2 shown]
	v_add_u32_e32 v1, 0xffffff80, v1
	v_add_u32_e32 v62, 32, v62
	s_waitcnt vmcnt(8)
	v_subrev_u32_e32 v44, s16, v46
	v_lshlrev_b32_e32 v44, 2, v44
	v_ashrrev_i32_e32 v45, 31, v44
	v_lshlrev_b64 v[44:45], 3, v[44:45]
	v_add_co_u32_e32 v66, vcc, s10, v44
	v_addc_co_u32_e32 v67, vcc, v3, v45, vcc
	global_load_dwordx4 v[44:47], v[66:67], off
	global_load_dwordx4 v[48:51], v[66:67], off offset:16
	s_waitcnt vmcnt(9)
	v_xor_b32_e32 v66, 0x80000000, v7
	v_mov_b32_e32 v67, v6
	s_waitcnt vmcnt(6)
	v_xor_b32_e32 v70, 0x80000000, v19
	v_mov_b32_e32 v71, v18
	;; [unrolled: 3-line block ×3, first 2 shown]
	v_xor_b32_e32 v80, 0x80000000, v27
	v_mov_b32_e32 v81, v26
	v_add_co_u32_e32 v64, vcc, s8, v64
	v_addc_co_u32_e32 v65, vcc, 0, v65, vcc
	v_cmp_eq_u32_e32 vcc, 0, v1
	v_xor_b32_e32 v68, 0x80000000, v11
	v_mov_b32_e32 v69, v10
	v_xor_b32_e32 v74, 0x80000000, v15
	v_mov_b32_e32 v75, v14
	v_xor_b32_e32 v78, 0x80000000, v31
	v_mov_b32_e32 v79, v30
	v_xor_b32_e32 v82, 0x80000000, v23
	v_mov_b32_e32 v83, v22
	s_or_b64 s[6:7], vcc, s[6:7]
	s_waitcnt vmcnt(1)
	v_pk_fma_f32 v[42:43], v[4:5], v[44:45], v[42:43] op_sel_hi:[1,0,1]
	v_pk_fma_f32 v[40:41], v[16:17], v[44:45], v[40:41] op_sel_hi:[1,0,1]
	;; [unrolled: 1-line block ×4, first 2 shown]
	v_pk_fma_f32 v[4:5], v[4:5], v[44:45], v[42:43] op_sel:[1,1,0] op_sel_hi:[0,1,1] neg_lo:[1,0,0]
	v_pk_fma_f32 v[16:17], v[16:17], v[44:45], v[40:41] op_sel:[1,1,0] op_sel_hi:[0,1,1] neg_lo:[1,0,0]
	;; [unrolled: 1-line block ×4, first 2 shown]
	v_mov_b32_e32 v84, v47
	v_pk_fma_f32 v[4:5], v[6:7], v[46:47], v[4:5] op_sel_hi:[1,0,1]
	v_pk_fma_f32 v[6:7], v[18:19], v[46:47], v[16:17] op_sel_hi:[1,0,1]
	;; [unrolled: 1-line block ×8, first 2 shown]
	s_waitcnt vmcnt(0)
	v_pk_fma_f32 v[4:5], v[8:9], v[48:49], v[4:5] op_sel_hi:[1,0,1]
	v_pk_fma_f32 v[6:7], v[12:13], v[48:49], v[6:7] op_sel_hi:[1,0,1]
	;; [unrolled: 1-line block ×4, first 2 shown]
	v_pk_fma_f32 v[4:5], v[8:9], v[48:49], v[4:5] op_sel:[1,1,0] op_sel_hi:[0,1,1] neg_lo:[1,0,0]
	v_pk_fma_f32 v[6:7], v[12:13], v[48:49], v[6:7] op_sel:[1,1,0] op_sel_hi:[0,1,1] neg_lo:[1,0,0]
	;; [unrolled: 1-line block ×4, first 2 shown]
	v_mov_b32_e32 v86, v51
	v_pk_fma_f32 v[4:5], v[10:11], v[50:51], v[4:5] op_sel_hi:[1,0,1]
	v_pk_fma_f32 v[6:7], v[14:15], v[50:51], v[6:7] op_sel_hi:[1,0,1]
	;; [unrolled: 1-line block ×8, first 2 shown]
	s_andn2_b64 exec, exec, s[6:7]
	s_cbranch_execnz .LBB13_23
; %bb.24:
	s_or_b64 exec, exec, s[6:7]
.LBB13_25:
	s_or_b64 exec, exec, s[2:3]
	s_movk_i32 s2, 0x5f
	v_cmp_lt_u32_e32 vcc, s2, v0
	s_and_saveexec_b64 s[18:19], vcc
	s_cbranch_execz .LBB13_29
; %bb.26:
	s_mov_b64 s[20:21], 0
	v_mov_b32_e32 v59, s13
	s_waitcnt lgkmcnt(0)
	v_mov_b32_e32 v74, s11
	s_movk_i32 s17, 0x1000
	s_movk_i32 s22, 0x2000
	;; [unrolled: 1-line block ×3, first 2 shown]
.LBB13_27:                              ; =>This Inner Loop Header: Depth=1
	v_ashrrev_i32_e32 v63, 31, v62
	v_add_co_u32_e64 v66, s[2:3], s23, v64
	v_addc_co_u32_e64 v67, s[2:3], 0, v65, s[2:3]
	v_lshlrev_b64 v[46:47], 2, v[62:63]
	v_add_co_u32_e64 v44, s[8:9], s17, v64
	v_add_co_u32_e64 v70, s[2:3], s12, v46
	v_addc_co_u32_e64 v45, s[8:9], 0, v65, s[8:9]
	v_addc_co_u32_e64 v71, s[2:3], v59, v47, s[2:3]
	global_load_dwordx4 v[16:19], v[64:65], off offset:32
	global_load_dwordx4 v[0:3], v[64:65], off offset:16
	global_load_dwordx4 v[24:27], v[64:65], off
	global_load_dwordx4 v[4:7], v[64:65], off offset:112
	global_load_dwordx4 v[20:23], v[64:65], off offset:96
	;; [unrolled: 1-line block ×10, first 2 shown]
	global_load_dword v46, v[70:71], off
	v_add_co_u32_e64 v68, s[6:7], s22, v64
	v_addc_co_u32_e64 v69, s[6:7], 0, v65, s[6:7]
	global_load_dwordx4 v[92:95], v[44:45], off offset:80
	v_add_u32_e32 v62, 0x80, v62
	v_add_co_u32_e32 v64, vcc, 0x4000, v64
	v_addc_co_u32_e32 v65, vcc, 0, v65, vcc
	s_waitcnt vmcnt(12)
	v_xor_b32_e32 v50, 0x80000000, v27
	v_mov_b32_e32 v51, v26
	s_waitcnt vmcnt(10)
	v_xor_b32_e32 v102, 0x80000000, v23
	v_mov_b32_e32 v103, v22
	;; [unrolled: 3-line block ×3, first 2 shown]
	s_waitcnt vmcnt(1)
	v_subrev_u32_e32 v46, s16, v46
	v_lshlrev_b32_e32 v46, 2, v46
	v_ashrrev_i32_e32 v47, 31, v46
	v_lshlrev_b64 v[46:47], 3, v[46:47]
	v_add_co_u32_e64 v96, s[2:3], s10, v46
	v_addc_co_u32_e64 v97, s[2:3], v74, v47, s[2:3]
	global_load_dwordx4 v[46:49], v[96:97], off
	s_waitcnt vmcnt(0)
	v_pk_fma_f32 v[40:41], v[16:17], v[46:47], v[40:41] op_sel_hi:[1,0,1]
	v_pk_fma_f32 v[16:17], v[16:17], v[46:47], v[40:41] op_sel:[1,1,0] op_sel_hi:[0,1,1] neg_lo:[1,0,0]
	v_pk_fma_f32 v[40:41], v[18:19], v[48:49], v[16:17] op_sel_hi:[1,0,1]
	v_pk_fma_f32 v[16:17], v[28:29], v[46:47], v[34:35] op_sel_hi:[1,0,1]
	;; [unrolled: 1-line block ×3, first 2 shown]
	v_pk_fma_f32 v[16:17], v[28:29], v[46:47], v[16:17] op_sel:[1,1,0] op_sel_hi:[0,1,1] neg_lo:[1,0,0]
	v_pk_fma_f32 v[28:29], v[20:21], v[46:47], v[32:33] op_sel_hi:[1,0,1]
	v_pk_fma_f32 v[24:25], v[24:25], v[46:47], v[42:43] op_sel:[1,1,0] op_sel_hi:[0,1,1] neg_lo:[1,0,0]
	v_pk_fma_f32 v[20:21], v[20:21], v[46:47], v[28:29] op_sel:[1,1,0] op_sel_hi:[0,1,1] neg_lo:[1,0,0]
	v_pk_fma_f32 v[24:25], v[26:27], v[48:49], v[24:25] op_sel_hi:[1,0,1]
	v_xor_b32_e32 v26, 0x80000000, v19
	v_mov_b32_e32 v27, v18
	v_pk_fma_f32 v[100:101], v[30:31], v[48:49], v[16:17] op_sel_hi:[1,0,1]
	global_load_dwordx4 v[28:31], v[44:45], off offset:64
	v_pk_fma_f32 v[20:21], v[22:23], v[48:49], v[20:21] op_sel_hi:[1,0,1]
	v_mov_b32_e32 v22, v49
	v_pk_fma_f32 v[24:25], v[50:51], v[22:23], v[24:25] op_sel_hi:[1,0,1]
	v_pk_fma_f32 v[26:27], v[26:27], v[22:23], v[40:41] op_sel_hi:[1,0,1]
	;; [unrolled: 1-line block ×4, first 2 shown]
	global_load_dwordx4 v[20:23], v[96:97], off offset:16
	v_xor_b32_e32 v98, 0x80000000, v3
	v_mov_b32_e32 v99, v2
	global_load_dwordx4 v[32:35], v[68:69], off offset:-4096
	global_load_dwordx4 v[40:43], v[68:69], off
	global_load_dwordx4 v[16:19], v[68:69], off offset:112
	global_load_dwordx4 v[44:47], v[68:69], off offset:32
	s_waitcnt vmcnt(5)
	v_xor_b32_e32 v100, 0x80000000, v31
	v_mov_b32_e32 v101, v30
	s_waitcnt vmcnt(4)
	v_pk_fma_f32 v[24:25], v[0:1], v[20:21], v[24:25] op_sel_hi:[1,0,1]
	v_pk_fma_f32 v[0:1], v[0:1], v[20:21], v[24:25] op_sel:[1,1,0] op_sel_hi:[0,1,1] neg_lo:[1,0,0]
	v_pk_fma_f32 v[24:25], v[12:13], v[20:21], v[26:27] op_sel_hi:[1,0,1]
	v_pk_fma_f32 v[12:13], v[12:13], v[20:21], v[24:25] op_sel:[1,1,0] op_sel_hi:[0,1,1] neg_lo:[1,0,0]
	v_pk_fma_f32 v[24:25], v[8:9], v[20:21], v[48:49] op_sel_hi:[1,0,1]
	v_pk_fma_f32 v[48:49], v[4:5], v[20:21], v[50:51] op_sel_hi:[1,0,1]
	v_pk_fma_f32 v[8:9], v[8:9], v[20:21], v[24:25] op_sel:[1,1,0] op_sel_hi:[0,1,1] neg_lo:[1,0,0]
	global_load_dwordx4 v[24:27], v[68:69], off offset:16
	v_pk_fma_f32 v[4:5], v[4:5], v[20:21], v[48:49] op_sel:[1,1,0] op_sel_hi:[0,1,1] neg_lo:[1,0,0]
	v_pk_fma_f32 v[0:1], v[2:3], v[22:23], v[0:1] op_sel_hi:[1,0,1]
	v_mov_b32_e32 v3, v14
	v_pk_fma_f32 v[12:13], v[14:15], v[22:23], v[12:13] op_sel_hi:[1,0,1]
	v_xor_b32_e32 v14, 0x80000000, v11
	v_pk_fma_f32 v[8:9], v[10:11], v[22:23], v[8:9] op_sel_hi:[1,0,1]
	v_mov_b32_e32 v11, v6
	v_pk_fma_f32 v[4:5], v[6:7], v[22:23], v[4:5] op_sel_hi:[1,0,1]
	global_load_dword v6, v[70:71], off offset:128
	v_xor_b32_e32 v2, 0x80000000, v15
	v_mov_b32_e32 v15, v10
	v_xor_b32_e32 v10, 0x80000000, v7
	global_load_dwordx4 v[48:51], v[68:69], off offset:96
	s_waitcnt vmcnt(1)
	v_subrev_u32_e32 v6, s16, v6
	v_lshlrev_b32_e32 v6, 2, v6
	v_ashrrev_i32_e32 v7, 31, v6
	v_lshlrev_b64 v[6:7], 3, v[6:7]
	v_add_co_u32_e64 v96, s[2:3], s10, v6
	v_addc_co_u32_e64 v97, s[2:3], v74, v7, s[2:3]
	v_mov_b32_e32 v6, v23
	global_load_dwordx4 v[20:23], v[68:69], off offset:80
	v_pk_fma_f32 v[0:1], v[98:99], v[6:7], v[0:1] op_sel_hi:[1,0,1]
	v_pk_fma_f32 v[12:13], v[2:3], v[6:7], v[12:13] op_sel_hi:[1,0,1]
	;; [unrolled: 1-line block ×4, first 2 shown]
	global_load_dwordx4 v[2:5], v[96:97], off
	v_xor_b32_e32 v14, 0x80000000, v35
	v_mov_b32_e32 v15, v34
	v_xor_b32_e32 v98, 0x80000000, v83
	v_mov_b32_e32 v99, v82
	s_waitcnt vmcnt(0)
	v_pk_fma_f32 v[0:1], v[32:33], v[2:3], v[0:1] op_sel_hi:[1,0,1]
	v_pk_fma_f32 v[0:1], v[32:33], v[2:3], v[0:1] op_sel:[1,1,0] op_sel_hi:[0,1,1] neg_lo:[1,0,0]
	v_pk_fma_f32 v[10:11], v[34:35], v[4:5], v[0:1] op_sel_hi:[1,0,1]
	v_pk_fma_f32 v[0:1], v[80:81], v[2:3], v[12:13] op_sel_hi:[1,0,1]
	v_pk_fma_f32 v[0:1], v[80:81], v[2:3], v[0:1] op_sel:[1,1,0] op_sel_hi:[0,1,1] neg_lo:[1,0,0]
	v_pk_fma_f32 v[12:13], v[82:83], v[4:5], v[0:1] op_sel_hi:[1,0,1]
	;; [unrolled: 3-line block ×3, first 2 shown]
	v_pk_fma_f32 v[0:1], v[88:89], v[2:3], v[6:7] op_sel_hi:[1,0,1]
	v_pk_fma_f32 v[0:1], v[88:89], v[2:3], v[0:1] op_sel:[1,1,0] op_sel_hi:[0,1,1] neg_lo:[1,0,0]
	v_xor_b32_e32 v28, 0x80000000, v91
	v_mov_b32_e32 v29, v90
	v_pk_fma_f32 v[30:31], v[90:91], v[4:5], v[0:1] op_sel_hi:[1,0,1]
	global_load_dwordx4 v[88:91], v[96:97], off offset:16
	global_load_dwordx4 v[32:35], v[68:69], off offset:48
	;; [unrolled: 1-line block ×3, first 2 shown]
	v_mov_b32_e32 v68, v5
	v_pk_fma_f32 v[100:101], v[100:101], v[68:69], v[8:9] op_sel_hi:[1,0,1]
	v_pk_fma_f32 v[28:29], v[28:29], v[68:69], v[30:31] op_sel_hi:[1,0,1]
	;; [unrolled: 1-line block ×4, first 2 shown]
	v_mov_b32_e32 v69, v86
	v_xor_b32_e32 v68, 0x80000000, v87
	global_load_dwordx4 v[0:3], v[66:67], off offset:48
	global_load_dwordx4 v[4:7], v[66:67], off offset:32
	global_load_dwordx4 v[12:15], v[66:67], off
	v_xor_b32_e32 v96, 0x80000000, v39
	v_mov_b32_e32 v97, v38
	s_waitcnt vmcnt(5)
	v_pk_fma_f32 v[30:31], v[92:93], v[88:89], v[100:101] op_sel_hi:[1,0,1]
	v_pk_fma_f32 v[30:31], v[92:93], v[88:89], v[30:31] op_sel:[1,1,0] op_sel_hi:[0,1,1] neg_lo:[1,0,0]
	v_pk_fma_f32 v[92:93], v[94:95], v[90:91], v[30:31] op_sel_hi:[1,0,1]
	global_load_dword v30, v[70:71], off offset:256
	v_pk_fma_f32 v[8:9], v[84:85], v[88:89], v[10:11] op_sel_hi:[1,0,1]
	v_pk_fma_f32 v[8:9], v[84:85], v[88:89], v[8:9] op_sel:[1,1,0] op_sel_hi:[0,1,1] neg_lo:[1,0,0]
	v_pk_fma_f32 v[84:85], v[86:87], v[90:91], v[8:9] op_sel_hi:[1,0,1]
	v_pk_fma_f32 v[8:9], v[76:77], v[88:89], v[98:99] op_sel_hi:[1,0,1]
	v_pk_fma_f32 v[8:9], v[76:77], v[88:89], v[8:9] op_sel:[1,1,0] op_sel_hi:[0,1,1] neg_lo:[1,0,0]
	v_pk_fma_f32 v[28:29], v[36:37], v[88:89], v[28:29] op_sel_hi:[1,0,1]
	v_xor_b32_e32 v86, 0x80000000, v79
	v_pk_fma_f32 v[76:77], v[78:79], v[90:91], v[8:9] op_sel_hi:[1,0,1]
	global_load_dwordx4 v[8:11], v[66:67], off offset:16
	v_mov_b32_e32 v79, v94
	v_pk_fma_f32 v[28:29], v[36:37], v[88:89], v[28:29] op_sel:[1,1,0] op_sel_hi:[0,1,1] neg_lo:[1,0,0]
	v_mov_b32_e32 v87, v78
	v_xor_b32_e32 v78, 0x80000000, v95
	v_pk_fma_f32 v[88:89], v[38:39], v[90:91], v[28:29] op_sel_hi:[1,0,1]
	v_mov_b32_e32 v90, v91
	v_pk_fma_f32 v[84:85], v[68:69], v[90:91], v[84:85] op_sel_hi:[1,0,1]
	v_pk_fma_f32 v[76:77], v[86:87], v[90:91], v[76:77] op_sel_hi:[1,0,1]
	v_pk_fma_f32 v[78:79], v[78:79], v[90:91], v[92:93] op_sel_hi:[1,0,1]
	v_xor_b32_e32 v86, 0x80000000, v43
	v_mov_b32_e32 v87, v42
	v_pk_fma_f32 v[88:89], v[96:97], v[90:91], v[88:89] op_sel_hi:[1,0,1]
	v_xor_b32_e32 v90, 0x80000000, v47
	v_mov_b32_e32 v91, v46
	s_waitcnt vmcnt(5)
	v_xor_b32_e32 v96, 0x80000000, v83
	v_mov_b32_e32 v97, v82
	s_waitcnt vmcnt(1)
	v_subrev_u32_e32 v30, s16, v30
	v_lshlrev_b32_e32 v30, 2, v30
	v_ashrrev_i32_e32 v31, 31, v30
	v_lshlrev_b64 v[30:31], 3, v[30:31]
	v_add_co_u32_e64 v94, s[2:3], s10, v30
	v_addc_co_u32_e64 v95, s[2:3], v74, v31, s[2:3]
	global_load_dwordx4 v[28:31], v[66:67], off offset:112
	global_load_dwordx4 v[36:39], v[66:67], off offset:96
	global_load_dword v63, v[70:71], off offset:384
	v_cmp_ge_i32_e64 s[2:3], v62, v72
	global_load_dwordx4 v[68:71], v[94:95], off
	s_or_b64 s[20:21], s[2:3], s[20:21]
	s_waitcnt vmcnt(1)
	v_subrev_u32_e32 v63, s16, v63
	s_waitcnt vmcnt(0)
	v_pk_fma_f32 v[84:85], v[40:41], v[68:69], v[84:85] op_sel_hi:[1,0,1]
	v_pk_fma_f32 v[76:77], v[44:45], v[68:69], v[76:77] op_sel_hi:[1,0,1]
	v_pk_fma_f32 v[40:41], v[40:41], v[68:69], v[84:85] op_sel:[1,1,0] op_sel_hi:[0,1,1] neg_lo:[1,0,0]
	v_pk_fma_f32 v[44:45], v[44:45], v[68:69], v[76:77] op_sel:[1,1,0] op_sel_hi:[0,1,1] neg_lo:[1,0,0]
	v_pk_fma_f32 v[84:85], v[42:43], v[70:71], v[40:41] op_sel_hi:[1,0,1]
	global_load_dwordx4 v[40:43], v[66:67], off offset:80
	v_pk_fma_f32 v[92:93], v[46:47], v[70:71], v[44:45] op_sel_hi:[1,0,1]
	global_load_dwordx4 v[44:47], v[66:67], off offset:64
	v_pk_fma_f32 v[66:67], v[80:81], v[68:69], v[78:79] op_sel_hi:[1,0,1]
	v_pk_fma_f32 v[66:67], v[80:81], v[68:69], v[66:67] op_sel:[1,1,0] op_sel_hi:[0,1,1] neg_lo:[1,0,0]
	v_pk_fma_f32 v[80:81], v[82:83], v[70:71], v[66:67] op_sel_hi:[1,0,1]
	v_lshlrev_b32_e32 v66, 2, v63
	v_ashrrev_i32_e32 v67, 31, v66
	global_load_dwordx4 v[76:79], v[94:95], off offset:16
	v_lshlrev_b64 v[66:67], 3, v[66:67]
	v_add_co_u32_e64 v98, s[6:7], s10, v66
	v_addc_co_u32_e64 v99, s[6:7], v74, v67, s[6:7]
	v_pk_fma_f32 v[66:67], v[48:49], v[68:69], v[88:89] op_sel_hi:[1,0,1]
	v_pk_fma_f32 v[48:49], v[48:49], v[68:69], v[66:67] op_sel:[1,1,0] op_sel_hi:[0,1,1] neg_lo:[1,0,0]
	global_load_dwordx4 v[66:69], v[98:99], off
	v_xor_b32_e32 v82, 0x80000000, v51
	v_mov_b32_e32 v83, v50
	v_pk_fma_f32 v[88:89], v[50:51], v[70:71], v[48:49] op_sel_hi:[1,0,1]
	global_load_dwordx4 v[48:51], v[98:99], off offset:16
	v_mov_b32_e32 v70, v71
	v_pk_fma_f32 v[84:85], v[86:87], v[70:71], v[84:85] op_sel_hi:[1,0,1]
	v_pk_fma_f32 v[90:91], v[90:91], v[70:71], v[92:93] op_sel_hi:[1,0,1]
	;; [unrolled: 1-line block ×4, first 2 shown]
	v_xor_b32_e32 v86, 0x80000000, v27
	v_mov_b32_e32 v87, v26
	v_xor_b32_e32 v92, 0x80000000, v35
	v_mov_b32_e32 v93, v34
	;; [unrolled: 2-line block ×5, first 2 shown]
	s_waitcnt vmcnt(2)
	v_pk_fma_f32 v[84:85], v[24:25], v[76:77], v[84:85] op_sel_hi:[1,0,1]
	v_pk_fma_f32 v[90:91], v[32:33], v[76:77], v[90:91] op_sel_hi:[1,0,1]
	;; [unrolled: 1-line block ×4, first 2 shown]
	v_pk_fma_f32 v[24:25], v[24:25], v[76:77], v[84:85] op_sel:[1,1,0] op_sel_hi:[0,1,1] neg_lo:[1,0,0]
	v_pk_fma_f32 v[32:33], v[32:33], v[76:77], v[90:91] op_sel:[1,1,0] op_sel_hi:[0,1,1] neg_lo:[1,0,0]
	;; [unrolled: 1-line block ×4, first 2 shown]
	v_pk_fma_f32 v[24:25], v[26:27], v[78:79], v[24:25] op_sel_hi:[1,0,1]
	v_pk_fma_f32 v[32:33], v[34:35], v[78:79], v[32:33] op_sel_hi:[1,0,1]
	;; [unrolled: 1-line block ×4, first 2 shown]
	v_mov_b32_e32 v70, v79
	v_pk_fma_f32 v[24:25], v[86:87], v[70:71], v[24:25] op_sel_hi:[1,0,1]
	v_pk_fma_f32 v[32:33], v[92:93], v[70:71], v[32:33] op_sel_hi:[1,0,1]
	;; [unrolled: 1-line block ×4, first 2 shown]
	s_waitcnt vmcnt(1)
	v_pk_fma_f32 v[24:25], v[12:13], v[66:67], v[24:25] op_sel_hi:[1,0,1]
	v_pk_fma_f32 v[32:33], v[4:5], v[66:67], v[32:33] op_sel_hi:[1,0,1]
	;; [unrolled: 1-line block ×4, first 2 shown]
	v_pk_fma_f32 v[12:13], v[12:13], v[66:67], v[24:25] op_sel:[1,1,0] op_sel_hi:[0,1,1] neg_lo:[1,0,0]
	v_pk_fma_f32 v[4:5], v[4:5], v[66:67], v[32:33] op_sel:[1,1,0] op_sel_hi:[0,1,1] neg_lo:[1,0,0]
	;; [unrolled: 1-line block ×4, first 2 shown]
	v_xor_b32_e32 v84, 0x80000000, v7
	v_mov_b32_e32 v85, v6
	v_xor_b32_e32 v90, 0x80000000, v47
	v_mov_b32_e32 v91, v46
	v_xor_b32_e32 v80, 0x80000000, v39
	v_mov_b32_e32 v81, v38
	v_mov_b32_e32 v76, v69
	v_pk_fma_f32 v[12:13], v[14:15], v[68:69], v[12:13] op_sel_hi:[1,0,1]
	v_pk_fma_f32 v[4:5], v[6:7], v[68:69], v[4:5] op_sel_hi:[1,0,1]
	v_pk_fma_f32 v[6:7], v[46:47], v[68:69], v[20:21] op_sel_hi:[1,0,1]
	v_pk_fma_f32 v[14:15], v[38:39], v[68:69], v[16:17] op_sel_hi:[1,0,1]
	v_pk_fma_f32 v[12:13], v[88:89], v[76:77], v[12:13] op_sel_hi:[1,0,1]
	v_pk_fma_f32 v[4:5], v[84:85], v[76:77], v[4:5] op_sel_hi:[1,0,1]
	v_pk_fma_f32 v[6:7], v[90:91], v[76:77], v[6:7] op_sel_hi:[1,0,1]
	v_pk_fma_f32 v[14:15], v[80:81], v[76:77], v[14:15] op_sel_hi:[1,0,1]
	s_waitcnt vmcnt(0)
	v_pk_fma_f32 v[12:13], v[8:9], v[48:49], v[12:13] op_sel_hi:[1,0,1]
	v_pk_fma_f32 v[4:5], v[0:1], v[48:49], v[4:5] op_sel_hi:[1,0,1]
	v_pk_fma_f32 v[6:7], v[40:41], v[48:49], v[6:7] op_sel_hi:[1,0,1]
	v_pk_fma_f32 v[14:15], v[28:29], v[48:49], v[14:15] op_sel_hi:[1,0,1]
	v_pk_fma_f32 v[8:9], v[8:9], v[48:49], v[12:13] op_sel:[1,1,0] op_sel_hi:[0,1,1] neg_lo:[1,0,0]
	v_pk_fma_f32 v[0:1], v[0:1], v[48:49], v[4:5] op_sel:[1,1,0] op_sel_hi:[0,1,1] neg_lo:[1,0,0]
	;; [unrolled: 1-line block ×4, first 2 shown]
	v_xor_b32_e32 v26, 0x80000000, v11
	v_mov_b32_e32 v27, v10
	v_xor_b32_e32 v34, 0x80000000, v3
	v_mov_b32_e32 v35, v2
	;; [unrolled: 2-line block ×4, first 2 shown]
	v_mov_b32_e32 v78, v51
	v_pk_fma_f32 v[8:9], v[10:11], v[50:51], v[8:9] op_sel_hi:[1,0,1]
	v_pk_fma_f32 v[0:1], v[2:3], v[50:51], v[0:1] op_sel_hi:[1,0,1]
	;; [unrolled: 1-line block ×8, first 2 shown]
	s_andn2_b64 exec, exec, s[20:21]
	s_cbranch_execnz .LBB13_27
; %bb.28:
	s_or_b64 exec, exec, s[20:21]
.LBB13_29:
	s_or_b64 exec, exec, s[18:19]
.LBB13_30:
	s_or_b64 exec, exec, s[14:15]
	s_cbranch_execz .LBB13_32
	s_branch .LBB13_43
.LBB13_31:
                                        ; implicit-def: $vgpr43
                                        ; implicit-def: $vgpr33
                                        ; implicit-def: $vgpr35
                                        ; implicit-def: $vgpr41
.LBB13_32:
	s_mov_b32 s6, 0
	v_mov_b32_e32 v43, 0
	v_mov_b32_e32 v42, 0
	v_mov_b32_e32 v33, 0
	v_mov_b32_e32 v32, 0
	v_mov_b32_e32 v35, 0
	v_mov_b32_e32 v34, 0
	v_mov_b32_e32 v41, 0
	v_mov_b32_e32 v40, 0
	s_and_saveexec_b64 s[2:3], s[0:1]
	s_cbranch_execz .LBB13_42
; %bb.33:
	v_add_u32_e32 v0, v73, v57
	v_subrev_u32_e32 v0, s16, v0
	v_add_u32_e32 v0, 32, v0
	v_max_i32_e32 v0, v0, v72
	v_not_b32_e32 v1, v73
	v_add3_u32 v0, v0, s16, v1
	v_sub_u32_e32 v0, v0, v57
	v_lshrrev_b32_e32 v1, 5, v0
	v_add_u32_e32 v1, 1, v1
	v_and_b32_e32 v1, 3, v1
	s_mov_b32 s7, s6
	v_cmp_ne_u32_e32 vcc, 0, v1
	v_pk_mov_b32 v[42:43], s[6:7], s[6:7] op_sel:[0,1]
	v_pk_mov_b32 v[32:33], s[6:7], s[6:7] op_sel:[0,1]
	;; [unrolled: 1-line block ×4, first 2 shown]
	s_and_saveexec_b64 s[0:1], vcc
	s_cbranch_execz .LBB13_37
; %bb.34:
	v_mov_b32_e32 v40, 0
	v_lshlrev_b32_e32 v1, 7, v1
	s_mov_b64 s[6:7], 0
	v_mov_b32_e32 v2, s13
	s_waitcnt lgkmcnt(0)
	v_mov_b32_e32 v3, s11
	s_movk_i32 s8, 0x1000
	v_mov_b32_e32 v41, v40
	v_mov_b32_e32 v34, v40
	;; [unrolled: 1-line block ×7, first 2 shown]
.LBB13_35:                              ; =>This Inner Loop Header: Depth=1
	v_ashrrev_i32_e32 v59, 31, v58
	v_lshlrev_b64 v[4:5], 2, v[58:59]
	v_add_co_u32_e32 v36, vcc, s12, v4
	v_addc_co_u32_e32 v37, vcc, v2, v5, vcc
	global_load_dword v38, v[36:37], off
	global_load_dwordx4 v[4:7], v[60:61], off offset:48
	global_load_dwordx4 v[8:11], v[60:61], off offset:32
	;; [unrolled: 1-line block ×3, first 2 shown]
	global_load_dwordx4 v[16:19], v[60:61], off
	global_load_dwordx4 v[20:23], v[60:61], off offset:96
	global_load_dwordx4 v[24:27], v[60:61], off offset:80
	global_load_dwordx4 v[28:31], v[60:61], off offset:64
	v_add_u32_e32 v1, 0xffffff80, v1
	v_add_u32_e32 v58, 32, v58
	s_waitcnt vmcnt(7)
	v_subrev_u32_e32 v36, s16, v38
	v_lshlrev_b32_e32 v36, 2, v36
	v_ashrrev_i32_e32 v37, 31, v36
	v_lshlrev_b64 v[36:37], 3, v[36:37]
	v_add_co_u32_e32 v62, vcc, s10, v36
	v_addc_co_u32_e32 v63, vcc, v3, v37, vcc
	global_load_dwordx4 v[36:39], v[62:63], off
	global_load_dwordx4 v[44:47], v[62:63], off offset:16
	global_load_dwordx4 v[48:51], v[60:61], off offset:112
	s_waitcnt vmcnt(6)
	v_xor_b32_e32 v62, 0x80000000, v19
	v_mov_b32_e32 v63, v18
	v_xor_b32_e32 v70, 0x80000000, v15
	v_mov_b32_e32 v71, v14
	;; [unrolled: 2-line block ×4, first 2 shown]
	v_add_co_u32_e32 v60, vcc, s8, v60
	s_waitcnt vmcnt(3)
	v_xor_b32_e32 v66, 0x80000000, v31
	v_mov_b32_e32 v67, v30
	v_xor_b32_e32 v76, 0x80000000, v27
	v_mov_b32_e32 v77, v26
	v_addc_co_u32_e32 v61, vcc, 0, v61, vcc
	v_cmp_eq_u32_e32 vcc, 0, v1
	v_xor_b32_e32 v68, 0x80000000, v23
	v_mov_b32_e32 v69, v22
	s_or_b64 s[6:7], vcc, s[6:7]
	s_waitcnt vmcnt(2)
	v_pk_fma_f32 v[42:43], v[16:17], v[36:37], v[42:43] op_sel_hi:[1,0,1]
	v_pk_fma_f32 v[18:19], v[18:19], v[36:37], v[40:41] op_sel_hi:[1,0,1]
	;; [unrolled: 1-line block ×4, first 2 shown]
	v_pk_fma_f32 v[16:17], v[16:17], v[36:37], v[42:43] op_sel:[1,1,0] op_sel_hi:[0,1,1] neg_lo:[1,0,0]
	v_pk_fma_f32 v[12:13], v[12:13], v[36:37], v[34:35] op_sel:[1,1,0] op_sel_hi:[0,1,1] neg_lo:[1,0,0]
	v_pk_fma_f32 v[18:19], v[62:63], v[36:37], v[18:19] op_sel:[0,1,0]
	v_pk_fma_f32 v[14:15], v[70:71], v[36:37], v[14:15] op_sel:[0,1,0]
	v_mov_b32_e32 v32, v39
	v_pk_fma_f32 v[16:17], v[8:9], v[38:39], v[16:17] op_sel_hi:[1,0,1]
	v_pk_fma_f32 v[10:11], v[10:11], v[38:39], v[18:19] op_sel_hi:[1,0,1]
	;; [unrolled: 1-line block ×4, first 2 shown]
	v_pk_fma_f32 v[8:9], v[8:9], v[32:33], v[16:17] op_sel:[1,0,0] op_sel_hi:[0,0,1] neg_lo:[1,0,0]
	v_pk_fma_f32 v[10:11], v[64:65], v[32:33], v[10:11] op_sel_hi:[1,0,1]
	v_pk_fma_f32 v[4:5], v[4:5], v[32:33], v[12:13] op_sel:[1,0,0] op_sel_hi:[0,0,1] neg_lo:[1,0,0]
	v_pk_fma_f32 v[6:7], v[74:75], v[32:33], v[6:7] op_sel_hi:[1,0,1]
	s_waitcnt vmcnt(1)
	v_pk_fma_f32 v[8:9], v[28:29], v[44:45], v[8:9] op_sel_hi:[1,0,1]
	v_pk_fma_f32 v[10:11], v[30:31], v[44:45], v[10:11] op_sel_hi:[1,0,1]
	;; [unrolled: 1-line block ×4, first 2 shown]
	v_pk_fma_f32 v[8:9], v[28:29], v[44:45], v[8:9] op_sel:[1,1,0] op_sel_hi:[0,1,1] neg_lo:[1,0,0]
	v_pk_fma_f32 v[10:11], v[66:67], v[44:45], v[10:11] op_sel:[0,1,0]
	v_pk_fma_f32 v[4:5], v[24:25], v[44:45], v[4:5] op_sel:[1,1,0] op_sel_hi:[0,1,1] neg_lo:[1,0,0]
	v_pk_fma_f32 v[6:7], v[76:77], v[44:45], v[6:7] op_sel:[0,1,0]
	s_waitcnt vmcnt(0)
	v_xor_b32_e32 v78, 0x80000000, v51
	v_mov_b32_e32 v79, v50
	v_mov_b32_e32 v80, v47
	v_pk_fma_f32 v[8:9], v[20:21], v[46:47], v[8:9] op_sel_hi:[1,0,1]
	v_pk_fma_f32 v[10:11], v[22:23], v[46:47], v[10:11] op_sel_hi:[1,0,1]
	;; [unrolled: 1-line block ×4, first 2 shown]
	v_pk_fma_f32 v[42:43], v[20:21], v[80:81], v[8:9] op_sel:[1,0,0] op_sel_hi:[0,0,1] neg_lo:[1,0,0]
	v_pk_fma_f32 v[40:41], v[68:69], v[80:81], v[10:11] op_sel_hi:[1,0,1]
	v_pk_fma_f32 v[34:35], v[48:49], v[80:81], v[4:5] op_sel:[1,0,0] op_sel_hi:[0,0,1] neg_lo:[1,0,0]
	v_pk_fma_f32 v[32:33], v[78:79], v[80:81], v[6:7] op_sel_hi:[1,0,1]
	s_andn2_b64 exec, exec, s[6:7]
	s_cbranch_execnz .LBB13_35
; %bb.36:
	s_or_b64 exec, exec, s[6:7]
.LBB13_37:
	s_or_b64 exec, exec, s[0:1]
	s_movk_i32 s0, 0x5f
	v_cmp_lt_u32_e32 vcc, s0, v0
	s_and_saveexec_b64 s[6:7], vcc
	s_cbranch_execz .LBB13_41
; %bb.38:
	s_mov_b64 s[8:9], 0
	v_mov_b32_e32 v46, s13
	s_waitcnt lgkmcnt(0)
	v_mov_b32_e32 v47, s11
	s_movk_i32 s11, 0x1000
	s_movk_i32 s13, 0x2000
	;; [unrolled: 1-line block ×3, first 2 shown]
.LBB13_39:                              ; =>This Inner Loop Header: Depth=1
	v_ashrrev_i32_e32 v59, 31, v58
	v_add_co_u32_e32 v38, vcc, s11, v60
	v_lshlrev_b64 v[70:71], 2, v[58:59]
	v_addc_co_u32_e32 v39, vcc, 0, v61, vcc
	v_add_co_u32_e64 v70, s[0:1], s12, v70
	v_add_co_u32_e32 v36, vcc, s13, v60
	v_addc_co_u32_e64 v71, s[0:1], v46, v71, s[0:1]
	global_load_dwordx4 v[4:7], v[60:61], off offset:48
	global_load_dwordx4 v[12:15], v[60:61], off offset:32
	;; [unrolled: 1-line block ×3, first 2 shown]
	global_load_dwordx4 v[28:31], v[60:61], off
	global_load_dwordx4 v[0:3], v[60:61], off offset:112
	global_load_dwordx4 v[8:11], v[60:61], off offset:96
	;; [unrolled: 1-line block ×4, first 2 shown]
	v_addc_co_u32_e32 v37, vcc, 0, v61, vcc
	global_load_dwordx4 v[48:51], v[38:39], off offset:32
	global_load_dwordx4 v[62:65], v[38:39], off offset:16
	;; [unrolled: 1-line block ×5, first 2 shown]
	global_load_dwordx4 v[82:85], v[36:37], off offset:-4096
	global_load_dword v59, v[70:71], off
	global_load_dword v73, v[70:71], off offset:128
	global_load_dword v100, v[70:71], off offset:256
	;; [unrolled: 1-line block ×3, first 2 shown]
	v_add_co_u32_e32 v44, vcc, s14, v60
	v_addc_co_u32_e32 v45, vcc, 0, v61, vcc
	v_add_co_u32_e32 v60, vcc, 0x4000, v60
	v_add_u32_e32 v58, 0x80, v58
	v_addc_co_u32_e32 v61, vcc, 0, v61, vcc
	v_cmp_ge_i32_e32 vcc, v58, v72
	s_or_b64 s[8:9], vcc, s[8:9]
	s_waitcnt vmcnt(14)
	v_xor_b32_e32 v70, 0x80000000, v31
	v_mov_b32_e32 v71, v30
	s_waitcnt vmcnt(3)
	v_subrev_u32_e32 v59, s16, v59
	v_lshlrev_b32_e32 v86, 2, v59
	v_ashrrev_i32_e32 v87, 31, v86
	v_lshlrev_b64 v[86:87], 3, v[86:87]
	v_add_co_u32_e64 v94, s[0:1], s10, v86
	v_addc_co_u32_e64 v95, s[0:1], v47, v87, s[0:1]
	global_load_dwordx4 v[86:89], v[94:95], off
	global_load_dwordx4 v[90:93], v[94:95], off offset:16
	v_xor_b32_e32 v98, 0x80000000, v85
	v_mov_b32_e32 v99, v84
	s_waitcnt vmcnt(3)
	v_subrev_u32_e32 v59, s16, v100
	s_waitcnt vmcnt(1)
	v_pk_fma_f32 v[42:43], v[28:29], v[86:87], v[42:43] op_sel_hi:[1,0,1]
	v_pk_fma_f32 v[94:95], v[30:31], v[86:87], v[40:41] op_sel_hi:[1,0,1]
	v_pk_fma_f32 v[96:97], v[28:29], v[86:87], v[42:43] op_sel:[1,1,0] op_sel_hi:[0,1,1] neg_lo:[1,0,0]
	global_load_dwordx4 v[28:31], v[38:39], off offset:48
	global_load_dwordx4 v[40:43], v[38:39], off offset:64
	v_pk_fma_f32 v[38:39], v[70:71], v[86:87], v[94:95] op_sel:[0,1,0]
	v_xor_b32_e32 v70, 0x80000000, v23
	v_mov_b32_e32 v71, v22
	v_pk_fma_f32 v[34:35], v[20:21], v[86:87], v[34:35] op_sel_hi:[1,0,1]
	v_pk_fma_f32 v[32:33], v[22:23], v[86:87], v[32:33] op_sel_hi:[1,0,1]
	v_pk_fma_f32 v[34:35], v[20:21], v[86:87], v[34:35] op_sel:[1,1,0] op_sel_hi:[0,1,1] neg_lo:[1,0,0]
	v_pk_fma_f32 v[32:33], v[70:71], v[86:87], v[32:33] op_sel:[0,1,0]
	v_xor_b32_e32 v70, 0x80000000, v15
	v_mov_b32_e32 v71, v14
	v_pk_fma_f32 v[86:87], v[12:13], v[88:89], v[96:97] op_sel_hi:[1,0,1]
	v_pk_fma_f32 v[38:39], v[14:15], v[88:89], v[38:39] op_sel_hi:[1,0,1]
	;; [unrolled: 1-line block ×4, first 2 shown]
	v_mov_b32_e32 v88, v89
	v_xor_b32_e32 v94, 0x80000000, v7
	v_mov_b32_e32 v95, v6
	v_pk_fma_f32 v[38:39], v[70:71], v[88:89], v[38:39] op_sel_hi:[1,0,1]
	v_pk_fma_f32 v[86:87], v[12:13], v[88:89], v[86:87] op_sel:[1,0,0] op_sel_hi:[0,0,1] neg_lo:[1,0,0]
	v_pk_fma_f32 v[96:97], v[4:5], v[88:89], v[34:35] op_sel:[1,0,0] op_sel_hi:[0,0,1] neg_lo:[1,0,0]
	v_pk_fma_f32 v[70:71], v[94:95], v[88:89], v[32:33] op_sel_hi:[1,0,1]
	v_xor_b32_e32 v88, 0x80000000, v27
	v_mov_b32_e32 v89, v26
	s_waitcnt vmcnt(2)
	v_pk_fma_f32 v[38:39], v[26:27], v[90:91], v[38:39] op_sel_hi:[1,0,1]
	v_pk_fma_f32 v[86:87], v[24:25], v[90:91], v[86:87] op_sel_hi:[1,0,1]
	v_pk_fma_f32 v[38:39], v[88:89], v[90:91], v[38:39] op_sel:[0,1,0]
	v_xor_b32_e32 v88, 0x80000000, v19
	v_mov_b32_e32 v89, v18
	v_pk_fma_f32 v[94:95], v[16:17], v[90:91], v[96:97] op_sel_hi:[1,0,1]
	v_pk_fma_f32 v[70:71], v[18:19], v[90:91], v[70:71] op_sel_hi:[1,0,1]
	v_pk_fma_f32 v[86:87], v[24:25], v[90:91], v[86:87] op_sel:[1,1,0] op_sel_hi:[0,1,1] neg_lo:[1,0,0]
	v_pk_fma_f32 v[94:95], v[16:17], v[90:91], v[94:95] op_sel:[1,1,0] op_sel_hi:[0,1,1] neg_lo:[1,0,0]
	v_pk_fma_f32 v[70:71], v[88:89], v[90:91], v[70:71] op_sel:[0,1,0]
	v_pk_fma_f32 v[86:87], v[8:9], v[92:93], v[86:87] op_sel_hi:[1,0,1]
	v_pk_fma_f32 v[38:39], v[10:11], v[92:93], v[38:39] op_sel_hi:[1,0,1]
	;; [unrolled: 1-line block ×4, first 2 shown]
	v_mov_b32_e32 v92, v93
	v_pk_fma_f32 v[94:95], v[8:9], v[92:93], v[86:87] op_sel:[1,0,0] op_sel_hi:[0,0,1] neg_lo:[1,0,0]
	v_mov_b32_e32 v87, v2
	v_subrev_u32_e32 v2, s16, v73
	v_pk_fma_f32 v[90:91], v[0:1], v[92:93], v[90:91] op_sel:[1,0,0] op_sel_hi:[0,0,1] neg_lo:[1,0,0]
	v_lshlrev_b32_e32 v0, 2, v2
	v_ashrrev_i32_e32 v1, 31, v0
	v_lshlrev_b64 v[0:1], 3, v[0:1]
	v_add_co_u32_e64 v96, s[0:1], s10, v0
	v_xor_b32_e32 v88, 0x80000000, v11
	v_mov_b32_e32 v89, v10
	v_xor_b32_e32 v86, 0x80000000, v3
	v_addc_co_u32_e64 v97, s[0:1], v47, v1, s[0:1]
	global_load_dwordx4 v[20:23], v[36:37], off
	global_load_dwordx4 v[4:7], v[36:37], off offset:16
	global_load_dwordx4 v[12:15], v[36:37], off offset:32
	;; [unrolled: 1-line block ×6, first 2 shown]
	v_pk_fma_f32 v[38:39], v[88:89], v[92:93], v[38:39] op_sel_hi:[1,0,1]
	v_pk_fma_f32 v[70:71], v[86:87], v[92:93], v[70:71] op_sel_hi:[1,0,1]
	global_load_dwordx4 v[0:3], v[96:97], off
	global_load_dwordx4 v[86:89], v[96:97], off offset:16
	s_waitcnt vmcnt(7)
	v_xor_b32_e32 v102, 0x80000000, v7
	v_mov_b32_e32 v103, v6
	s_waitcnt vmcnt(1)
	v_pk_fma_f32 v[92:93], v[82:83], v[0:1], v[94:95] op_sel_hi:[1,0,1]
	v_pk_fma_f32 v[84:85], v[84:85], v[0:1], v[38:39] op_sel_hi:[1,0,1]
	v_pk_fma_f32 v[92:93], v[82:83], v[0:1], v[92:93] op_sel:[1,1,0] op_sel_hi:[0,1,1] neg_lo:[1,0,0]
	v_xor_b32_e32 v82, 0x80000000, v65
	v_mov_b32_e32 v83, v64
	v_pk_fma_f32 v[90:91], v[62:63], v[0:1], v[90:91] op_sel_hi:[1,0,1]
	v_pk_fma_f32 v[70:71], v[64:65], v[0:1], v[70:71] op_sel_hi:[1,0,1]
	v_pk_fma_f32 v[90:91], v[62:63], v[0:1], v[90:91] op_sel:[1,1,0] op_sel_hi:[0,1,1] neg_lo:[1,0,0]
	v_pk_fma_f32 v[94:95], v[98:99], v[0:1], v[84:85] op_sel:[0,1,0]
	v_pk_fma_f32 v[0:1], v[82:83], v[0:1], v[70:71] op_sel:[0,1,0]
	v_pk_fma_f32 v[70:71], v[48:49], v[2:3], v[92:93] op_sel_hi:[1,0,1]
	v_mov_b32_e32 v96, v3
	v_pk_fma_f32 v[92:93], v[50:51], v[2:3], v[94:95] op_sel_hi:[1,0,1]
	v_pk_fma_f32 v[90:91], v[28:29], v[2:3], v[90:91] op_sel_hi:[1,0,1]
	;; [unrolled: 1-line block ×3, first 2 shown]
	v_xor_b32_e32 v98, 0x80000000, v51
	v_mov_b32_e32 v99, v50
	v_pk_fma_f32 v[48:49], v[48:49], v[96:97], v[70:71] op_sel:[1,0,0] op_sel_hi:[0,0,1] neg_lo:[1,0,0]
	v_xor_b32_e32 v50, 0x80000000, v31
	v_mov_b32_e32 v51, v30
	v_pk_fma_f32 v[70:71], v[28:29], v[96:97], v[90:91] op_sel:[1,0,0] op_sel_hi:[0,0,1] neg_lo:[1,0,0]
	v_pk_fma_f32 v[90:91], v[98:99], v[96:97], v[92:93] op_sel_hi:[1,0,1]
	v_pk_fma_f32 v[50:51], v[50:51], v[96:97], v[94:95] op_sel_hi:[1,0,1]
	s_waitcnt vmcnt(0)
	v_pk_fma_f32 v[48:49], v[40:41], v[86:87], v[48:49] op_sel_hi:[1,0,1]
	v_xor_b32_e32 v92, 0x80000000, v43
	v_mov_b32_e32 v93, v42
	v_pk_fma_f32 v[90:91], v[42:43], v[86:87], v[90:91] op_sel_hi:[1,0,1]
	v_pk_fma_f32 v[94:95], v[40:41], v[86:87], v[48:49] op_sel:[1,1,0] op_sel_hi:[0,1,1] neg_lo:[1,0,0]
	v_xor_b32_e32 v96, 0x80000000, v81
	v_mov_b32_e32 v97, v80
	v_pk_fma_f32 v[48:49], v[78:79], v[86:87], v[70:71] op_sel_hi:[1,0,1]
	v_pk_fma_f32 v[70:71], v[80:81], v[86:87], v[50:51] op_sel_hi:[1,0,1]
	v_pk_fma_f32 v[98:99], v[78:79], v[86:87], v[48:49] op_sel:[1,1,0] op_sel_hi:[0,1,1] neg_lo:[1,0,0]
	v_pk_fma_f32 v[90:91], v[92:93], v[86:87], v[90:91] op_sel:[0,1,0]
	v_pk_fma_f32 v[70:71], v[96:97], v[86:87], v[70:71] op_sel:[0,1,0]
	v_pk_fma_f32 v[86:87], v[74:75], v[88:89], v[94:95] op_sel_hi:[1,0,1]
	v_pk_fma_f32 v[90:91], v[76:77], v[88:89], v[90:91] op_sel_hi:[1,0,1]
	;; [unrolled: 1-line block ×4, first 2 shown]
	v_mov_b32_e32 v88, v89
	v_pk_fma_f32 v[92:93], v[66:67], v[88:89], v[92:93] op_sel:[1,0,0] op_sel_hi:[0,0,1] neg_lo:[1,0,0]
	v_lshlrev_b32_e32 v66, 2, v59
	v_ashrrev_i32_e32 v67, 31, v66
	v_lshlrev_b64 v[66:67], 3, v[66:67]
	v_add_co_u32_e32 v100, vcc, s10, v66
	global_load_dwordx4 v[36:39], v[36:37], off offset:64
	v_xor_b32_e32 v94, 0x80000000, v77
	global_load_dwordx4 v[0:3], v[44:45], off
	global_load_dwordx4 v[62:65], v[44:45], off offset:48
	global_load_dwordx4 v[48:51], v[44:45], off offset:64
	;; [unrolled: 1-line block ×6, first 2 shown]
	v_mov_b32_e32 v95, v76
	v_pk_fma_f32 v[96:97], v[74:75], v[88:89], v[86:87] op_sel:[1,0,0] op_sel_hi:[0,0,1] neg_lo:[1,0,0]
	global_load_dwordx4 v[74:77], v[44:45], off offset:112
	v_xor_b32_e32 v44, 0x80000000, v69
	v_mov_b32_e32 v45, v68
	v_addc_co_u32_e32 v101, vcc, v47, v67, vcc
	v_pk_fma_f32 v[90:91], v[94:95], v[88:89], v[90:91] op_sel_hi:[1,0,1]
	v_pk_fma_f32 v[44:45], v[44:45], v[88:89], v[70:71] op_sel_hi:[1,0,1]
	global_load_dwordx4 v[66:69], v[100:101], off
	global_load_dwordx4 v[86:89], v[100:101], off offset:16
	v_subrev_u32_e32 v59, s16, v104
	v_xor_b32_e32 v98, 0x80000000, v23
	v_mov_b32_e32 v99, v22
	s_waitcnt vmcnt(1)
	v_pk_fma_f32 v[70:71], v[20:21], v[66:67], v[96:97] op_sel_hi:[1,0,1]
	v_pk_fma_f32 v[70:71], v[20:21], v[66:67], v[70:71] op_sel:[1,1,0] op_sel_hi:[0,1,1] neg_lo:[1,0,0]
	v_lshlrev_b32_e32 v20, 2, v59
	v_ashrrev_i32_e32 v21, 31, v20
	v_lshlrev_b64 v[20:21], 3, v[20:21]
	v_add_co_u32_e32 v20, vcc, s10, v20
	v_addc_co_u32_e32 v21, vcc, v47, v21, vcc
	v_pk_fma_f32 v[92:93], v[4:5], v[66:67], v[92:93] op_sel_hi:[1,0,1]
	v_pk_fma_f32 v[44:45], v[6:7], v[66:67], v[44:45] op_sel_hi:[1,0,1]
	v_pk_fma_f32 v[92:93], v[4:5], v[66:67], v[92:93] op_sel:[1,1,0] op_sel_hi:[0,1,1] neg_lo:[1,0,0]
	global_load_dwordx4 v[4:7], v[20:21], off
	v_pk_fma_f32 v[22:23], v[22:23], v[66:67], v[90:91] op_sel_hi:[1,0,1]
	v_pk_fma_f32 v[94:95], v[98:99], v[66:67], v[22:23] op_sel:[0,1,0]
	global_load_dwordx4 v[20:23], v[20:21], off offset:16
	v_pk_fma_f32 v[44:45], v[102:103], v[66:67], v[44:45] op_sel:[0,1,0]
	v_xor_b32_e32 v90, 0x80000000, v15
	v_mov_b32_e32 v91, v14
	v_pk_fma_f32 v[70:71], v[12:13], v[68:69], v[70:71] op_sel_hi:[1,0,1]
	v_pk_fma_f32 v[14:15], v[14:15], v[68:69], v[94:95] op_sel_hi:[1,0,1]
	;; [unrolled: 1-line block ×4, first 2 shown]
	v_mov_b32_e32 v68, v69
	v_xor_b32_e32 v94, 0x80000000, v11
	v_mov_b32_e32 v95, v10
	v_pk_fma_f32 v[10:11], v[12:13], v[68:69], v[70:71] op_sel:[1,0,0] op_sel_hi:[0,0,1] neg_lo:[1,0,0]
	v_pk_fma_f32 v[8:9], v[8:9], v[68:69], v[92:93] op_sel:[1,0,0] op_sel_hi:[0,0,1] neg_lo:[1,0,0]
	v_pk_fma_f32 v[14:15], v[90:91], v[68:69], v[14:15] op_sel_hi:[1,0,1]
	v_pk_fma_f32 v[44:45], v[94:95], v[68:69], v[44:45] op_sel_hi:[1,0,1]
	v_xor_b32_e32 v66, 0x80000000, v39
	v_mov_b32_e32 v67, v38
	v_xor_b32_e32 v12, 0x80000000, v19
	v_mov_b32_e32 v13, v18
	s_waitcnt vmcnt(2)
	v_pk_fma_f32 v[10:11], v[36:37], v[86:87], v[10:11] op_sel_hi:[1,0,1]
	v_pk_fma_f32 v[14:15], v[38:39], v[86:87], v[14:15] op_sel_hi:[1,0,1]
	;; [unrolled: 1-line block ×4, first 2 shown]
	v_pk_fma_f32 v[10:11], v[36:37], v[86:87], v[10:11] op_sel:[1,1,0] op_sel_hi:[0,1,1] neg_lo:[1,0,0]
	v_pk_fma_f32 v[8:9], v[16:17], v[86:87], v[8:9] op_sel:[1,1,0] op_sel_hi:[0,1,1] neg_lo:[1,0,0]
	v_pk_fma_f32 v[14:15], v[66:67], v[86:87], v[14:15] op_sel:[0,1,0]
	v_pk_fma_f32 v[12:13], v[12:13], v[86:87], v[18:19] op_sel:[0,1,0]
	v_xor_b32_e32 v70, 0x80000000, v27
	v_mov_b32_e32 v71, v26
	v_xor_b32_e32 v92, 0x80000000, v35
	v_mov_b32_e32 v93, v34
	v_mov_b32_e32 v66, v89
	v_pk_fma_f32 v[10:11], v[24:25], v[88:89], v[10:11] op_sel_hi:[1,0,1]
	v_pk_fma_f32 v[14:15], v[26:27], v[88:89], v[14:15] op_sel_hi:[1,0,1]
	;; [unrolled: 1-line block ×4, first 2 shown]
	v_pk_fma_f32 v[10:11], v[24:25], v[66:67], v[10:11] op_sel:[1,0,0] op_sel_hi:[0,0,1] neg_lo:[1,0,0]
	v_pk_fma_f32 v[8:9], v[32:33], v[66:67], v[8:9] op_sel:[1,0,0] op_sel_hi:[0,0,1] neg_lo:[1,0,0]
	v_pk_fma_f32 v[14:15], v[70:71], v[66:67], v[14:15] op_sel_hi:[1,0,1]
	v_pk_fma_f32 v[12:13], v[92:93], v[66:67], v[12:13] op_sel_hi:[1,0,1]
	v_xor_b32_e32 v96, 0x80000000, v3
	v_mov_b32_e32 v97, v2
	v_xor_b32_e32 v36, 0x80000000, v31
	v_mov_b32_e32 v37, v30
	;; [unrolled: 2-line block ×8, first 2 shown]
	s_waitcnt vmcnt(1)
	v_pk_fma_f32 v[10:11], v[0:1], v[4:5], v[10:11] op_sel_hi:[1,0,1]
	v_pk_fma_f32 v[2:3], v[2:3], v[4:5], v[14:15] op_sel_hi:[1,0,1]
	;; [unrolled: 1-line block ×4, first 2 shown]
	v_pk_fma_f32 v[0:1], v[0:1], v[4:5], v[10:11] op_sel:[1,1,0] op_sel_hi:[0,1,1] neg_lo:[1,0,0]
	v_pk_fma_f32 v[2:3], v[96:97], v[4:5], v[2:3] op_sel:[0,1,0]
	v_pk_fma_f32 v[8:9], v[28:29], v[4:5], v[8:9] op_sel:[1,1,0] op_sel_hi:[0,1,1] neg_lo:[1,0,0]
	v_pk_fma_f32 v[4:5], v[36:37], v[4:5], v[12:13] op_sel:[0,1,0]
	v_mov_b32_e32 v18, v7
	v_pk_fma_f32 v[0:1], v[82:83], v[6:7], v[0:1] op_sel_hi:[1,0,1]
	v_pk_fma_f32 v[2:3], v[84:85], v[6:7], v[2:3] op_sel_hi:[1,0,1]
	;; [unrolled: 1-line block ×4, first 2 shown]
	v_pk_fma_f32 v[0:1], v[82:83], v[18:19], v[0:1] op_sel:[1,0,0] op_sel_hi:[0,0,1] neg_lo:[1,0,0]
	v_pk_fma_f32 v[2:3], v[90:91], v[18:19], v[2:3] op_sel_hi:[1,0,1]
	v_pk_fma_f32 v[6:7], v[62:63], v[18:19], v[8:9] op_sel:[1,0,0] op_sel_hi:[0,0,1] neg_lo:[1,0,0]
	v_pk_fma_f32 v[4:5], v[38:39], v[18:19], v[4:5] op_sel_hi:[1,0,1]
	s_waitcnt vmcnt(0)
	v_pk_fma_f32 v[0:1], v[48:49], v[20:21], v[0:1] op_sel_hi:[1,0,1]
	v_pk_fma_f32 v[2:3], v[50:51], v[20:21], v[2:3] op_sel_hi:[1,0,1]
	;; [unrolled: 1-line block ×4, first 2 shown]
	v_pk_fma_f32 v[0:1], v[48:49], v[20:21], v[0:1] op_sel:[1,1,0] op_sel_hi:[0,1,1] neg_lo:[1,0,0]
	v_pk_fma_f32 v[2:3], v[68:69], v[20:21], v[2:3] op_sel:[0,1,0]
	v_pk_fma_f32 v[6:7], v[40:41], v[20:21], v[6:7] op_sel:[1,1,0] op_sel_hi:[0,1,1] neg_lo:[1,0,0]
	v_pk_fma_f32 v[4:5], v[16:17], v[20:21], v[4:5] op_sel:[0,1,0]
	v_mov_b32_e32 v26, v23
	v_pk_fma_f32 v[0:1], v[78:79], v[22:23], v[0:1] op_sel_hi:[1,0,1]
	v_pk_fma_f32 v[2:3], v[80:81], v[22:23], v[2:3] op_sel_hi:[1,0,1]
	;; [unrolled: 1-line block ×4, first 2 shown]
	v_pk_fma_f32 v[42:43], v[78:79], v[26:27], v[0:1] op_sel:[1,0,0] op_sel_hi:[0,0,1] neg_lo:[1,0,0]
	v_pk_fma_f32 v[40:41], v[94:95], v[26:27], v[2:3] op_sel_hi:[1,0,1]
	v_pk_fma_f32 v[34:35], v[74:75], v[26:27], v[6:7] op_sel:[1,0,0] op_sel_hi:[0,0,1] neg_lo:[1,0,0]
	v_pk_fma_f32 v[32:33], v[44:45], v[26:27], v[4:5] op_sel_hi:[1,0,1]
	s_andn2_b64 exec, exec, s[8:9]
	s_cbranch_execnz .LBB13_39
; %bb.40:
	s_or_b64 exec, exec, s[8:9]
.LBB13_41:
	s_or_b64 exec, exec, s[6:7]
.LBB13_42:
	s_or_b64 exec, exec, s[2:3]
.LBB13_43:
	v_mov_b32_dpp v6, v41 row_shr:1 row_mask:0xf bank_mask:0xf
	v_add_f32_e32 v6, v41, v6
	v_mov_b32_dpp v0, v42 row_shr:1 row_mask:0xf bank_mask:0xf
	v_mov_b32_dpp v2, v43 row_shr:1 row_mask:0xf bank_mask:0xf
	v_mov_b32_dpp v7, v6 row_shr:2 row_mask:0xf bank_mask:0xf
	v_add_f32_e32 v6, v6, v7
	v_mov_b32_dpp v4, v40 row_shr:1 row_mask:0xf bank_mask:0xf
	v_add_f32_e32 v0, v42, v0
	v_mov_b32_dpp v7, v6 row_shr:4 row_mask:0xf bank_mask:0xe
	v_add_f32_e32 v6, v6, v7
	v_add_f32_e32 v2, v43, v2
	v_add_f32_e32 v4, v40, v4
	v_mov_b32_dpp v7, v6 row_shr:8 row_mask:0xf bank_mask:0xc
	v_add_f32_e32 v7, v6, v7
	v_mov_b32_dpp v6, v34 row_shr:1 row_mask:0xf bank_mask:0xf
	v_add_f32_e32 v6, v34, v6
	v_mov_b32_dpp v1, v0 row_shr:2 row_mask:0xf bank_mask:0xf
	v_mov_b32_dpp v3, v2 row_shr:2 row_mask:0xf bank_mask:0xf
	v_mov_b32_dpp v8, v6 row_shr:2 row_mask:0xf bank_mask:0xf
	v_add_f32_e32 v6, v6, v8
	v_mov_b32_dpp v5, v4 row_shr:2 row_mask:0xf bank_mask:0xf
	v_add_f32_e32 v0, v0, v1
	v_mov_b32_dpp v8, v6 row_shr:4 row_mask:0xf bank_mask:0xe
	v_add_f32_e32 v6, v6, v8
	v_add_f32_e32 v2, v2, v3
	v_add_f32_e32 v4, v4, v5
	v_mov_b32_dpp v8, v6 row_shr:8 row_mask:0xf bank_mask:0xc
	v_add_f32_e32 v10, v6, v8
	;; [unrolled: 14-line block ×4, first 2 shown]
	v_mov_b32_dpp v6, v33 row_shr:1 row_mask:0xf bank_mask:0xf
	v_add_f32_e32 v6, v33, v6
	v_mov_b32_dpp v1, v0 row_bcast:15 row_mask:0xa bank_mask:0xf
	v_mov_b32_dpp v3, v2 row_bcast:15 row_mask:0xa bank_mask:0xf
	v_mov_b32_dpp v8, v6 row_shr:2 row_mask:0xf bank_mask:0xf
	v_add_f32_e32 v6, v6, v8
	v_mov_b32_dpp v5, v4 row_bcast:15 row_mask:0xa bank_mask:0xf
	v_mov_b32_dpp v9, v7 row_bcast:15 row_mask:0xa bank_mask:0xf
	;; [unrolled: 4-line block ×3, first 2 shown]
	v_mov_b32_dpp v8, v6 row_shr:8 row_mask:0xf bank_mask:0xc
	v_add_f32_e32 v18, v6, v8
	v_mov_b32_dpp v17, v16 row_bcast:15 row_mask:0xa bank_mask:0xf
	v_cmp_eq_u32_e32 vcc, 31, v57
	v_mov_b32_dpp v19, v18 row_bcast:15 row_mask:0xa bank_mask:0xf
	s_and_b64 exec, exec, vcc
	s_cbranch_execz .LBB13_14
; %bb.44:
	s_load_dwordx2 s[2:3], s[4:5], 0x50
	v_add_f32_e32 v8, v0, v1
	v_and_b32_e32 v1, 0x7fffffff, v54
	v_cmp_eq_u32_e32 vcc, 0, v1
	v_cmp_eq_f32_e64 s[0:1], 0, v55
	v_add_f32_e32 v14, v2, v3
	v_add_f32_e32 v6, v4, v5
	;; [unrolled: 1-line block ×7, first 2 shown]
	s_and_b64 s[0:1], vcc, s[0:1]
	v_lshlrev_b32_e32 v16, 2, v56
	s_and_saveexec_b64 s[4:5], s[0:1]
	s_xor_b64 s[0:1], exec, s[4:5]
	s_cbranch_execz .LBB13_46
; %bb.45:
	v_xor_b32_e32 v18, 0x80000000, v53
	v_ashrrev_i32_e32 v17, 31, v16
	v_mov_b32_e32 v19, v52
	v_lshlrev_b64 v[16:17], 3, v[16:17]
	v_pk_mul_f32 v[14:15], v[14:15], v[18:19] op_sel_hi:[0,1]
	s_waitcnt lgkmcnt(0)
	v_mov_b32_e32 v1, s3
	v_add_co_u32_e32 v20, vcc, s2, v16
	v_pk_fma_f32 v[14:15], v[52:53], v[8:9], v[14:15] op_sel_hi:[1,0,1]
	v_pk_mul_f32 v[8:9], v[12:13], v[18:19] op_sel_hi:[0,1]
	v_addc_co_u32_e32 v21, vcc, v1, v17, vcc
	v_pk_fma_f32 v[16:17], v[52:53], v[6:7], v[8:9] op_sel_hi:[1,0,1]
	v_pk_mul_f32 v[6:7], v[10:11], v[18:19] op_sel_hi:[0,1]
	v_pk_mul_f32 v[4:5], v[4:5], v[18:19] op_sel_hi:[0,1]
	v_pk_fma_f32 v[2:3], v[52:53], v[2:3], v[6:7] op_sel_hi:[1,0,1]
	v_pk_fma_f32 v[4:5], v[52:53], v[0:1], v[4:5] op_sel_hi:[1,0,1]
	global_store_dwordx4 v[20:21], v[14:17], off
	global_store_dwordx4 v[20:21], v[2:5], off offset:16
                                        ; implicit-def: $vgpr53
                                        ; implicit-def: $vgpr54
                                        ; implicit-def: $vgpr8
                                        ; implicit-def: $vgpr14
                                        ; implicit-def: $vgpr6
                                        ; implicit-def: $vgpr12
                                        ; implicit-def: $vgpr2
                                        ; implicit-def: $vgpr10
                                        ; implicit-def: $vgpr0
                                        ; implicit-def: $vgpr4
                                        ; implicit-def: $vgpr16
.LBB13_46:
	s_andn2_saveexec_b64 s[0:1], s[0:1]
	s_cbranch_execz .LBB13_14
; %bb.47:
	v_ashrrev_i32_e32 v17, 31, v16
	v_lshlrev_b64 v[16:17], 3, v[16:17]
	s_waitcnt lgkmcnt(0)
	v_mov_b32_e32 v1, s3
	v_add_co_u32_e32 v24, vcc, s2, v16
	v_addc_co_u32_e32 v25, vcc, v1, v17, vcc
	global_load_dwordx4 v[16:19], v[24:25], off
	global_load_dwordx4 v[20:23], v[24:25], off offset:16
	v_xor_b32_e32 v26, 0x80000000, v53
	v_mov_b32_e32 v27, v52
	v_pk_mul_f32 v[14:15], v[14:15], v[26:27] op_sel_hi:[0,1]
	v_pk_mul_f32 v[12:13], v[12:13], v[26:27] op_sel_hi:[0,1]
	;; [unrolled: 1-line block ×4, first 2 shown]
	v_pk_fma_f32 v[8:9], v[52:53], v[8:9], v[14:15] op_sel_hi:[1,0,1]
	v_pk_fma_f32 v[6:7], v[52:53], v[6:7], v[12:13] op_sel_hi:[1,0,1]
	v_xor_b32_e32 v28, 0x80000000, v55
	v_mov_b32_e32 v29, v54
	v_pk_fma_f32 v[2:3], v[52:53], v[2:3], v[10:11] op_sel_hi:[1,0,1]
	v_pk_fma_f32 v[0:1], v[52:53], v[0:1], v[4:5] op_sel_hi:[1,0,1]
	s_waitcnt vmcnt(1)
	v_pk_fma_f32 v[4:5], v[54:55], v[16:17], v[8:9] op_sel_hi:[1,0,1]
	v_pk_fma_f32 v[6:7], v[54:55], v[18:19], v[6:7] op_sel_hi:[1,0,1]
	v_mov_b32_e32 v8, v19
	s_waitcnt vmcnt(0)
	v_pk_fma_f32 v[10:11], v[54:55], v[20:21], v[2:3] op_sel_hi:[1,0,1]
	v_pk_fma_f32 v[12:13], v[54:55], v[22:23], v[0:1] op_sel_hi:[1,0,1]
	v_mov_b32_e32 v14, v23
	v_pk_fma_f32 v[0:1], v[28:29], v[16:17], v[4:5] op_sel:[0,1,0]
	v_pk_fma_f32 v[2:3], v[28:29], v[8:9], v[6:7] op_sel_hi:[1,0,1]
	v_pk_fma_f32 v[4:5], v[28:29], v[20:21], v[10:11] op_sel:[0,1,0]
	v_pk_fma_f32 v[6:7], v[28:29], v[14:15], v[12:13] op_sel_hi:[1,0,1]
	global_store_dwordx4 v[24:25], v[0:3], off
	global_store_dwordx4 v[24:25], v[4:7], off offset:16
	s_endpgm
	.section	.rodata,"a",@progbits
	.p2align	6, 0x0
	.amdhsa_kernel _ZN9rocsparseL18bsrxmvn_4x4_kernelILj128ELj32E21rocsparse_complex_numIfEiiS2_S2_S2_EEvT3_20rocsparse_direction_NS_24const_host_device_scalarIT1_EES3_PKS3_PKT2_SC_S9_PKT4_PKT5_S7_PT6_21rocsparse_index_base_b
		.amdhsa_group_segment_fixed_size 0
		.amdhsa_private_segment_fixed_size 0
		.amdhsa_kernarg_size 96
		.amdhsa_user_sgpr_count 6
		.amdhsa_user_sgpr_private_segment_buffer 1
		.amdhsa_user_sgpr_dispatch_ptr 0
		.amdhsa_user_sgpr_queue_ptr 0
		.amdhsa_user_sgpr_kernarg_segment_ptr 1
		.amdhsa_user_sgpr_dispatch_id 0
		.amdhsa_user_sgpr_flat_scratch_init 0
		.amdhsa_user_sgpr_kernarg_preload_length 0
		.amdhsa_user_sgpr_kernarg_preload_offset 0
		.amdhsa_user_sgpr_private_segment_size 0
		.amdhsa_uses_dynamic_stack 0
		.amdhsa_system_sgpr_private_segment_wavefront_offset 0
		.amdhsa_system_sgpr_workgroup_id_x 1
		.amdhsa_system_sgpr_workgroup_id_y 0
		.amdhsa_system_sgpr_workgroup_id_z 0
		.amdhsa_system_sgpr_workgroup_info 0
		.amdhsa_system_vgpr_workitem_id 0
		.amdhsa_next_free_vgpr 105
		.amdhsa_next_free_sgpr 24
		.amdhsa_accum_offset 108
		.amdhsa_reserve_vcc 1
		.amdhsa_reserve_flat_scratch 0
		.amdhsa_float_round_mode_32 0
		.amdhsa_float_round_mode_16_64 0
		.amdhsa_float_denorm_mode_32 3
		.amdhsa_float_denorm_mode_16_64 3
		.amdhsa_dx10_clamp 1
		.amdhsa_ieee_mode 1
		.amdhsa_fp16_overflow 0
		.amdhsa_tg_split 0
		.amdhsa_exception_fp_ieee_invalid_op 0
		.amdhsa_exception_fp_denorm_src 0
		.amdhsa_exception_fp_ieee_div_zero 0
		.amdhsa_exception_fp_ieee_overflow 0
		.amdhsa_exception_fp_ieee_underflow 0
		.amdhsa_exception_fp_ieee_inexact 0
		.amdhsa_exception_int_div_zero 0
	.end_amdhsa_kernel
	.section	.text._ZN9rocsparseL18bsrxmvn_4x4_kernelILj128ELj32E21rocsparse_complex_numIfEiiS2_S2_S2_EEvT3_20rocsparse_direction_NS_24const_host_device_scalarIT1_EES3_PKS3_PKT2_SC_S9_PKT4_PKT5_S7_PT6_21rocsparse_index_base_b,"axG",@progbits,_ZN9rocsparseL18bsrxmvn_4x4_kernelILj128ELj32E21rocsparse_complex_numIfEiiS2_S2_S2_EEvT3_20rocsparse_direction_NS_24const_host_device_scalarIT1_EES3_PKS3_PKT2_SC_S9_PKT4_PKT5_S7_PT6_21rocsparse_index_base_b,comdat
.Lfunc_end13:
	.size	_ZN9rocsparseL18bsrxmvn_4x4_kernelILj128ELj32E21rocsparse_complex_numIfEiiS2_S2_S2_EEvT3_20rocsparse_direction_NS_24const_host_device_scalarIT1_EES3_PKS3_PKT2_SC_S9_PKT4_PKT5_S7_PT6_21rocsparse_index_base_b, .Lfunc_end13-_ZN9rocsparseL18bsrxmvn_4x4_kernelILj128ELj32E21rocsparse_complex_numIfEiiS2_S2_S2_EEvT3_20rocsparse_direction_NS_24const_host_device_scalarIT1_EES3_PKS3_PKT2_SC_S9_PKT4_PKT5_S7_PT6_21rocsparse_index_base_b
                                        ; -- End function
	.section	.AMDGPU.csdata,"",@progbits
; Kernel info:
; codeLenInByte = 7332
; NumSgprs: 28
; NumVgprs: 105
; NumAgprs: 0
; TotalNumVgprs: 105
; ScratchSize: 0
; MemoryBound: 0
; FloatMode: 240
; IeeeMode: 1
; LDSByteSize: 0 bytes/workgroup (compile time only)
; SGPRBlocks: 3
; VGPRBlocks: 13
; NumSGPRsForWavesPerEU: 28
; NumVGPRsForWavesPerEU: 105
; AccumOffset: 108
; Occupancy: 4
; WaveLimiterHint : 1
; COMPUTE_PGM_RSRC2:SCRATCH_EN: 0
; COMPUTE_PGM_RSRC2:USER_SGPR: 6
; COMPUTE_PGM_RSRC2:TRAP_HANDLER: 0
; COMPUTE_PGM_RSRC2:TGID_X_EN: 1
; COMPUTE_PGM_RSRC2:TGID_Y_EN: 0
; COMPUTE_PGM_RSRC2:TGID_Z_EN: 0
; COMPUTE_PGM_RSRC2:TIDIG_COMP_CNT: 0
; COMPUTE_PGM_RSRC3_GFX90A:ACCUM_OFFSET: 26
; COMPUTE_PGM_RSRC3_GFX90A:TG_SPLIT: 0
	.section	.text._ZN9rocsparseL18bsrxmvn_4x4_kernelILj128ELj64E21rocsparse_complex_numIfEiiS2_S2_S2_EEvT3_20rocsparse_direction_NS_24const_host_device_scalarIT1_EES3_PKS3_PKT2_SC_S9_PKT4_PKT5_S7_PT6_21rocsparse_index_base_b,"axG",@progbits,_ZN9rocsparseL18bsrxmvn_4x4_kernelILj128ELj64E21rocsparse_complex_numIfEiiS2_S2_S2_EEvT3_20rocsparse_direction_NS_24const_host_device_scalarIT1_EES3_PKS3_PKT2_SC_S9_PKT4_PKT5_S7_PT6_21rocsparse_index_base_b,comdat
	.globl	_ZN9rocsparseL18bsrxmvn_4x4_kernelILj128ELj64E21rocsparse_complex_numIfEiiS2_S2_S2_EEvT3_20rocsparse_direction_NS_24const_host_device_scalarIT1_EES3_PKS3_PKT2_SC_S9_PKT4_PKT5_S7_PT6_21rocsparse_index_base_b ; -- Begin function _ZN9rocsparseL18bsrxmvn_4x4_kernelILj128ELj64E21rocsparse_complex_numIfEiiS2_S2_S2_EEvT3_20rocsparse_direction_NS_24const_host_device_scalarIT1_EES3_PKS3_PKT2_SC_S9_PKT4_PKT5_S7_PT6_21rocsparse_index_base_b
	.p2align	8
	.type	_ZN9rocsparseL18bsrxmvn_4x4_kernelILj128ELj64E21rocsparse_complex_numIfEiiS2_S2_S2_EEvT3_20rocsparse_direction_NS_24const_host_device_scalarIT1_EES3_PKS3_PKT2_SC_S9_PKT4_PKT5_S7_PT6_21rocsparse_index_base_b,@function
_ZN9rocsparseL18bsrxmvn_4x4_kernelILj128ELj64E21rocsparse_complex_numIfEiiS2_S2_S2_EEvT3_20rocsparse_direction_NS_24const_host_device_scalarIT1_EES3_PKS3_PKT2_SC_S9_PKT4_PKT5_S7_PT6_21rocsparse_index_base_b: ; @_ZN9rocsparseL18bsrxmvn_4x4_kernelILj128ELj64E21rocsparse_complex_numIfEiiS2_S2_S2_EEvT3_20rocsparse_direction_NS_24const_host_device_scalarIT1_EES3_PKS3_PKT2_SC_S9_PKT4_PKT5_S7_PT6_21rocsparse_index_base_b
; %bb.0:
	s_load_dwordx2 s[16:17], s[4:5], 0x58
	s_load_dwordx2 s[8:9], s[4:5], 0x8
	;; [unrolled: 1-line block ×3, first 2 shown]
	s_waitcnt lgkmcnt(0)
	s_bitcmp1_b32 s17, 0
	s_cselect_b64 s[0:1], -1, 0
	s_xor_b64 s[10:11], s[0:1], -1
	s_and_b64 vcc, exec, s[0:1]
	v_mov_b32_e32 v52, s8
	s_cbranch_vccnz .LBB14_2
; %bb.1:
	v_pk_mov_b32 v[2:3], s[8:9], s[8:9] op_sel:[0,1]
	flat_load_dword v52, v[2:3]
.LBB14_2:
	v_cndmask_b32_e64 v1, 0, 1, s[10:11]
	v_cmp_ne_u32_e64 s[0:1], 1, v1
	s_andn2_b64 vcc, exec, s[10:11]
	v_mov_b32_e32 v53, s9
	s_cbranch_vccz .LBB14_15
; %bb.3:
	s_and_b64 vcc, exec, s[0:1]
	v_mov_b32_e32 v54, s2
	s_cbranch_vccz .LBB14_16
.LBB14_4:
	s_and_b64 vcc, exec, s[0:1]
	v_mov_b32_e32 v55, s3
	s_cbranch_vccnz .LBB14_6
.LBB14_5:
	v_pk_mov_b32 v[2:3], s[2:3], s[2:3] op_sel:[0,1]
	flat_load_dword v55, v[2:3] offset:4
.LBB14_6:
	s_waitcnt vmcnt(0) lgkmcnt(0)
	v_and_b32_e32 v1, 0x7fffffff, v52
	v_cmp_eq_u32_e32 vcc, 0, v1
	v_cmp_eq_f32_e64 s[0:1], 0, v53
	s_and_b64 s[8:9], vcc, s[0:1]
	s_mov_b64 s[0:1], -1
	s_and_saveexec_b64 s[2:3], s[8:9]
; %bb.7:
	v_and_b32_e32 v1, 0x7fffffff, v55
	v_cmp_neq_f32_e32 vcc, 1.0, v54
	v_cmp_ne_u32_e64 s[0:1], 0, v1
	s_or_b64 s[0:1], vcc, s[0:1]
	s_orn2_b64 s[0:1], s[0:1], exec
; %bb.8:
	s_or_b64 exec, exec, s[2:3]
	s_and_saveexec_b64 s[2:3], s[0:1]
	s_cbranch_execz .LBB14_14
; %bb.9:
	s_load_dwordx2 s[8:9], s[4:5], 0x18
	s_load_dwordx2 s[0:1], s[4:5], 0x0
	v_lshrrev_b32_e32 v1, 6, v0
	v_lshl_or_b32 v56, s6, 1, v1
	s_mov_b64 s[2:3], 0
	s_waitcnt lgkmcnt(0)
	s_cmp_lg_u64 s[8:9], 0
	s_cbranch_scc0 .LBB14_17
; %bb.10:
	s_load_dword s6, s[4:5], 0x10
                                        ; implicit-def: $vgpr1
	s_waitcnt lgkmcnt(0)
	v_cmp_gt_i32_e32 vcc, s6, v56
	s_and_saveexec_b64 s[6:7], vcc
	s_xor_b64 s[6:7], exec, s[6:7]
	s_cbranch_execz .LBB14_12
; %bb.11:
	v_ashrrev_i32_e32 v57, 31, v56
	v_lshlrev_b64 v[2:3], 2, v[56:57]
	v_mov_b32_e32 v1, s9
	v_add_co_u32_e32 v2, vcc, s8, v2
	v_addc_co_u32_e32 v3, vcc, v1, v3, vcc
	global_load_dword v1, v[2:3], off
	s_mov_b64 s[2:3], exec
	s_waitcnt vmcnt(0)
	v_subrev_u32_e32 v1, s16, v1
.LBB14_12:
	s_or_b64 exec, exec, s[6:7]
	s_branch .LBB14_18
.LBB14_13:
	v_cmp_gt_i32_e32 vcc, s0, v56
	s_andn2_b64 s[2:3], s[2:3], exec
	s_and_b64 s[6:7], vcc, exec
	s_or_b64 s[2:3], s[2:3], s[6:7]
	s_and_b64 exec, exec, s[2:3]
	s_cbranch_execnz .LBB14_19
.LBB14_14:
	s_endpgm
.LBB14_15:
	v_pk_mov_b32 v[2:3], s[8:9], s[8:9] op_sel:[0,1]
	flat_load_dword v53, v[2:3] offset:4
	s_and_b64 vcc, exec, s[0:1]
	v_mov_b32_e32 v54, s2
	s_cbranch_vccnz .LBB14_4
.LBB14_16:
	v_pk_mov_b32 v[2:3], s[2:3], s[2:3] op_sel:[0,1]
	flat_load_dword v54, v[2:3]
	s_and_b64 vcc, exec, s[0:1]
	v_mov_b32_e32 v55, s3
	s_cbranch_vccz .LBB14_5
	s_branch .LBB14_6
.LBB14_17:
                                        ; implicit-def: $vgpr1
	s_cbranch_execnz .LBB14_13
.LBB14_18:
	v_mov_b32_e32 v56, v1
	s_and_b64 exec, exec, s[2:3]
	s_cbranch_execz .LBB14_14
.LBB14_19:
	s_load_dwordx8 s[8:15], s[4:5], 0x20
	v_ashrrev_i32_e32 v57, 31, v56
	v_lshlrev_b64 v[2:3], 2, v[56:57]
	v_and_b32_e32 v57, 63, v0
	s_waitcnt lgkmcnt(0)
	v_mov_b32_e32 v1, s9
	v_add_co_u32_e32 v4, vcc, s8, v2
	v_addc_co_u32_e32 v5, vcc, v1, v3, vcc
	v_add_co_u32_e32 v1, vcc, 4, v4
	global_load_dword v71, v[4:5], off
	v_addc_co_u32_e32 v4, vcc, 0, v5, vcc
	v_mov_b32_e32 v5, s11
	v_add_co_u32_e32 v2, vcc, s10, v2
	s_cmp_eq_u64 s[10:11], 0
	v_addc_co_u32_e32 v3, vcc, v5, v3, vcc
	s_cselect_b64 vcc, -1, 0
	v_cndmask_b32_e32 v3, v3, v4, vcc
	v_cndmask_b32_e32 v2, v2, v1, vcc
	global_load_dword v1, v[2:3], off
	s_load_dwordx2 s[10:11], s[4:5], 0x40
	v_mov_b32_e32 v2, s15
	s_cmp_eq_u32 s1, 1
	s_waitcnt vmcnt(1)
	v_subrev_u32_e32 v0, s16, v71
	v_add_u32_e32 v58, v0, v57
	v_ashrrev_i32_e32 v59, 31, v58
	s_waitcnt vmcnt(0)
	v_subrev_u32_e32 v70, s16, v1
	v_lshlrev_b64 v[0:1], 7, v[58:59]
	v_add_co_u32_e32 v60, vcc, s14, v0
	v_addc_co_u32_e32 v61, vcc, v2, v1, vcc
	v_cmp_lt_i32_e64 s[0:1], v58, v70
	s_cbranch_scc1 .LBB14_31
; %bb.20:
	s_mov_b32 s2, 0
	v_mov_b32_e32 v43, 0
	v_mov_b32_e32 v42, 0
	;; [unrolled: 1-line block ×8, first 2 shown]
	s_and_saveexec_b64 s[14:15], s[0:1]
	s_cbranch_execz .LBB14_30
; %bb.21:
	v_add_u32_e32 v0, v71, v57
	v_subrev_u32_e32 v0, s16, v0
	v_add_u32_e32 v0, 64, v0
	v_max_i32_e32 v0, v0, v70
	v_not_b32_e32 v1, v71
	v_add3_u32 v0, v0, s16, v1
	v_sub_u32_e32 v0, v0, v57
	v_lshrrev_b32_e32 v1, 6, v0
	v_add_u32_e32 v1, 1, v1
	v_and_b32_e32 v1, 3, v1
	s_mov_b32 s3, s2
	v_cmp_ne_u32_e32 vcc, 0, v1
	v_pk_mov_b32 v[42:43], s[2:3], s[2:3] op_sel:[0,1]
	v_pk_mov_b32 v[36:37], s[2:3], s[2:3] op_sel:[0,1]
	;; [unrolled: 1-line block ×5, first 2 shown]
	v_mov_b32_e32 v62, v58
	s_and_saveexec_b64 s[2:3], vcc
	s_cbranch_execz .LBB14_25
; %bb.22:
	v_mov_b32_e32 v40, 0
	v_lshlrev_b32_e32 v1, 7, v1
	s_mov_b64 s[6:7], 0
	v_mov_b32_e32 v2, s13
	s_waitcnt lgkmcnt(0)
	v_mov_b32_e32 v3, s11
	s_movk_i32 s8, 0x2000
	v_mov_b32_e32 v62, v58
	v_pk_mov_b32 v[64:65], v[60:61], v[60:61] op_sel:[0,1]
	v_mov_b32_e32 v41, v40
	v_mov_b32_e32 v38, v40
	;; [unrolled: 1-line block ×7, first 2 shown]
.LBB14_23:                              ; =>This Inner Loop Header: Depth=1
	v_ashrrev_i32_e32 v63, 31, v62
	v_lshlrev_b64 v[4:5], 2, v[62:63]
	v_add_co_u32_e32 v44, vcc, s12, v4
	v_addc_co_u32_e32 v45, vcc, v2, v5, vcc
	global_load_dword v46, v[44:45], off
	global_load_dwordx4 v[4:7], v[64:65], off
	global_load_dwordx4 v[8:11], v[64:65], off offset:16
	global_load_dwordx4 v[12:15], v[64:65], off offset:48
	;; [unrolled: 1-line block ×7, first 2 shown]
	v_add_u32_e32 v1, 0xffffff80, v1
	v_add_u32_e32 v62, 64, v62
	s_waitcnt vmcnt(8)
	v_subrev_u32_e32 v44, s16, v46
	v_lshlrev_b32_e32 v44, 2, v44
	v_ashrrev_i32_e32 v45, 31, v44
	v_lshlrev_b64 v[44:45], 3, v[44:45]
	v_add_co_u32_e32 v66, vcc, s10, v44
	v_addc_co_u32_e32 v67, vcc, v3, v45, vcc
	global_load_dwordx4 v[44:47], v[66:67], off
	global_load_dwordx4 v[48:51], v[66:67], off offset:16
	s_waitcnt vmcnt(9)
	v_xor_b32_e32 v66, 0x80000000, v7
	v_mov_b32_e32 v67, v6
	s_waitcnt vmcnt(6)
	v_xor_b32_e32 v72, 0x80000000, v19
	v_mov_b32_e32 v73, v18
	;; [unrolled: 3-line block ×3, first 2 shown]
	v_xor_b32_e32 v80, 0x80000000, v27
	v_mov_b32_e32 v81, v26
	v_add_co_u32_e32 v64, vcc, s8, v64
	v_addc_co_u32_e32 v65, vcc, 0, v65, vcc
	v_cmp_eq_u32_e32 vcc, 0, v1
	v_xor_b32_e32 v68, 0x80000000, v11
	v_mov_b32_e32 v69, v10
	v_xor_b32_e32 v74, 0x80000000, v15
	v_mov_b32_e32 v75, v14
	v_xor_b32_e32 v78, 0x80000000, v31
	v_mov_b32_e32 v79, v30
	v_xor_b32_e32 v82, 0x80000000, v23
	v_mov_b32_e32 v83, v22
	s_or_b64 s[6:7], vcc, s[6:7]
	s_waitcnt vmcnt(1)
	v_pk_fma_f32 v[42:43], v[4:5], v[44:45], v[42:43] op_sel_hi:[1,0,1]
	v_pk_fma_f32 v[40:41], v[16:17], v[44:45], v[40:41] op_sel_hi:[1,0,1]
	;; [unrolled: 1-line block ×4, first 2 shown]
	v_pk_fma_f32 v[4:5], v[4:5], v[44:45], v[42:43] op_sel:[1,1,0] op_sel_hi:[0,1,1] neg_lo:[1,0,0]
	v_pk_fma_f32 v[16:17], v[16:17], v[44:45], v[40:41] op_sel:[1,1,0] op_sel_hi:[0,1,1] neg_lo:[1,0,0]
	;; [unrolled: 1-line block ×4, first 2 shown]
	v_mov_b32_e32 v84, v47
	v_pk_fma_f32 v[4:5], v[6:7], v[46:47], v[4:5] op_sel_hi:[1,0,1]
	v_pk_fma_f32 v[6:7], v[18:19], v[46:47], v[16:17] op_sel_hi:[1,0,1]
	;; [unrolled: 1-line block ×8, first 2 shown]
	s_waitcnt vmcnt(0)
	v_pk_fma_f32 v[4:5], v[8:9], v[48:49], v[4:5] op_sel_hi:[1,0,1]
	v_pk_fma_f32 v[6:7], v[12:13], v[48:49], v[6:7] op_sel_hi:[1,0,1]
	;; [unrolled: 1-line block ×4, first 2 shown]
	v_pk_fma_f32 v[4:5], v[8:9], v[48:49], v[4:5] op_sel:[1,1,0] op_sel_hi:[0,1,1] neg_lo:[1,0,0]
	v_pk_fma_f32 v[6:7], v[12:13], v[48:49], v[6:7] op_sel:[1,1,0] op_sel_hi:[0,1,1] neg_lo:[1,0,0]
	;; [unrolled: 1-line block ×4, first 2 shown]
	v_mov_b32_e32 v86, v51
	v_pk_fma_f32 v[4:5], v[10:11], v[50:51], v[4:5] op_sel_hi:[1,0,1]
	v_pk_fma_f32 v[6:7], v[14:15], v[50:51], v[6:7] op_sel_hi:[1,0,1]
	;; [unrolled: 1-line block ×8, first 2 shown]
	s_andn2_b64 exec, exec, s[6:7]
	s_cbranch_execnz .LBB14_23
; %bb.24:
	s_or_b64 exec, exec, s[6:7]
.LBB14_25:
	s_or_b64 exec, exec, s[2:3]
	s_movk_i32 s2, 0xbf
	v_cmp_lt_u32_e32 vcc, s2, v0
	s_and_saveexec_b64 s[18:19], vcc
	s_cbranch_execz .LBB14_29
; %bb.26:
	s_mov_b64 s[20:21], 0
	v_mov_b32_e32 v59, s13
	s_waitcnt lgkmcnt(0)
	v_mov_b32_e32 v72, s11
	s_movk_i32 s17, 0x2000
	s_movk_i32 s22, 0x4000
	;; [unrolled: 1-line block ×3, first 2 shown]
.LBB14_27:                              ; =>This Inner Loop Header: Depth=1
	v_ashrrev_i32_e32 v63, 31, v62
	v_add_co_u32_e64 v44, s[2:3], s17, v64
	v_add_co_u32_e64 v46, s[6:7], s22, v64
	;; [unrolled: 1-line block ×3, first 2 shown]
	v_addc_co_u32_e64 v45, s[2:3], 0, v65, s[2:3]
	v_addc_co_u32_e64 v47, s[2:3], 0, v65, s[6:7]
	;; [unrolled: 1-line block ×3, first 2 shown]
	v_lshlrev_b64 v[48:49], 2, v[62:63]
	v_add_co_u32_e64 v68, s[2:3], s12, v48
	v_addc_co_u32_e64 v69, s[2:3], v59, v49, s[2:3]
	global_load_dwordx4 v[0:3], v[64:65], off offset:48
	global_load_dwordx4 v[16:19], v[64:65], off offset:32
	;; [unrolled: 1-line block ×3, first 2 shown]
	global_load_dwordx4 v[20:23], v[64:65], off
	global_load_dwordx4 v[8:11], v[64:65], off offset:112
	global_load_dwordx4 v[24:27], v[64:65], off offset:96
	;; [unrolled: 1-line block ×6, first 2 shown]
	global_load_dwordx4 v[82:85], v[44:45], off
	global_load_dwordx4 v[86:89], v[44:45], off offset:16
	global_load_dwordx4 v[32:35], v[44:45], off offset:112
	global_load_dword v48, v[68:69], off
	global_load_dword v63, v[68:69], off offset:512
	global_load_dwordx4 v[90:93], v[44:45], off offset:80
	v_add_co_u32_e32 v64, vcc, 0x8000, v64
	v_add_u32_e32 v62, 0x100, v62
	v_addc_co_u32_e32 v65, vcc, 0, v65, vcc
	v_cmp_ge_i32_e32 vcc, v62, v70
	s_or_b64 s[20:21], vcc, s[20:21]
	s_waitcnt vmcnt(14)
	v_xor_b32_e32 v98, 0x80000000, v19
	v_mov_b32_e32 v99, v18
	s_waitcnt vmcnt(12)
	v_xor_b32_e32 v94, 0x80000000, v23
	v_mov_b32_e32 v95, v22
	s_waitcnt vmcnt(11)
	v_mov_b32_e32 v103, v10
	v_xor_b32_e32 v102, 0x80000000, v11
	s_waitcnt vmcnt(8)
	v_xor_b32_e32 v100, 0x80000000, v31
	v_mov_b32_e32 v101, v30
	s_waitcnt vmcnt(2)
	v_subrev_u32_e32 v48, s16, v48
	v_lshlrev_b32_e32 v48, 2, v48
	v_ashrrev_i32_e32 v49, 31, v48
	v_lshlrev_b64 v[48:49], 3, v[48:49]
	v_add_co_u32_e64 v96, s[2:3], s10, v48
	v_addc_co_u32_e64 v97, s[2:3], v72, v49, s[2:3]
	global_load_dwordx4 v[48:51], v[96:97], off
	s_waitcnt vmcnt(2)
	v_subrev_u32_e32 v63, s16, v63
	s_waitcnt vmcnt(0)
	v_pk_fma_f32 v[40:41], v[16:17], v[48:49], v[40:41] op_sel_hi:[1,0,1]
	v_pk_fma_f32 v[16:17], v[16:17], v[48:49], v[40:41] op_sel:[1,1,0] op_sel_hi:[0,1,1] neg_lo:[1,0,0]
	v_pk_fma_f32 v[40:41], v[18:19], v[50:51], v[16:17] op_sel_hi:[1,0,1]
	v_pk_fma_f32 v[16:17], v[28:29], v[48:49], v[38:39] op_sel_hi:[1,0,1]
	v_pk_fma_f32 v[16:17], v[28:29], v[48:49], v[16:17] op_sel:[1,1,0] op_sel_hi:[0,1,1] neg_lo:[1,0,0]
	v_pk_fma_f32 v[28:29], v[30:31], v[50:51], v[16:17] op_sel_hi:[1,0,1]
	v_pk_fma_f32 v[16:17], v[24:25], v[48:49], v[36:37] op_sel_hi:[1,0,1]
	global_load_dwordx4 v[36:39], v[44:45], off offset:64
	v_pk_fma_f32 v[42:43], v[20:21], v[48:49], v[42:43] op_sel_hi:[1,0,1]
	v_pk_fma_f32 v[16:17], v[24:25], v[48:49], v[16:17] op_sel:[1,1,0] op_sel_hi:[0,1,1] neg_lo:[1,0,0]
	v_pk_fma_f32 v[20:21], v[20:21], v[48:49], v[42:43] op_sel:[1,1,0] op_sel_hi:[0,1,1] neg_lo:[1,0,0]
	v_xor_b32_e32 v30, 0x80000000, v27
	v_mov_b32_e32 v31, v26
	v_pk_fma_f32 v[24:25], v[26:27], v[50:51], v[16:17] op_sel_hi:[1,0,1]
	v_mov_b32_e32 v26, v51
	v_pk_fma_f32 v[42:43], v[22:23], v[50:51], v[20:21] op_sel_hi:[1,0,1]
	v_pk_fma_f32 v[50:51], v[100:101], v[26:27], v[28:29] op_sel_hi:[1,0,1]
	;; [unrolled: 1-line block ×3, first 2 shown]
	global_load_dwordx4 v[28:31], v[96:97], off offset:16
	global_load_dwordx4 v[20:23], v[44:45], off offset:96
	global_load_dwordx4 v[16:19], v[46:47], off offset:48
	v_pk_fma_f32 v[44:45], v[94:95], v[26:27], v[42:43] op_sel_hi:[1,0,1]
	v_pk_fma_f32 v[48:49], v[98:99], v[26:27], v[40:41] op_sel_hi:[1,0,1]
	v_xor_b32_e32 v98, 0x80000000, v7
	v_mov_b32_e32 v99, v6
	global_load_dwordx4 v[40:43], v[46:47], off offset:32
	global_load_dwordx4 v[94:97], v[46:47], off
	s_waitcnt vmcnt(4)
	v_pk_fma_f32 v[24:25], v[4:5], v[28:29], v[44:45] op_sel_hi:[1,0,1]
	v_pk_fma_f32 v[4:5], v[4:5], v[28:29], v[24:25] op_sel:[1,1,0] op_sel_hi:[0,1,1] neg_lo:[1,0,0]
	v_pk_fma_f32 v[24:25], v[0:1], v[28:29], v[48:49] op_sel_hi:[1,0,1]
	v_pk_fma_f32 v[0:1], v[0:1], v[28:29], v[24:25] op_sel:[1,1,0] op_sel_hi:[0,1,1] neg_lo:[1,0,0]
	;; [unrolled: 2-line block ×3, first 2 shown]
	global_load_dwordx4 v[24:27], v[46:47], off offset:16
	v_pk_fma_f32 v[44:45], v[14:15], v[30:31], v[12:13] op_sel_hi:[1,0,1]
	v_pk_fma_f32 v[12:13], v[8:9], v[28:29], v[100:101] op_sel_hi:[1,0,1]
	v_pk_fma_f32 v[8:9], v[8:9], v[28:29], v[12:13] op_sel:[1,1,0] op_sel_hi:[0,1,1] neg_lo:[1,0,0]
	v_pk_fma_f32 v[8:9], v[10:11], v[30:31], v[8:9] op_sel_hi:[1,0,1]
	global_load_dword v10, v[68:69], off offset:256
	v_pk_fma_f32 v[4:5], v[6:7], v[30:31], v[4:5] op_sel_hi:[1,0,1]
	v_xor_b32_e32 v6, 0x80000000, v3
	v_mov_b32_e32 v7, v2
	v_pk_fma_f32 v[0:1], v[2:3], v[30:31], v[0:1] op_sel_hi:[1,0,1]
	v_xor_b32_e32 v2, 0x80000000, v15
	v_mov_b32_e32 v3, v14
	v_mov_b32_e32 v28, v31
	v_pk_fma_f32 v[30:31], v[98:99], v[28:29], v[4:5] op_sel_hi:[1,0,1]
	v_pk_fma_f32 v[0:1], v[6:7], v[28:29], v[0:1] op_sel_hi:[1,0,1]
	;; [unrolled: 1-line block ×4, first 2 shown]
	global_load_dwordx4 v[12:15], v[46:47], off offset:112
	global_load_dwordx4 v[48:51], v[46:47], off offset:96
	v_xor_b32_e32 v44, 0x80000000, v85
	v_mov_b32_e32 v45, v84
	v_xor_b32_e32 v100, 0x80000000, v39
	v_mov_b32_e32 v101, v38
	s_waitcnt vmcnt(2)
	v_subrev_u32_e32 v10, s16, v10
	v_lshlrev_b32_e32 v10, 2, v10
	v_ashrrev_i32_e32 v11, 31, v10
	v_lshlrev_b64 v[10:11], 3, v[10:11]
	v_add_co_u32_e64 v10, s[2:3], s10, v10
	v_addc_co_u32_e64 v11, s[2:3], v72, v11, s[2:3]
	global_load_dwordx4 v[2:5], v[10:11], off
	s_waitcnt vmcnt(0)
	v_pk_fma_f32 v[0:1], v[78:79], v[2:3], v[0:1] op_sel_hi:[1,0,1]
	v_pk_fma_f32 v[0:1], v[78:79], v[2:3], v[0:1] op_sel:[1,1,0] op_sel_hi:[0,1,1] neg_lo:[1,0,0]
	v_pk_fma_f32 v[98:99], v[80:81], v[4:5], v[0:1] op_sel_hi:[1,0,1]
	v_pk_fma_f32 v[0:1], v[36:37], v[2:3], v[6:7] op_sel_hi:[1,0,1]
	v_pk_fma_f32 v[0:1], v[36:37], v[2:3], v[0:1] op_sel:[1,1,0] op_sel_hi:[0,1,1] neg_lo:[1,0,0]
	v_pk_fma_f32 v[28:29], v[82:83], v[2:3], v[30:31] op_sel_hi:[1,0,1]
	v_pk_fma_f32 v[36:37], v[38:39], v[4:5], v[0:1] op_sel_hi:[1,0,1]
	;; [unrolled: 1-line block ×3, first 2 shown]
	v_pk_fma_f32 v[28:29], v[82:83], v[2:3], v[28:29] op_sel:[1,1,0] op_sel_hi:[0,1,1] neg_lo:[1,0,0]
	v_pk_fma_f32 v[0:1], v[20:21], v[2:3], v[0:1] op_sel:[1,1,0] op_sel_hi:[0,1,1] neg_lo:[1,0,0]
	v_pk_fma_f32 v[82:83], v[84:85], v[4:5], v[28:29] op_sel_hi:[1,0,1]
	global_load_dwordx4 v[28:31], v[46:47], off offset:80
	v_xor_b32_e32 v84, 0x80000000, v81
	v_mov_b32_e32 v85, v80
	global_load_dwordx4 v[78:81], v[46:47], off offset:64
	v_xor_b32_e32 v38, 0x80000000, v23
	v_mov_b32_e32 v39, v22
	v_pk_fma_f32 v[8:9], v[22:23], v[4:5], v[0:1] op_sel_hi:[1,0,1]
	global_load_dwordx4 v[20:23], v[66:67], off
	v_mov_b32_e32 v46, v5
	v_pk_fma_f32 v[44:45], v[44:45], v[46:47], v[82:83] op_sel_hi:[1,0,1]
	v_pk_fma_f32 v[82:83], v[84:85], v[46:47], v[98:99] op_sel_hi:[1,0,1]
	;; [unrolled: 1-line block ×4, first 2 shown]
	global_load_dwordx4 v[36:39], v[10:11], off offset:16
	global_load_dwordx4 v[0:3], v[66:67], off offset:48
	;; [unrolled: 1-line block ×3, first 2 shown]
	v_xor_b32_e32 v98, 0x80000000, v89
	v_mov_b32_e32 v99, v88
	s_waitcnt vmcnt(2)
	v_pk_fma_f32 v[8:9], v[86:87], v[36:37], v[44:45] op_sel_hi:[1,0,1]
	v_pk_fma_f32 v[8:9], v[86:87], v[36:37], v[8:9] op_sel:[1,1,0] op_sel_hi:[0,1,1] neg_lo:[1,0,0]
	v_pk_fma_f32 v[44:45], v[88:89], v[38:39], v[8:9] op_sel_hi:[1,0,1]
	v_pk_fma_f32 v[8:9], v[74:75], v[36:37], v[82:83] op_sel_hi:[1,0,1]
	;; [unrolled: 1-line block ×3, first 2 shown]
	v_lshlrev_b32_e32 v84, 2, v63
	v_ashrrev_i32_e32 v85, 31, v84
	v_lshlrev_b64 v[84:85], 3, v[84:85]
	v_pk_fma_f32 v[8:9], v[74:75], v[36:37], v[8:9] op_sel:[1,1,0] op_sel_hi:[0,1,1] neg_lo:[1,0,0]
	v_pk_fma_f32 v[82:83], v[90:91], v[36:37], v[82:83] op_sel:[1,1,0] op_sel_hi:[0,1,1] neg_lo:[1,0,0]
	v_add_co_u32_e64 v84, s[2:3], s10, v84
	v_pk_fma_f32 v[46:47], v[32:33], v[36:37], v[46:47] op_sel_hi:[1,0,1]
	v_xor_b32_e32 v86, 0x80000000, v77
	v_mov_b32_e32 v87, v76
	v_pk_fma_f32 v[74:75], v[76:77], v[38:39], v[8:9] op_sel_hi:[1,0,1]
	global_load_dwordx4 v[8:11], v[66:67], off offset:16
	v_xor_b32_e32 v76, 0x80000000, v93
	v_mov_b32_e32 v77, v92
	v_pk_fma_f32 v[82:83], v[92:93], v[38:39], v[82:83] op_sel_hi:[1,0,1]
	v_addc_co_u32_e64 v85, s[2:3], v72, v85, s[2:3]
	v_pk_fma_f32 v[32:33], v[32:33], v[36:37], v[46:47] op_sel:[1,1,0] op_sel_hi:[0,1,1] neg_lo:[1,0,0]
	v_mov_b32_e32 v90, v39
	v_xor_b32_e32 v88, 0x80000000, v35
	v_mov_b32_e32 v89, v34
	v_pk_fma_f32 v[46:47], v[34:35], v[38:39], v[32:33] op_sel_hi:[1,0,1]
	global_load_dwordx4 v[32:35], v[66:67], off offset:112
	global_load_dwordx4 v[36:39], v[66:67], off offset:96
	global_load_dword v63, v[68:69], off offset:768
	v_pk_fma_f32 v[68:69], v[86:87], v[90:91], v[74:75] op_sel_hi:[1,0,1]
	v_pk_fma_f32 v[82:83], v[76:77], v[90:91], v[82:83] op_sel_hi:[1,0,1]
	global_load_dwordx4 v[74:77], v[84:85], off
	v_pk_fma_f32 v[44:45], v[98:99], v[90:91], v[44:45] op_sel_hi:[1,0,1]
	v_pk_fma_f32 v[88:89], v[88:89], v[90:91], v[46:47] op_sel_hi:[1,0,1]
	v_xor_b32_e32 v92, 0x80000000, v43
	v_mov_b32_e32 v93, v42
	v_xor_b32_e32 v86, 0x80000000, v97
	v_mov_b32_e32 v87, v96
	;; [unrolled: 2-line block ×3, first 2 shown]
	s_waitcnt vmcnt(1)
	v_subrev_u32_e32 v63, s16, v63
	s_waitcnt vmcnt(0)
	v_pk_fma_f32 v[44:45], v[94:95], v[74:75], v[44:45] op_sel_hi:[1,0,1]
	v_pk_fma_f32 v[68:69], v[40:41], v[74:75], v[68:69] op_sel_hi:[1,0,1]
	v_pk_fma_f32 v[44:45], v[94:95], v[74:75], v[44:45] op_sel:[1,1,0] op_sel_hi:[0,1,1] neg_lo:[1,0,0]
	v_pk_fma_f32 v[40:41], v[40:41], v[74:75], v[68:69] op_sel:[1,1,0] op_sel_hi:[0,1,1] neg_lo:[1,0,0]
	v_pk_fma_f32 v[90:91], v[96:97], v[76:77], v[44:45] op_sel_hi:[1,0,1]
	global_load_dwordx4 v[44:47], v[66:67], off offset:80
	v_pk_fma_f32 v[94:95], v[42:43], v[76:77], v[40:41] op_sel_hi:[1,0,1]
	global_load_dwordx4 v[40:43], v[66:67], off offset:64
	v_pk_fma_f32 v[66:67], v[78:79], v[74:75], v[82:83] op_sel_hi:[1,0,1]
	v_pk_fma_f32 v[66:67], v[78:79], v[74:75], v[66:67] op_sel:[1,1,0] op_sel_hi:[0,1,1] neg_lo:[1,0,0]
	v_pk_fma_f32 v[82:83], v[80:81], v[76:77], v[66:67] op_sel_hi:[1,0,1]
	v_lshlrev_b32_e32 v66, 2, v63
	v_ashrrev_i32_e32 v67, 31, v66
	v_lshlrev_b64 v[66:67], 3, v[66:67]
	v_add_co_u32_e64 v100, s[2:3], s10, v66
	v_addc_co_u32_e64 v101, s[2:3], v72, v67, s[2:3]
	global_load_dwordx4 v[66:69], v[84:85], off offset:16
	v_pk_fma_f32 v[78:79], v[48:49], v[74:75], v[88:89] op_sel_hi:[1,0,1]
	v_xor_b32_e32 v96, 0x80000000, v81
	v_mov_b32_e32 v97, v80
	v_pk_fma_f32 v[48:49], v[48:49], v[74:75], v[78:79] op_sel:[1,1,0] op_sel_hi:[0,1,1] neg_lo:[1,0,0]
	global_load_dwordx4 v[78:81], v[100:101], off
	v_pk_fma_f32 v[74:75], v[50:51], v[76:77], v[48:49] op_sel_hi:[1,0,1]
	global_load_dwordx4 v[48:51], v[100:101], off offset:16
	v_mov_b32_e32 v76, v77
	v_pk_fma_f32 v[84:85], v[86:87], v[76:77], v[90:91] op_sel_hi:[1,0,1]
	v_pk_fma_f32 v[88:89], v[92:93], v[76:77], v[94:95] op_sel_hi:[1,0,1]
	;; [unrolled: 1-line block ×4, first 2 shown]
	v_xor_b32_e32 v86, 0x80000000, v27
	v_mov_b32_e32 v87, v26
	v_xor_b32_e32 v90, 0x80000000, v19
	v_mov_b32_e32 v91, v18
	;; [unrolled: 2-line block ×5, first 2 shown]
	s_waitcnt vmcnt(2)
	v_pk_fma_f32 v[84:85], v[24:25], v[66:67], v[84:85] op_sel_hi:[1,0,1]
	v_pk_fma_f32 v[88:89], v[16:17], v[66:67], v[88:89] op_sel_hi:[1,0,1]
	;; [unrolled: 1-line block ×4, first 2 shown]
	v_pk_fma_f32 v[24:25], v[24:25], v[66:67], v[84:85] op_sel:[1,1,0] op_sel_hi:[0,1,1] neg_lo:[1,0,0]
	v_pk_fma_f32 v[16:17], v[16:17], v[66:67], v[88:89] op_sel:[1,1,0] op_sel_hi:[0,1,1] neg_lo:[1,0,0]
	v_pk_fma_f32 v[28:29], v[28:29], v[66:67], v[82:83] op_sel:[1,1,0] op_sel_hi:[0,1,1] neg_lo:[1,0,0]
	v_pk_fma_f32 v[12:13], v[12:13], v[66:67], v[74:75] op_sel:[1,1,0] op_sel_hi:[0,1,1] neg_lo:[1,0,0]
	v_pk_fma_f32 v[24:25], v[26:27], v[68:69], v[24:25] op_sel_hi:[1,0,1]
	v_pk_fma_f32 v[16:17], v[18:19], v[68:69], v[16:17] op_sel_hi:[1,0,1]
	;; [unrolled: 1-line block ×4, first 2 shown]
	v_mov_b32_e32 v66, v69
	v_pk_fma_f32 v[24:25], v[86:87], v[66:67], v[24:25] op_sel_hi:[1,0,1]
	v_pk_fma_f32 v[16:17], v[90:91], v[66:67], v[16:17] op_sel_hi:[1,0,1]
	;; [unrolled: 1-line block ×4, first 2 shown]
	s_waitcnt vmcnt(1)
	v_pk_fma_f32 v[24:25], v[20:21], v[78:79], v[24:25] op_sel_hi:[1,0,1]
	v_pk_fma_f32 v[16:17], v[4:5], v[78:79], v[16:17] op_sel_hi:[1,0,1]
	;; [unrolled: 1-line block ×4, first 2 shown]
	v_pk_fma_f32 v[20:21], v[20:21], v[78:79], v[24:25] op_sel:[1,1,0] op_sel_hi:[0,1,1] neg_lo:[1,0,0]
	v_pk_fma_f32 v[4:5], v[4:5], v[78:79], v[16:17] op_sel:[1,1,0] op_sel_hi:[0,1,1] neg_lo:[1,0,0]
	;; [unrolled: 1-line block ×4, first 2 shown]
	v_xor_b32_e32 v84, 0x80000000, v7
	v_mov_b32_e32 v85, v6
	v_xor_b32_e32 v88, 0x80000000, v43
	v_mov_b32_e32 v89, v42
	;; [unrolled: 2-line block ×3, first 2 shown]
	v_mov_b32_e32 v68, v81
	v_pk_fma_f32 v[20:21], v[22:23], v[80:81], v[20:21] op_sel_hi:[1,0,1]
	v_pk_fma_f32 v[4:5], v[6:7], v[80:81], v[4:5] op_sel_hi:[1,0,1]
	;; [unrolled: 1-line block ×8, first 2 shown]
	s_waitcnt vmcnt(0)
	v_pk_fma_f32 v[16:17], v[8:9], v[48:49], v[16:17] op_sel_hi:[1,0,1]
	v_pk_fma_f32 v[4:5], v[0:1], v[48:49], v[4:5] op_sel_hi:[1,0,1]
	v_pk_fma_f32 v[6:7], v[44:45], v[48:49], v[6:7] op_sel_hi:[1,0,1]
	v_pk_fma_f32 v[12:13], v[32:33], v[48:49], v[12:13] op_sel_hi:[1,0,1]
	v_pk_fma_f32 v[8:9], v[8:9], v[48:49], v[16:17] op_sel:[1,1,0] op_sel_hi:[0,1,1] neg_lo:[1,0,0]
	v_pk_fma_f32 v[0:1], v[0:1], v[48:49], v[4:5] op_sel:[1,1,0] op_sel_hi:[0,1,1] neg_lo:[1,0,0]
	;; [unrolled: 1-line block ×4, first 2 shown]
	v_xor_b32_e32 v26, 0x80000000, v11
	v_mov_b32_e32 v27, v10
	v_xor_b32_e32 v18, 0x80000000, v3
	v_mov_b32_e32 v19, v2
	;; [unrolled: 2-line block ×4, first 2 shown]
	v_mov_b32_e32 v74, v51
	v_pk_fma_f32 v[8:9], v[10:11], v[50:51], v[8:9] op_sel_hi:[1,0,1]
	v_pk_fma_f32 v[0:1], v[2:3], v[50:51], v[0:1] op_sel_hi:[1,0,1]
	;; [unrolled: 1-line block ×8, first 2 shown]
	s_andn2_b64 exec, exec, s[20:21]
	s_cbranch_execnz .LBB14_27
; %bb.28:
	s_or_b64 exec, exec, s[20:21]
.LBB14_29:
	s_or_b64 exec, exec, s[18:19]
.LBB14_30:
	s_or_b64 exec, exec, s[14:15]
	s_cbranch_execz .LBB14_32
	s_branch .LBB14_43
.LBB14_31:
                                        ; implicit-def: $vgpr43
                                        ; implicit-def: $vgpr37
                                        ; implicit-def: $vgpr39
                                        ; implicit-def: $vgpr41
.LBB14_32:
	s_mov_b32 s6, 0
	v_mov_b32_e32 v43, 0
	v_mov_b32_e32 v42, 0
	;; [unrolled: 1-line block ×8, first 2 shown]
	s_and_saveexec_b64 s[2:3], s[0:1]
	s_cbranch_execz .LBB14_42
; %bb.33:
	v_add_u32_e32 v0, v71, v57
	v_subrev_u32_e32 v0, s16, v0
	v_add_u32_e32 v0, 64, v0
	v_max_i32_e32 v0, v0, v70
	v_not_b32_e32 v1, v71
	v_add3_u32 v0, v0, s16, v1
	v_sub_u32_e32 v0, v0, v57
	v_lshrrev_b32_e32 v1, 6, v0
	v_add_u32_e32 v1, 1, v1
	v_and_b32_e32 v1, 3, v1
	s_mov_b32 s7, s6
	v_cmp_ne_u32_e32 vcc, 0, v1
	v_pk_mov_b32 v[42:43], s[6:7], s[6:7] op_sel:[0,1]
	v_pk_mov_b32 v[36:37], s[6:7], s[6:7] op_sel:[0,1]
	;; [unrolled: 1-line block ×4, first 2 shown]
	s_and_saveexec_b64 s[0:1], vcc
	s_cbranch_execz .LBB14_37
; %bb.34:
	v_mov_b32_e32 v40, 0
	v_lshlrev_b32_e32 v1, 7, v1
	s_mov_b64 s[6:7], 0
	v_mov_b32_e32 v2, s13
	s_waitcnt lgkmcnt(0)
	v_mov_b32_e32 v3, s11
	s_movk_i32 s8, 0x2000
	v_mov_b32_e32 v41, v40
	v_mov_b32_e32 v38, v40
	;; [unrolled: 1-line block ×7, first 2 shown]
.LBB14_35:                              ; =>This Inner Loop Header: Depth=1
	v_ashrrev_i32_e32 v59, 31, v58
	v_lshlrev_b64 v[4:5], 2, v[58:59]
	v_add_co_u32_e32 v32, vcc, s12, v4
	v_addc_co_u32_e32 v33, vcc, v2, v5, vcc
	global_load_dword v34, v[32:33], off
	global_load_dwordx4 v[4:7], v[60:61], off offset:48
	global_load_dwordx4 v[8:11], v[60:61], off offset:32
	;; [unrolled: 1-line block ×3, first 2 shown]
	global_load_dwordx4 v[16:19], v[60:61], off
	global_load_dwordx4 v[20:23], v[60:61], off offset:96
	global_load_dwordx4 v[24:27], v[60:61], off offset:80
	;; [unrolled: 1-line block ×3, first 2 shown]
	v_add_u32_e32 v1, 0xffffff80, v1
	v_add_u32_e32 v58, 64, v58
	s_waitcnt vmcnt(7)
	v_subrev_u32_e32 v32, s16, v34
	v_lshlrev_b32_e32 v32, 2, v32
	v_ashrrev_i32_e32 v33, 31, v32
	v_lshlrev_b64 v[32:33], 3, v[32:33]
	v_add_co_u32_e32 v62, vcc, s10, v32
	v_addc_co_u32_e32 v63, vcc, v3, v33, vcc
	global_load_dwordx4 v[32:35], v[62:63], off
	global_load_dwordx4 v[44:47], v[62:63], off offset:16
	global_load_dwordx4 v[48:51], v[60:61], off offset:112
	s_waitcnt vmcnt(6)
	v_xor_b32_e32 v62, 0x80000000, v19
	v_mov_b32_e32 v63, v18
	v_xor_b32_e32 v72, 0x80000000, v15
	v_mov_b32_e32 v73, v14
	;; [unrolled: 2-line block ×4, first 2 shown]
	v_add_co_u32_e32 v60, vcc, s8, v60
	s_waitcnt vmcnt(3)
	v_xor_b32_e32 v66, 0x80000000, v31
	v_mov_b32_e32 v67, v30
	v_xor_b32_e32 v76, 0x80000000, v27
	v_mov_b32_e32 v77, v26
	v_addc_co_u32_e32 v61, vcc, 0, v61, vcc
	v_cmp_eq_u32_e32 vcc, 0, v1
	v_xor_b32_e32 v68, 0x80000000, v23
	v_mov_b32_e32 v69, v22
	s_or_b64 s[6:7], vcc, s[6:7]
	s_waitcnt vmcnt(2)
	v_pk_fma_f32 v[42:43], v[16:17], v[32:33], v[42:43] op_sel_hi:[1,0,1]
	v_pk_fma_f32 v[18:19], v[18:19], v[32:33], v[40:41] op_sel_hi:[1,0,1]
	;; [unrolled: 1-line block ×4, first 2 shown]
	v_pk_fma_f32 v[16:17], v[16:17], v[32:33], v[42:43] op_sel:[1,1,0] op_sel_hi:[0,1,1] neg_lo:[1,0,0]
	v_pk_fma_f32 v[12:13], v[12:13], v[32:33], v[38:39] op_sel:[1,1,0] op_sel_hi:[0,1,1] neg_lo:[1,0,0]
	v_pk_fma_f32 v[18:19], v[62:63], v[32:33], v[18:19] op_sel:[0,1,0]
	v_pk_fma_f32 v[14:15], v[72:73], v[32:33], v[14:15] op_sel:[0,1,0]
	v_mov_b32_e32 v36, v35
	v_pk_fma_f32 v[16:17], v[8:9], v[34:35], v[16:17] op_sel_hi:[1,0,1]
	v_pk_fma_f32 v[10:11], v[10:11], v[34:35], v[18:19] op_sel_hi:[1,0,1]
	;; [unrolled: 1-line block ×4, first 2 shown]
	v_pk_fma_f32 v[8:9], v[8:9], v[36:37], v[16:17] op_sel:[1,0,0] op_sel_hi:[0,0,1] neg_lo:[1,0,0]
	v_pk_fma_f32 v[10:11], v[64:65], v[36:37], v[10:11] op_sel_hi:[1,0,1]
	v_pk_fma_f32 v[4:5], v[4:5], v[36:37], v[12:13] op_sel:[1,0,0] op_sel_hi:[0,0,1] neg_lo:[1,0,0]
	v_pk_fma_f32 v[6:7], v[74:75], v[36:37], v[6:7] op_sel_hi:[1,0,1]
	s_waitcnt vmcnt(1)
	v_pk_fma_f32 v[8:9], v[28:29], v[44:45], v[8:9] op_sel_hi:[1,0,1]
	v_pk_fma_f32 v[10:11], v[30:31], v[44:45], v[10:11] op_sel_hi:[1,0,1]
	;; [unrolled: 1-line block ×4, first 2 shown]
	v_pk_fma_f32 v[8:9], v[28:29], v[44:45], v[8:9] op_sel:[1,1,0] op_sel_hi:[0,1,1] neg_lo:[1,0,0]
	v_pk_fma_f32 v[10:11], v[66:67], v[44:45], v[10:11] op_sel:[0,1,0]
	v_pk_fma_f32 v[4:5], v[24:25], v[44:45], v[4:5] op_sel:[1,1,0] op_sel_hi:[0,1,1] neg_lo:[1,0,0]
	v_pk_fma_f32 v[6:7], v[76:77], v[44:45], v[6:7] op_sel:[0,1,0]
	s_waitcnt vmcnt(0)
	v_xor_b32_e32 v78, 0x80000000, v51
	v_mov_b32_e32 v79, v50
	v_mov_b32_e32 v80, v47
	v_pk_fma_f32 v[8:9], v[20:21], v[46:47], v[8:9] op_sel_hi:[1,0,1]
	v_pk_fma_f32 v[10:11], v[22:23], v[46:47], v[10:11] op_sel_hi:[1,0,1]
	;; [unrolled: 1-line block ×4, first 2 shown]
	v_pk_fma_f32 v[42:43], v[20:21], v[80:81], v[8:9] op_sel:[1,0,0] op_sel_hi:[0,0,1] neg_lo:[1,0,0]
	v_pk_fma_f32 v[40:41], v[68:69], v[80:81], v[10:11] op_sel_hi:[1,0,1]
	v_pk_fma_f32 v[38:39], v[48:49], v[80:81], v[4:5] op_sel:[1,0,0] op_sel_hi:[0,0,1] neg_lo:[1,0,0]
	v_pk_fma_f32 v[36:37], v[78:79], v[80:81], v[6:7] op_sel_hi:[1,0,1]
	s_andn2_b64 exec, exec, s[6:7]
	s_cbranch_execnz .LBB14_35
; %bb.36:
	s_or_b64 exec, exec, s[6:7]
.LBB14_37:
	s_or_b64 exec, exec, s[0:1]
	s_movk_i32 s0, 0xbf
	v_cmp_lt_u32_e32 vcc, s0, v0
	s_and_saveexec_b64 s[6:7], vcc
	s_cbranch_execz .LBB14_41
; %bb.38:
	s_mov_b64 s[8:9], 0
	v_mov_b32_e32 v46, s13
	s_waitcnt lgkmcnt(0)
	v_mov_b32_e32 v47, s11
	s_movk_i32 s11, 0x2000
	s_movk_i32 s13, 0x4000
	;; [unrolled: 1-line block ×3, first 2 shown]
.LBB14_39:                              ; =>This Inner Loop Header: Depth=1
	v_ashrrev_i32_e32 v59, 31, v58
	v_lshlrev_b64 v[84:85], 2, v[58:59]
	v_add_co_u32_e32 v32, vcc, s11, v60
	v_add_co_u32_e64 v84, s[0:1], s12, v84
	v_addc_co_u32_e32 v33, vcc, 0, v61, vcc
	v_addc_co_u32_e64 v85, s[0:1], v46, v85, s[0:1]
	global_load_dwordx4 v[4:7], v[60:61], off offset:48
	global_load_dwordx4 v[12:15], v[60:61], off offset:32
	;; [unrolled: 1-line block ×3, first 2 shown]
	global_load_dwordx4 v[28:31], v[60:61], off
	global_load_dwordx4 v[0:3], v[60:61], off offset:112
	global_load_dwordx4 v[8:11], v[60:61], off offset:96
	global_load_dwordx4 v[16:19], v[60:61], off offset:80
	global_load_dwordx4 v[24:27], v[60:61], off offset:64
	global_load_dwordx4 v[48:51], v[32:33], off offset:48
	global_load_dwordx4 v[62:65], v[32:33], off offset:32
	global_load_dwordx4 v[66:69], v[32:33], off
	global_load_dwordx4 v[72:75], v[32:33], off offset:16
	global_load_dwordx4 v[76:79], v[32:33], off offset:112
	global_load_dwordx4 v[80:83], v[32:33], off offset:96
	global_load_dword v59, v[84:85], off
	global_load_dword v71, v[84:85], off offset:256
	global_load_dword v100, v[84:85], off offset:512
	;; [unrolled: 1-line block ×3, first 2 shown]
	v_add_co_u32_e32 v34, vcc, s13, v60
	v_addc_co_u32_e32 v35, vcc, 0, v61, vcc
	v_add_co_u32_e32 v44, vcc, s14, v60
	v_addc_co_u32_e32 v45, vcc, 0, v61, vcc
	v_add_co_u32_e32 v60, vcc, 0x8000, v60
	v_add_u32_e32 v58, 0x100, v58
	v_addc_co_u32_e32 v61, vcc, 0, v61, vcc
	v_cmp_ge_i32_e32 vcc, v58, v70
	s_or_b64 s[8:9], vcc, s[8:9]
	s_waitcnt vmcnt(14)
	v_xor_b32_e32 v92, 0x80000000, v31
	v_mov_b32_e32 v93, v30
	s_waitcnt vmcnt(7)
	v_xor_b32_e32 v98, 0x80000000, v69
	s_waitcnt vmcnt(3)
	v_subrev_u32_e32 v59, s16, v59
	v_lshlrev_b32_e32 v84, 2, v59
	v_ashrrev_i32_e32 v85, 31, v84
	v_lshlrev_b64 v[84:85], 3, v[84:85]
	v_add_co_u32_e64 v94, s[0:1], s10, v84
	v_addc_co_u32_e64 v95, s[0:1], v47, v85, s[0:1]
	global_load_dwordx4 v[84:87], v[94:95], off
	global_load_dwordx4 v[88:91], v[94:95], off offset:16
	v_mov_b32_e32 v99, v68
	s_waitcnt vmcnt(3)
	v_subrev_u32_e32 v59, s16, v100
	s_waitcnt vmcnt(1)
	v_pk_fma_f32 v[42:43], v[28:29], v[84:85], v[42:43] op_sel_hi:[1,0,1]
	v_pk_fma_f32 v[94:95], v[30:31], v[84:85], v[40:41] op_sel_hi:[1,0,1]
	v_pk_fma_f32 v[96:97], v[28:29], v[84:85], v[42:43] op_sel:[1,1,0] op_sel_hi:[0,1,1] neg_lo:[1,0,0]
	global_load_dwordx4 v[28:31], v[32:33], off offset:80
	global_load_dwordx4 v[40:43], v[32:33], off offset:64
	v_pk_fma_f32 v[32:33], v[92:93], v[84:85], v[94:95] op_sel:[0,1,0]
	v_xor_b32_e32 v92, 0x80000000, v23
	v_mov_b32_e32 v93, v22
	v_pk_fma_f32 v[38:39], v[20:21], v[84:85], v[38:39] op_sel_hi:[1,0,1]
	v_pk_fma_f32 v[36:37], v[22:23], v[84:85], v[36:37] op_sel_hi:[1,0,1]
	v_pk_fma_f32 v[38:39], v[20:21], v[84:85], v[38:39] op_sel:[1,1,0] op_sel_hi:[0,1,1] neg_lo:[1,0,0]
	v_pk_fma_f32 v[36:37], v[92:93], v[84:85], v[36:37] op_sel:[0,1,0]
	v_xor_b32_e32 v84, 0x80000000, v15
	v_mov_b32_e32 v85, v14
	v_pk_fma_f32 v[92:93], v[12:13], v[86:87], v[96:97] op_sel_hi:[1,0,1]
	v_pk_fma_f32 v[32:33], v[14:15], v[86:87], v[32:33] op_sel_hi:[1,0,1]
	;; [unrolled: 1-line block ×4, first 2 shown]
	v_mov_b32_e32 v86, v87
	v_xor_b32_e32 v94, 0x80000000, v7
	v_mov_b32_e32 v95, v6
	v_pk_fma_f32 v[32:33], v[84:85], v[86:87], v[32:33] op_sel_hi:[1,0,1]
	v_pk_fma_f32 v[92:93], v[12:13], v[86:87], v[92:93] op_sel:[1,0,0] op_sel_hi:[0,0,1] neg_lo:[1,0,0]
	v_pk_fma_f32 v[96:97], v[4:5], v[86:87], v[38:39] op_sel:[1,0,0] op_sel_hi:[0,0,1] neg_lo:[1,0,0]
	v_pk_fma_f32 v[84:85], v[94:95], v[86:87], v[36:37] op_sel_hi:[1,0,1]
	v_xor_b32_e32 v86, 0x80000000, v27
	v_mov_b32_e32 v87, v26
	s_waitcnt vmcnt(2)
	v_pk_fma_f32 v[32:33], v[26:27], v[88:89], v[32:33] op_sel_hi:[1,0,1]
	v_pk_fma_f32 v[92:93], v[24:25], v[88:89], v[92:93] op_sel_hi:[1,0,1]
	v_pk_fma_f32 v[32:33], v[86:87], v[88:89], v[32:33] op_sel:[0,1,0]
	v_xor_b32_e32 v86, 0x80000000, v19
	v_mov_b32_e32 v87, v18
	v_pk_fma_f32 v[94:95], v[16:17], v[88:89], v[96:97] op_sel_hi:[1,0,1]
	v_pk_fma_f32 v[84:85], v[18:19], v[88:89], v[84:85] op_sel_hi:[1,0,1]
	v_pk_fma_f32 v[92:93], v[24:25], v[88:89], v[92:93] op_sel:[1,1,0] op_sel_hi:[0,1,1] neg_lo:[1,0,0]
	v_pk_fma_f32 v[94:95], v[16:17], v[88:89], v[94:95] op_sel:[1,1,0] op_sel_hi:[0,1,1] neg_lo:[1,0,0]
	v_pk_fma_f32 v[84:85], v[86:87], v[88:89], v[84:85] op_sel:[0,1,0]
	v_pk_fma_f32 v[88:89], v[8:9], v[90:91], v[92:93] op_sel_hi:[1,0,1]
	v_pk_fma_f32 v[32:33], v[10:11], v[90:91], v[32:33] op_sel_hi:[1,0,1]
	;; [unrolled: 1-line block ×4, first 2 shown]
	v_mov_b32_e32 v90, v91
	v_mov_b32_e32 v95, v2
	v_subrev_u32_e32 v2, s16, v71
	v_pk_fma_f32 v[92:93], v[0:1], v[90:91], v[92:93] op_sel:[1,0,0] op_sel_hi:[0,0,1] neg_lo:[1,0,0]
	v_lshlrev_b32_e32 v0, 2, v2
	v_ashrrev_i32_e32 v1, 31, v0
	v_lshlrev_b64 v[0:1], 3, v[0:1]
	v_add_co_u32_e64 v96, s[0:1], s10, v0
	v_xor_b32_e32 v86, 0x80000000, v11
	v_mov_b32_e32 v87, v10
	v_xor_b32_e32 v94, 0x80000000, v3
	v_addc_co_u32_e64 v97, s[0:1], v47, v1, s[0:1]
	global_load_dwordx4 v[20:23], v[34:35], off offset:48
	global_load_dwordx4 v[12:15], v[34:35], off offset:32
	global_load_dwordx4 v[4:7], v[34:35], off
	global_load_dwordx4 v[36:39], v[34:35], off offset:16
	global_load_dwordx4 v[24:27], v[34:35], off offset:112
	;; [unrolled: 1-line block ×3, first 2 shown]
	v_pk_fma_f32 v[88:89], v[8:9], v[90:91], v[88:89] op_sel:[1,0,0] op_sel_hi:[0,0,1] neg_lo:[1,0,0]
	global_load_dwordx4 v[8:11], v[34:35], off offset:80
	v_pk_fma_f32 v[32:33], v[86:87], v[90:91], v[32:33] op_sel_hi:[1,0,1]
	v_pk_fma_f32 v[90:91], v[94:95], v[90:91], v[84:85] op_sel_hi:[1,0,1]
	global_load_dwordx4 v[0:3], v[96:97], off
	global_load_dwordx4 v[84:87], v[96:97], off offset:16
	v_xor_b32_e32 v96, 0x80000000, v75
	v_mov_b32_e32 v97, v74
	s_waitcnt vmcnt(5)
	v_xor_b32_e32 v100, 0x80000000, v39
	v_mov_b32_e32 v101, v38
	s_waitcnt vmcnt(1)
	v_pk_fma_f32 v[88:89], v[66:67], v[0:1], v[88:89] op_sel_hi:[1,0,1]
	v_pk_fma_f32 v[94:95], v[68:69], v[0:1], v[32:33] op_sel_hi:[1,0,1]
	v_pk_fma_f32 v[88:89], v[66:67], v[0:1], v[88:89] op_sel:[1,1,0] op_sel_hi:[0,1,1] neg_lo:[1,0,0]
	v_pk_fma_f32 v[66:67], v[72:73], v[0:1], v[92:93] op_sel_hi:[1,0,1]
	v_pk_fma_f32 v[74:75], v[74:75], v[0:1], v[90:91] op_sel_hi:[1,0,1]
	v_pk_fma_f32 v[90:91], v[72:73], v[0:1], v[66:67] op_sel:[1,1,0] op_sel_hi:[0,1,1] neg_lo:[1,0,0]
	v_pk_fma_f32 v[92:93], v[98:99], v[0:1], v[94:95] op_sel:[0,1,0]
	v_pk_fma_f32 v[0:1], v[96:97], v[0:1], v[74:75] op_sel:[0,1,0]
	v_pk_fma_f32 v[88:89], v[62:63], v[2:3], v[88:89] op_sel_hi:[1,0,1]
	v_mov_b32_e32 v96, v3
	v_pk_fma_f32 v[92:93], v[64:65], v[2:3], v[92:93] op_sel_hi:[1,0,1]
	v_pk_fma_f32 v[90:91], v[48:49], v[2:3], v[90:91] op_sel_hi:[1,0,1]
	;; [unrolled: 1-line block ×3, first 2 shown]
	v_xor_b32_e32 v98, 0x80000000, v65
	v_mov_b32_e32 v99, v64
	v_pk_fma_f32 v[62:63], v[62:63], v[96:97], v[88:89] op_sel:[1,0,0] op_sel_hi:[0,0,1] neg_lo:[1,0,0]
	v_xor_b32_e32 v64, 0x80000000, v51
	v_mov_b32_e32 v65, v50
	v_pk_fma_f32 v[88:89], v[48:49], v[96:97], v[90:91] op_sel:[1,0,0] op_sel_hi:[0,0,1] neg_lo:[1,0,0]
	v_pk_fma_f32 v[90:91], v[98:99], v[96:97], v[92:93] op_sel_hi:[1,0,1]
	v_pk_fma_f32 v[64:65], v[64:65], v[96:97], v[94:95] op_sel_hi:[1,0,1]
	s_waitcnt vmcnt(0)
	v_pk_fma_f32 v[62:63], v[40:41], v[84:85], v[62:63] op_sel_hi:[1,0,1]
	v_xor_b32_e32 v92, 0x80000000, v43
	v_mov_b32_e32 v93, v42
	v_pk_fma_f32 v[90:91], v[42:43], v[84:85], v[90:91] op_sel_hi:[1,0,1]
	v_pk_fma_f32 v[94:95], v[40:41], v[84:85], v[62:63] op_sel:[1,1,0] op_sel_hi:[0,1,1] neg_lo:[1,0,0]
	v_xor_b32_e32 v62, 0x80000000, v31
	v_mov_b32_e32 v63, v30
	v_pk_fma_f32 v[88:89], v[28:29], v[84:85], v[88:89] op_sel_hi:[1,0,1]
	v_pk_fma_f32 v[64:65], v[30:31], v[84:85], v[64:65] op_sel_hi:[1,0,1]
	v_pk_fma_f32 v[88:89], v[28:29], v[84:85], v[88:89] op_sel:[1,1,0] op_sel_hi:[0,1,1] neg_lo:[1,0,0]
	v_pk_fma_f32 v[90:91], v[92:93], v[84:85], v[90:91] op_sel:[0,1,0]
	v_pk_fma_f32 v[84:85], v[62:63], v[84:85], v[64:65] op_sel:[0,1,0]
	v_pk_fma_f32 v[92:93], v[80:81], v[86:87], v[94:95] op_sel_hi:[1,0,1]
	v_pk_fma_f32 v[90:91], v[82:83], v[86:87], v[90:91] op_sel_hi:[1,0,1]
	;; [unrolled: 1-line block ×4, first 2 shown]
	v_mov_b32_e32 v86, v87
	v_pk_fma_f32 v[88:89], v[76:77], v[86:87], v[88:89] op_sel:[1,0,0] op_sel_hi:[0,0,1] neg_lo:[1,0,0]
	v_lshlrev_b32_e32 v76, 2, v59
	v_ashrrev_i32_e32 v77, 31, v76
	v_lshlrev_b64 v[76:77], 3, v[76:77]
	v_add_co_u32_e32 v98, vcc, s10, v76
	global_load_dwordx4 v[32:35], v[34:35], off offset:64
	v_xor_b32_e32 v94, 0x80000000, v83
	global_load_dwordx4 v[0:3], v[44:45], off
	global_load_dwordx4 v[66:69], v[44:45], off offset:48
	global_load_dwordx4 v[28:31], v[44:45], off offset:64
	;; [unrolled: 1-line block ×6, first 2 shown]
	v_mov_b32_e32 v95, v82
	v_pk_fma_f32 v[92:93], v[80:81], v[86:87], v[92:93] op_sel:[1,0,0] op_sel_hi:[0,0,1] neg_lo:[1,0,0]
	global_load_dwordx4 v[80:83], v[44:45], off offset:112
	v_xor_b32_e32 v44, 0x80000000, v79
	v_mov_b32_e32 v45, v78
	v_addc_co_u32_e32 v99, vcc, v47, v77, vcc
	v_pk_fma_f32 v[90:91], v[94:95], v[86:87], v[90:91] op_sel_hi:[1,0,1]
	v_pk_fma_f32 v[44:45], v[44:45], v[86:87], v[84:85] op_sel_hi:[1,0,1]
	global_load_dwordx4 v[76:79], v[98:99], off
	global_load_dwordx4 v[84:87], v[98:99], off offset:16
	v_subrev_u32_e32 v59, s16, v102
	v_xor_b32_e32 v96, 0x80000000, v7
	v_mov_b32_e32 v97, v6
	v_xor_b32_e32 v98, 0x80000000, v15
	v_mov_b32_e32 v99, v14
	s_waitcnt vmcnt(1)
	v_pk_fma_f32 v[92:93], v[4:5], v[76:77], v[92:93] op_sel_hi:[1,0,1]
	v_pk_fma_f32 v[92:93], v[4:5], v[76:77], v[92:93] op_sel:[1,1,0] op_sel_hi:[0,1,1] neg_lo:[1,0,0]
	v_lshlrev_b32_e32 v4, 2, v59
	v_ashrrev_i32_e32 v5, 31, v4
	v_lshlrev_b64 v[4:5], 3, v[4:5]
	v_add_co_u32_e32 v94, vcc, s10, v4
	v_addc_co_u32_e32 v95, vcc, v47, v5, vcc
	v_pk_fma_f32 v[4:5], v[36:37], v[76:77], v[88:89] op_sel_hi:[1,0,1]
	v_pk_fma_f32 v[90:91], v[6:7], v[76:77], v[90:91] op_sel_hi:[1,0,1]
	v_pk_fma_f32 v[88:89], v[36:37], v[76:77], v[4:5] op_sel:[1,1,0] op_sel_hi:[0,1,1] neg_lo:[1,0,0]
	global_load_dwordx4 v[4:7], v[94:95], off
	v_pk_fma_f32 v[44:45], v[38:39], v[76:77], v[44:45] op_sel_hi:[1,0,1]
	global_load_dwordx4 v[36:39], v[94:95], off offset:16
	v_pk_fma_f32 v[90:91], v[96:97], v[76:77], v[90:91] op_sel:[0,1,0]
	v_pk_fma_f32 v[44:45], v[100:101], v[76:77], v[44:45] op_sel:[0,1,0]
	v_pk_fma_f32 v[92:93], v[12:13], v[78:79], v[92:93] op_sel_hi:[1,0,1]
	v_pk_fma_f32 v[14:15], v[14:15], v[78:79], v[90:91] op_sel_hi:[1,0,1]
	;; [unrolled: 1-line block ×4, first 2 shown]
	v_mov_b32_e32 v78, v79
	v_xor_b32_e32 v90, 0x80000000, v23
	v_mov_b32_e32 v91, v22
	v_pk_fma_f32 v[12:13], v[12:13], v[78:79], v[92:93] op_sel:[1,0,0] op_sel_hi:[0,0,1] neg_lo:[1,0,0]
	v_pk_fma_f32 v[20:21], v[20:21], v[78:79], v[88:89] op_sel:[1,0,0] op_sel_hi:[0,0,1] neg_lo:[1,0,0]
	v_pk_fma_f32 v[14:15], v[98:99], v[78:79], v[14:15] op_sel_hi:[1,0,1]
	v_pk_fma_f32 v[44:45], v[90:91], v[78:79], v[44:45] op_sel_hi:[1,0,1]
	v_xor_b32_e32 v76, 0x80000000, v35
	v_mov_b32_e32 v77, v34
	v_xor_b32_e32 v22, 0x80000000, v11
	v_mov_b32_e32 v23, v10
	s_waitcnt vmcnt(2)
	v_pk_fma_f32 v[12:13], v[32:33], v[84:85], v[12:13] op_sel_hi:[1,0,1]
	v_pk_fma_f32 v[14:15], v[34:35], v[84:85], v[14:15] op_sel_hi:[1,0,1]
	;; [unrolled: 1-line block ×4, first 2 shown]
	v_pk_fma_f32 v[12:13], v[32:33], v[84:85], v[12:13] op_sel:[1,1,0] op_sel_hi:[0,1,1] neg_lo:[1,0,0]
	v_pk_fma_f32 v[8:9], v[8:9], v[84:85], v[20:21] op_sel:[1,1,0] op_sel_hi:[0,1,1] neg_lo:[1,0,0]
	v_pk_fma_f32 v[14:15], v[76:77], v[84:85], v[14:15] op_sel:[0,1,0]
	v_pk_fma_f32 v[10:11], v[22:23], v[84:85], v[10:11] op_sel:[0,1,0]
	v_xor_b32_e32 v92, 0x80000000, v19
	v_mov_b32_e32 v93, v18
	v_xor_b32_e32 v88, 0x80000000, v27
	v_mov_b32_e32 v89, v26
	v_mov_b32_e32 v76, v87
	v_pk_fma_f32 v[12:13], v[16:17], v[86:87], v[12:13] op_sel_hi:[1,0,1]
	v_pk_fma_f32 v[14:15], v[18:19], v[86:87], v[14:15] op_sel_hi:[1,0,1]
	;; [unrolled: 1-line block ×4, first 2 shown]
	v_pk_fma_f32 v[12:13], v[16:17], v[76:77], v[12:13] op_sel:[1,0,0] op_sel_hi:[0,0,1] neg_lo:[1,0,0]
	v_pk_fma_f32 v[8:9], v[24:25], v[76:77], v[8:9] op_sel:[1,0,0] op_sel_hi:[0,0,1] neg_lo:[1,0,0]
	v_pk_fma_f32 v[14:15], v[92:93], v[76:77], v[14:15] op_sel_hi:[1,0,1]
	v_pk_fma_f32 v[10:11], v[88:89], v[76:77], v[10:11] op_sel_hi:[1,0,1]
	v_xor_b32_e32 v94, 0x80000000, v3
	v_mov_b32_e32 v95, v2
	v_xor_b32_e32 v32, 0x80000000, v51
	v_mov_b32_e32 v33, v50
	;; [unrolled: 2-line block ×8, first 2 shown]
	s_waitcnt vmcnt(1)
	v_pk_fma_f32 v[12:13], v[0:1], v[4:5], v[12:13] op_sel_hi:[1,0,1]
	v_pk_fma_f32 v[2:3], v[2:3], v[4:5], v[14:15] op_sel_hi:[1,0,1]
	;; [unrolled: 1-line block ×4, first 2 shown]
	v_pk_fma_f32 v[0:1], v[0:1], v[4:5], v[12:13] op_sel:[1,1,0] op_sel_hi:[0,1,1] neg_lo:[1,0,0]
	v_pk_fma_f32 v[2:3], v[94:95], v[4:5], v[2:3] op_sel:[0,1,0]
	v_pk_fma_f32 v[8:9], v[48:49], v[4:5], v[8:9] op_sel:[1,1,0] op_sel_hi:[0,1,1] neg_lo:[1,0,0]
	v_pk_fma_f32 v[4:5], v[32:33], v[4:5], v[10:11] op_sel:[0,1,0]
	v_mov_b32_e32 v22, v7
	v_pk_fma_f32 v[0:1], v[72:73], v[6:7], v[0:1] op_sel_hi:[1,0,1]
	v_pk_fma_f32 v[2:3], v[74:75], v[6:7], v[2:3] op_sel_hi:[1,0,1]
	v_pk_fma_f32 v[8:9], v[66:67], v[6:7], v[8:9] op_sel_hi:[1,0,1]
	v_pk_fma_f32 v[4:5], v[68:69], v[6:7], v[4:5] op_sel_hi:[1,0,1]
	v_pk_fma_f32 v[0:1], v[72:73], v[22:23], v[0:1] op_sel:[1,0,0] op_sel_hi:[0,0,1] neg_lo:[1,0,0]
	v_pk_fma_f32 v[2:3], v[96:97], v[22:23], v[2:3] op_sel_hi:[1,0,1]
	v_pk_fma_f32 v[6:7], v[66:67], v[22:23], v[8:9] op_sel:[1,0,0] op_sel_hi:[0,0,1] neg_lo:[1,0,0]
	v_pk_fma_f32 v[4:5], v[34:35], v[22:23], v[4:5] op_sel_hi:[1,0,1]
	s_waitcnt vmcnt(0)
	v_pk_fma_f32 v[0:1], v[28:29], v[36:37], v[0:1] op_sel_hi:[1,0,1]
	v_pk_fma_f32 v[2:3], v[30:31], v[36:37], v[2:3] op_sel_hi:[1,0,1]
	;; [unrolled: 1-line block ×4, first 2 shown]
	v_pk_fma_f32 v[0:1], v[28:29], v[36:37], v[0:1] op_sel:[1,1,0] op_sel_hi:[0,1,1] neg_lo:[1,0,0]
	v_pk_fma_f32 v[2:3], v[78:79], v[36:37], v[2:3] op_sel:[0,1,0]
	v_pk_fma_f32 v[6:7], v[40:41], v[36:37], v[6:7] op_sel:[1,1,0] op_sel_hi:[0,1,1] neg_lo:[1,0,0]
	v_pk_fma_f32 v[4:5], v[20:21], v[36:37], v[4:5] op_sel:[0,1,0]
	v_mov_b32_e32 v18, v39
	v_pk_fma_f32 v[0:1], v[62:63], v[38:39], v[0:1] op_sel_hi:[1,0,1]
	v_pk_fma_f32 v[2:3], v[64:65], v[38:39], v[2:3] op_sel_hi:[1,0,1]
	v_pk_fma_f32 v[6:7], v[80:81], v[38:39], v[6:7] op_sel_hi:[1,0,1]
	v_pk_fma_f32 v[4:5], v[82:83], v[38:39], v[4:5] op_sel_hi:[1,0,1]
	v_pk_fma_f32 v[42:43], v[62:63], v[18:19], v[0:1] op_sel:[1,0,0] op_sel_hi:[0,0,1] neg_lo:[1,0,0]
	v_pk_fma_f32 v[40:41], v[90:91], v[18:19], v[2:3] op_sel_hi:[1,0,1]
	v_pk_fma_f32 v[38:39], v[80:81], v[18:19], v[6:7] op_sel:[1,0,0] op_sel_hi:[0,0,1] neg_lo:[1,0,0]
	v_pk_fma_f32 v[36:37], v[44:45], v[18:19], v[4:5] op_sel_hi:[1,0,1]
	s_andn2_b64 exec, exec, s[8:9]
	s_cbranch_execnz .LBB14_39
; %bb.40:
	s_or_b64 exec, exec, s[8:9]
.LBB14_41:
	s_or_b64 exec, exec, s[6:7]
.LBB14_42:
	s_or_b64 exec, exec, s[2:3]
.LBB14_43:
	v_mov_b32_dpp v6, v41 row_shr:1 row_mask:0xf bank_mask:0xf
	v_add_f32_e32 v6, v41, v6
	v_mov_b32_dpp v0, v42 row_shr:1 row_mask:0xf bank_mask:0xf
	v_mov_b32_dpp v2, v43 row_shr:1 row_mask:0xf bank_mask:0xf
	;; [unrolled: 1-line block ×3, first 2 shown]
	v_add_f32_e32 v6, v6, v7
	v_mov_b32_dpp v4, v40 row_shr:1 row_mask:0xf bank_mask:0xf
	v_add_f32_e32 v0, v42, v0
	v_mov_b32_dpp v7, v6 row_shr:4 row_mask:0xf bank_mask:0xe
	v_add_f32_e32 v6, v6, v7
	v_add_f32_e32 v2, v43, v2
	;; [unrolled: 1-line block ×3, first 2 shown]
	v_mov_b32_dpp v7, v6 row_shr:8 row_mask:0xf bank_mask:0xc
	v_add_f32_e32 v6, v6, v7
	v_mov_b32_dpp v1, v0 row_shr:2 row_mask:0xf bank_mask:0xf
	v_mov_b32_dpp v3, v2 row_shr:2 row_mask:0xf bank_mask:0xf
	v_mov_b32_dpp v7, v6 row_bcast:15 row_mask:0xa bank_mask:0xf
	v_add_f32_e32 v7, v6, v7
	v_mov_b32_dpp v6, v38 row_shr:1 row_mask:0xf bank_mask:0xf
	v_add_f32_e32 v6, v38, v6
	v_mov_b32_dpp v5, v4 row_shr:2 row_mask:0xf bank_mask:0xf
	;; [unrolled: 2-line block ×3, first 2 shown]
	v_add_f32_e32 v6, v6, v8
	v_add_f32_e32 v2, v2, v3
	;; [unrolled: 1-line block ×3, first 2 shown]
	v_mov_b32_dpp v8, v6 row_shr:4 row_mask:0xf bank_mask:0xe
	v_add_f32_e32 v6, v6, v8
	v_mov_b32_dpp v1, v0 row_shr:4 row_mask:0xf bank_mask:0xe
	v_mov_b32_dpp v3, v2 row_shr:4 row_mask:0xf bank_mask:0xe
	;; [unrolled: 1-line block ×3, first 2 shown]
	v_add_f32_e32 v6, v6, v8
	v_mov_b32_dpp v5, v4 row_shr:4 row_mask:0xf bank_mask:0xe
	v_add_f32_e32 v0, v0, v1
	v_mov_b32_dpp v8, v6 row_bcast:15 row_mask:0xa bank_mask:0xf
	v_add_f32_e32 v10, v6, v8
	v_mov_b32_dpp v6, v39 row_shr:1 row_mask:0xf bank_mask:0xf
	v_add_f32_e32 v6, v39, v6
	v_add_f32_e32 v2, v2, v3
	;; [unrolled: 1-line block ×3, first 2 shown]
	v_mov_b32_dpp v8, v6 row_shr:2 row_mask:0xf bank_mask:0xf
	v_add_f32_e32 v6, v6, v8
	v_mov_b32_dpp v1, v0 row_shr:8 row_mask:0xf bank_mask:0xc
	v_mov_b32_dpp v3, v2 row_shr:8 row_mask:0xf bank_mask:0xc
	;; [unrolled: 1-line block ×3, first 2 shown]
	v_add_f32_e32 v6, v6, v8
	v_mov_b32_dpp v5, v4 row_shr:8 row_mask:0xf bank_mask:0xc
	v_add_f32_e32 v0, v0, v1
	v_mov_b32_dpp v8, v6 row_shr:8 row_mask:0xf bank_mask:0xc
	v_add_f32_e32 v6, v6, v8
	v_add_f32_e32 v2, v2, v3
	;; [unrolled: 1-line block ×3, first 2 shown]
	v_mov_b32_dpp v8, v6 row_bcast:15 row_mask:0xa bank_mask:0xf
	v_add_f32_e32 v13, v6, v8
	v_mov_b32_dpp v6, v36 row_shr:1 row_mask:0xf bank_mask:0xf
	v_add_f32_e32 v6, v36, v6
	v_mov_b32_dpp v1, v0 row_bcast:15 row_mask:0xa bank_mask:0xf
	v_mov_b32_dpp v3, v2 row_bcast:15 row_mask:0xa bank_mask:0xf
	v_mov_b32_dpp v8, v6 row_shr:2 row_mask:0xf bank_mask:0xf
	v_add_f32_e32 v6, v6, v8
	v_mov_b32_dpp v5, v4 row_bcast:15 row_mask:0xa bank_mask:0xf
	v_add_f32_e32 v0, v0, v1
	v_mov_b32_dpp v8, v6 row_shr:4 row_mask:0xf bank_mask:0xe
	v_add_f32_e32 v6, v6, v8
	v_add_f32_e32 v2, v2, v3
	;; [unrolled: 1-line block ×3, first 2 shown]
	v_mov_b32_dpp v8, v6 row_shr:8 row_mask:0xf bank_mask:0xc
	v_add_f32_e32 v6, v6, v8
	v_mov_b32_dpp v1, v0 row_bcast:31 row_mask:0xc bank_mask:0xf
	v_mov_b32_dpp v3, v2 row_bcast:31 row_mask:0xc bank_mask:0xf
	;; [unrolled: 1-line block ×3, first 2 shown]
	v_add_f32_e32 v16, v6, v8
	v_mov_b32_dpp v6, v37 row_shr:1 row_mask:0xf bank_mask:0xf
	v_add_f32_e32 v6, v37, v6
	v_mov_b32_dpp v5, v4 row_bcast:31 row_mask:0xc bank_mask:0xf
	v_mov_b32_dpp v9, v7 row_bcast:31 row_mask:0xc bank_mask:0xf
	v_mov_b32_dpp v8, v6 row_shr:2 row_mask:0xf bank_mask:0xf
	v_add_f32_e32 v6, v6, v8
	v_mov_b32_dpp v11, v10 row_bcast:31 row_mask:0xc bank_mask:0xf
	v_mov_b32_dpp v15, v13 row_bcast:31 row_mask:0xc bank_mask:0xf
	v_mov_b32_dpp v8, v6 row_shr:4 row_mask:0xf bank_mask:0xe
	v_add_f32_e32 v6, v6, v8
	v_mov_b32_dpp v17, v16 row_bcast:31 row_mask:0xc bank_mask:0xf
	v_cmp_eq_u32_e32 vcc, 63, v57
	v_mov_b32_dpp v8, v6 row_shr:8 row_mask:0xf bank_mask:0xc
	v_add_f32_e32 v6, v6, v8
	s_nop 1
	v_mov_b32_dpp v8, v6 row_bcast:15 row_mask:0xa bank_mask:0xf
	v_add_f32_e32 v18, v6, v8
	s_nop 1
	v_mov_b32_dpp v19, v18 row_bcast:31 row_mask:0xc bank_mask:0xf
	s_and_b64 exec, exec, vcc
	s_cbranch_execz .LBB14_14
; %bb.44:
	s_load_dwordx2 s[2:3], s[4:5], 0x50
	v_add_f32_e32 v8, v0, v1
	v_and_b32_e32 v1, 0x7fffffff, v54
	v_cmp_eq_u32_e32 vcc, 0, v1
	v_cmp_eq_f32_e64 s[0:1], 0, v55
	v_add_f32_e32 v14, v2, v3
	v_add_f32_e32 v6, v4, v5
	;; [unrolled: 1-line block ×7, first 2 shown]
	s_and_b64 s[0:1], vcc, s[0:1]
	v_lshlrev_b32_e32 v16, 2, v56
	s_and_saveexec_b64 s[4:5], s[0:1]
	s_xor_b64 s[0:1], exec, s[4:5]
	s_cbranch_execz .LBB14_46
; %bb.45:
	v_xor_b32_e32 v18, 0x80000000, v53
	v_ashrrev_i32_e32 v17, 31, v16
	v_mov_b32_e32 v19, v52
	v_lshlrev_b64 v[16:17], 3, v[16:17]
	v_pk_mul_f32 v[14:15], v[14:15], v[18:19] op_sel_hi:[0,1]
	s_waitcnt lgkmcnt(0)
	v_mov_b32_e32 v1, s3
	v_add_co_u32_e32 v20, vcc, s2, v16
	v_pk_fma_f32 v[14:15], v[52:53], v[8:9], v[14:15] op_sel_hi:[1,0,1]
	v_pk_mul_f32 v[8:9], v[12:13], v[18:19] op_sel_hi:[0,1]
	v_addc_co_u32_e32 v21, vcc, v1, v17, vcc
	v_pk_fma_f32 v[16:17], v[52:53], v[6:7], v[8:9] op_sel_hi:[1,0,1]
	v_pk_mul_f32 v[6:7], v[10:11], v[18:19] op_sel_hi:[0,1]
	v_pk_mul_f32 v[4:5], v[4:5], v[18:19] op_sel_hi:[0,1]
	v_pk_fma_f32 v[2:3], v[52:53], v[2:3], v[6:7] op_sel_hi:[1,0,1]
	v_pk_fma_f32 v[4:5], v[52:53], v[0:1], v[4:5] op_sel_hi:[1,0,1]
	global_store_dwordx4 v[20:21], v[14:17], off
	global_store_dwordx4 v[20:21], v[2:5], off offset:16
                                        ; implicit-def: $vgpr53
                                        ; implicit-def: $vgpr54
                                        ; implicit-def: $vgpr8
                                        ; implicit-def: $vgpr14
                                        ; implicit-def: $vgpr6
                                        ; implicit-def: $vgpr12
                                        ; implicit-def: $vgpr2
                                        ; implicit-def: $vgpr10
                                        ; implicit-def: $vgpr0
                                        ; implicit-def: $vgpr4
                                        ; implicit-def: $vgpr16
.LBB14_46:
	s_andn2_saveexec_b64 s[0:1], s[0:1]
	s_cbranch_execz .LBB14_14
; %bb.47:
	v_ashrrev_i32_e32 v17, 31, v16
	v_lshlrev_b64 v[16:17], 3, v[16:17]
	s_waitcnt lgkmcnt(0)
	v_mov_b32_e32 v1, s3
	v_add_co_u32_e32 v24, vcc, s2, v16
	v_addc_co_u32_e32 v25, vcc, v1, v17, vcc
	global_load_dwordx4 v[16:19], v[24:25], off
	global_load_dwordx4 v[20:23], v[24:25], off offset:16
	v_xor_b32_e32 v26, 0x80000000, v53
	v_mov_b32_e32 v27, v52
	v_pk_mul_f32 v[14:15], v[14:15], v[26:27] op_sel_hi:[0,1]
	v_pk_mul_f32 v[12:13], v[12:13], v[26:27] op_sel_hi:[0,1]
	;; [unrolled: 1-line block ×4, first 2 shown]
	v_pk_fma_f32 v[8:9], v[52:53], v[8:9], v[14:15] op_sel_hi:[1,0,1]
	v_pk_fma_f32 v[6:7], v[52:53], v[6:7], v[12:13] op_sel_hi:[1,0,1]
	v_xor_b32_e32 v28, 0x80000000, v55
	v_mov_b32_e32 v29, v54
	v_pk_fma_f32 v[2:3], v[52:53], v[2:3], v[10:11] op_sel_hi:[1,0,1]
	v_pk_fma_f32 v[0:1], v[52:53], v[0:1], v[4:5] op_sel_hi:[1,0,1]
	s_waitcnt vmcnt(1)
	v_pk_fma_f32 v[4:5], v[54:55], v[16:17], v[8:9] op_sel_hi:[1,0,1]
	v_pk_fma_f32 v[6:7], v[54:55], v[18:19], v[6:7] op_sel_hi:[1,0,1]
	v_mov_b32_e32 v8, v19
	s_waitcnt vmcnt(0)
	v_pk_fma_f32 v[10:11], v[54:55], v[20:21], v[2:3] op_sel_hi:[1,0,1]
	v_pk_fma_f32 v[12:13], v[54:55], v[22:23], v[0:1] op_sel_hi:[1,0,1]
	v_mov_b32_e32 v14, v23
	v_pk_fma_f32 v[0:1], v[28:29], v[16:17], v[4:5] op_sel:[0,1,0]
	v_pk_fma_f32 v[2:3], v[28:29], v[8:9], v[6:7] op_sel_hi:[1,0,1]
	v_pk_fma_f32 v[4:5], v[28:29], v[20:21], v[10:11] op_sel:[0,1,0]
	v_pk_fma_f32 v[6:7], v[28:29], v[14:15], v[12:13] op_sel_hi:[1,0,1]
	global_store_dwordx4 v[24:25], v[0:3], off
	global_store_dwordx4 v[24:25], v[4:7], off offset:16
	s_endpgm
	.section	.rodata,"a",@progbits
	.p2align	6, 0x0
	.amdhsa_kernel _ZN9rocsparseL18bsrxmvn_4x4_kernelILj128ELj64E21rocsparse_complex_numIfEiiS2_S2_S2_EEvT3_20rocsparse_direction_NS_24const_host_device_scalarIT1_EES3_PKS3_PKT2_SC_S9_PKT4_PKT5_S7_PT6_21rocsparse_index_base_b
		.amdhsa_group_segment_fixed_size 0
		.amdhsa_private_segment_fixed_size 0
		.amdhsa_kernarg_size 96
		.amdhsa_user_sgpr_count 6
		.amdhsa_user_sgpr_private_segment_buffer 1
		.amdhsa_user_sgpr_dispatch_ptr 0
		.amdhsa_user_sgpr_queue_ptr 0
		.amdhsa_user_sgpr_kernarg_segment_ptr 1
		.amdhsa_user_sgpr_dispatch_id 0
		.amdhsa_user_sgpr_flat_scratch_init 0
		.amdhsa_user_sgpr_kernarg_preload_length 0
		.amdhsa_user_sgpr_kernarg_preload_offset 0
		.amdhsa_user_sgpr_private_segment_size 0
		.amdhsa_uses_dynamic_stack 0
		.amdhsa_system_sgpr_private_segment_wavefront_offset 0
		.amdhsa_system_sgpr_workgroup_id_x 1
		.amdhsa_system_sgpr_workgroup_id_y 0
		.amdhsa_system_sgpr_workgroup_id_z 0
		.amdhsa_system_sgpr_workgroup_info 0
		.amdhsa_system_vgpr_workitem_id 0
		.amdhsa_next_free_vgpr 104
		.amdhsa_next_free_sgpr 24
		.amdhsa_accum_offset 104
		.amdhsa_reserve_vcc 1
		.amdhsa_reserve_flat_scratch 0
		.amdhsa_float_round_mode_32 0
		.amdhsa_float_round_mode_16_64 0
		.amdhsa_float_denorm_mode_32 3
		.amdhsa_float_denorm_mode_16_64 3
		.amdhsa_dx10_clamp 1
		.amdhsa_ieee_mode 1
		.amdhsa_fp16_overflow 0
		.amdhsa_tg_split 0
		.amdhsa_exception_fp_ieee_invalid_op 0
		.amdhsa_exception_fp_denorm_src 0
		.amdhsa_exception_fp_ieee_div_zero 0
		.amdhsa_exception_fp_ieee_overflow 0
		.amdhsa_exception_fp_ieee_underflow 0
		.amdhsa_exception_fp_ieee_inexact 0
		.amdhsa_exception_int_div_zero 0
	.end_amdhsa_kernel
	.section	.text._ZN9rocsparseL18bsrxmvn_4x4_kernelILj128ELj64E21rocsparse_complex_numIfEiiS2_S2_S2_EEvT3_20rocsparse_direction_NS_24const_host_device_scalarIT1_EES3_PKS3_PKT2_SC_S9_PKT4_PKT5_S7_PT6_21rocsparse_index_base_b,"axG",@progbits,_ZN9rocsparseL18bsrxmvn_4x4_kernelILj128ELj64E21rocsparse_complex_numIfEiiS2_S2_S2_EEvT3_20rocsparse_direction_NS_24const_host_device_scalarIT1_EES3_PKS3_PKT2_SC_S9_PKT4_PKT5_S7_PT6_21rocsparse_index_base_b,comdat
.Lfunc_end14:
	.size	_ZN9rocsparseL18bsrxmvn_4x4_kernelILj128ELj64E21rocsparse_complex_numIfEiiS2_S2_S2_EEvT3_20rocsparse_direction_NS_24const_host_device_scalarIT1_EES3_PKS3_PKT2_SC_S9_PKT4_PKT5_S7_PT6_21rocsparse_index_base_b, .Lfunc_end14-_ZN9rocsparseL18bsrxmvn_4x4_kernelILj128ELj64E21rocsparse_complex_numIfEiiS2_S2_S2_EEvT3_20rocsparse_direction_NS_24const_host_device_scalarIT1_EES3_PKS3_PKT2_SC_S9_PKT4_PKT5_S7_PT6_21rocsparse_index_base_b
                                        ; -- End function
	.section	.AMDGPU.csdata,"",@progbits
; Kernel info:
; codeLenInByte = 7432
; NumSgprs: 28
; NumVgprs: 104
; NumAgprs: 0
; TotalNumVgprs: 104
; ScratchSize: 0
; MemoryBound: 0
; FloatMode: 240
; IeeeMode: 1
; LDSByteSize: 0 bytes/workgroup (compile time only)
; SGPRBlocks: 3
; VGPRBlocks: 12
; NumSGPRsForWavesPerEU: 28
; NumVGPRsForWavesPerEU: 104
; AccumOffset: 104
; Occupancy: 4
; WaveLimiterHint : 1
; COMPUTE_PGM_RSRC2:SCRATCH_EN: 0
; COMPUTE_PGM_RSRC2:USER_SGPR: 6
; COMPUTE_PGM_RSRC2:TRAP_HANDLER: 0
; COMPUTE_PGM_RSRC2:TGID_X_EN: 1
; COMPUTE_PGM_RSRC2:TGID_Y_EN: 0
; COMPUTE_PGM_RSRC2:TGID_Z_EN: 0
; COMPUTE_PGM_RSRC2:TIDIG_COMP_CNT: 0
; COMPUTE_PGM_RSRC3_GFX90A:ACCUM_OFFSET: 25
; COMPUTE_PGM_RSRC3_GFX90A:TG_SPLIT: 0
	.section	.text._ZN9rocsparseL18bsrxmvn_4x4_kernelILj128ELj4E21rocsparse_complex_numIdEiiS2_S2_S2_EEvT3_20rocsparse_direction_NS_24const_host_device_scalarIT1_EES3_PKS3_PKT2_SC_S9_PKT4_PKT5_S7_PT6_21rocsparse_index_base_b,"axG",@progbits,_ZN9rocsparseL18bsrxmvn_4x4_kernelILj128ELj4E21rocsparse_complex_numIdEiiS2_S2_S2_EEvT3_20rocsparse_direction_NS_24const_host_device_scalarIT1_EES3_PKS3_PKT2_SC_S9_PKT4_PKT5_S7_PT6_21rocsparse_index_base_b,comdat
	.globl	_ZN9rocsparseL18bsrxmvn_4x4_kernelILj128ELj4E21rocsparse_complex_numIdEiiS2_S2_S2_EEvT3_20rocsparse_direction_NS_24const_host_device_scalarIT1_EES3_PKS3_PKT2_SC_S9_PKT4_PKT5_S7_PT6_21rocsparse_index_base_b ; -- Begin function _ZN9rocsparseL18bsrxmvn_4x4_kernelILj128ELj4E21rocsparse_complex_numIdEiiS2_S2_S2_EEvT3_20rocsparse_direction_NS_24const_host_device_scalarIT1_EES3_PKS3_PKT2_SC_S9_PKT4_PKT5_S7_PT6_21rocsparse_index_base_b
	.p2align	8
	.type	_ZN9rocsparseL18bsrxmvn_4x4_kernelILj128ELj4E21rocsparse_complex_numIdEiiS2_S2_S2_EEvT3_20rocsparse_direction_NS_24const_host_device_scalarIT1_EES3_PKS3_PKT2_SC_S9_PKT4_PKT5_S7_PT6_21rocsparse_index_base_b,@function
_ZN9rocsparseL18bsrxmvn_4x4_kernelILj128ELj4E21rocsparse_complex_numIdEiiS2_S2_S2_EEvT3_20rocsparse_direction_NS_24const_host_device_scalarIT1_EES3_PKS3_PKT2_SC_S9_PKT4_PKT5_S7_PT6_21rocsparse_index_base_b: ; @_ZN9rocsparseL18bsrxmvn_4x4_kernelILj128ELj4E21rocsparse_complex_numIdEiiS2_S2_S2_EEvT3_20rocsparse_direction_NS_24const_host_device_scalarIT1_EES3_PKS3_PKT2_SC_S9_PKT4_PKT5_S7_PT6_21rocsparse_index_base_b
; %bb.0:
	s_load_dwordx2 s[2:3], s[6:7], 0x68
	s_load_dwordx4 s[12:15], s[6:7], 0x8
	s_load_dwordx2 s[20:21], s[4:5], 0x4
	s_load_dwordx4 s[16:19], s[6:7], 0x50
	s_mov_b64 s[10:11], src_shared_base
	v_bfe_u32 v2, v0, 10, 10
	s_waitcnt lgkmcnt(0)
	s_bitcmp1_b32 s3, 0
	s_cselect_b64 s[0:1], -1, 0
	s_and_b64 vcc, s[0:1], exec
	s_cselect_b32 s3, s11, s13
	s_lshr_b32 s4, s20, 16
	v_and_b32_e32 v1, 0x3ff, v0
	s_mul_i32 s4, s4, s21
	v_mul_u32_u24_e32 v2, s21, v2
	v_mad_u32_u24 v2, s4, v1, v2
	v_bfe_u32 v0, v0, 20, 10
	v_add_lshl_u32 v0, v2, v0, 3
	v_mov_b32_e32 v6, s12
	v_add_u32_e32 v7, 0x400, v0
	v_pk_mov_b32 v[2:3], s[12:13], s[12:13] op_sel:[0,1]
	v_pk_mov_b32 v[4:5], s[16:17], s[16:17] op_sel:[0,1]
	ds_write2st64_b64 v0, v[4:5], v[2:3] offset1:2
	v_cndmask_b32_e64 v2, v6, v7, s[0:1]
	v_mov_b32_e32 v3, s3
	flat_load_dwordx2 v[64:65], v[2:3]
	s_xor_b64 s[4:5], s[0:1], -1
	v_pk_mov_b32 v[66:67], s[14:15], s[14:15] op_sel:[0,1]
	s_cbranch_vccnz .LBB15_2
; %bb.1:
	v_pk_mov_b32 v[2:3], s[12:13], s[12:13] op_sel:[0,1]
	flat_load_dwordx2 v[66:67], v[2:3] offset:8
.LBB15_2:
	s_and_b64 s[12:13], s[0:1], exec
	s_cselect_b32 s3, s11, s17
	v_mov_b32_e32 v2, s16
	v_cndmask_b32_e64 v2, v2, v0, s[0:1]
	v_mov_b32_e32 v3, s3
	flat_load_dwordx2 v[60:61], v[2:3]
	s_andn2_b64 vcc, exec, s[4:5]
	v_pk_mov_b32 v[62:63], s[18:19], s[18:19] op_sel:[0,1]
	s_cbranch_vccnz .LBB15_4
; %bb.3:
	v_pk_mov_b32 v[2:3], s[16:17], s[16:17] op_sel:[0,1]
	flat_load_dwordx2 v[62:63], v[2:3] offset:8
.LBB15_4:
	s_waitcnt vmcnt(0) lgkmcnt(0)
	v_cmp_eq_f64_e32 vcc, 0, v[64:65]
	v_cmp_eq_f64_e64 s[0:1], 0, v[66:67]
	s_and_b64 s[10:11], vcc, s[0:1]
	s_mov_b64 s[0:1], -1
	s_and_saveexec_b64 s[4:5], s[10:11]
; %bb.5:
	v_cmp_neq_f64_e32 vcc, 1.0, v[60:61]
	v_cmp_neq_f64_e64 s[0:1], 0, v[62:63]
	s_or_b64 s[0:1], vcc, s[0:1]
	s_orn2_b64 s[0:1], s[0:1], exec
; %bb.6:
	s_or_b64 exec, exec, s[4:5]
	s_and_saveexec_b64 s[4:5], s[0:1]
	s_cbranch_execz .LBB15_12
; %bb.7:
	s_load_dwordx2 s[10:11], s[6:7], 0x20
	s_load_dwordx2 s[0:1], s[6:7], 0x0
	v_lshrrev_b32_e32 v0, 2, v1
	v_lshl_or_b32 v68, s8, 5, v0
	s_mov_b64 s[4:5], 0
	s_waitcnt lgkmcnt(0)
	s_cmp_lg_u64 s[10:11], 0
	s_cbranch_scc0 .LBB15_13
; %bb.8:
	s_load_dword s3, s[6:7], 0x18
                                        ; implicit-def: $vgpr0
	s_waitcnt lgkmcnt(0)
	v_cmp_gt_i32_e32 vcc, s3, v68
	s_and_saveexec_b64 s[8:9], vcc
	s_xor_b64 s[8:9], exec, s[8:9]
	s_cbranch_execz .LBB15_10
; %bb.9:
	v_ashrrev_i32_e32 v69, 31, v68
	v_lshlrev_b64 v[2:3], 2, v[68:69]
	v_mov_b32_e32 v0, s11
	v_add_co_u32_e32 v2, vcc, s10, v2
	v_addc_co_u32_e32 v3, vcc, v0, v3, vcc
	global_load_dword v0, v[2:3], off
	s_mov_b64 s[4:5], exec
	s_waitcnt vmcnt(0)
	v_subrev_u32_e32 v0, s2, v0
.LBB15_10:
	s_or_b64 exec, exec, s[8:9]
	s_branch .LBB15_14
.LBB15_11:
	v_cmp_gt_i32_e32 vcc, s0, v68
	s_andn2_b64 s[4:5], s[4:5], exec
	s_and_b64 s[8:9], vcc, exec
	s_or_b64 s[4:5], s[4:5], s[8:9]
	s_and_b64 exec, exec, s[4:5]
	s_cbranch_execnz .LBB15_15
.LBB15_12:
	s_endpgm
.LBB15_13:
                                        ; implicit-def: $vgpr0
	s_cbranch_execnz .LBB15_11
.LBB15_14:
	v_mov_b32_e32 v68, v0
	s_and_b64 exec, exec, s[4:5]
	s_cbranch_execz .LBB15_12
.LBB15_15:
	s_load_dwordx8 s[8:15], s[6:7], 0x28
	v_ashrrev_i32_e32 v69, 31, v68
	v_lshlrev_b64 v[2:3], 2, v[68:69]
	v_and_b32_e32 v69, 3, v1
	s_load_dwordx2 s[4:5], s[6:7], 0x48
	s_waitcnt lgkmcnt(0)
	v_mov_b32_e32 v0, s9
	v_add_co_u32_e32 v4, vcc, s8, v2
	v_addc_co_u32_e32 v5, vcc, v0, v3, vcc
	v_add_co_u32_e32 v0, vcc, 4, v4
	global_load_dword v30, v[4:5], off
	v_addc_co_u32_e32 v4, vcc, 0, v5, vcc
	v_mov_b32_e32 v5, s11
	v_add_co_u32_e32 v2, vcc, s10, v2
	s_cmp_eq_u64 s[10:11], 0
	v_addc_co_u32_e32 v3, vcc, v5, v3, vcc
	s_cselect_b64 vcc, -1, 0
	v_cndmask_b32_e32 v3, v3, v4, vcc
	v_cndmask_b32_e32 v2, v2, v0, vcc
	global_load_dword v0, v[2:3], off
	v_mov_b32_e32 v2, s15
	s_cmp_eq_u32 s1, 1
	s_waitcnt vmcnt(1)
	v_subrev_u32_e32 v1, s2, v30
	v_add_u32_e32 v72, v1, v69
	v_ashrrev_i32_e32 v73, 31, v72
	s_waitcnt vmcnt(0)
	v_subrev_u32_e32 v92, s2, v0
	v_lshlrev_b64 v[0:1], 8, v[72:73]
	v_add_co_u32_e32 v74, vcc, s14, v0
	v_addc_co_u32_e32 v75, vcc, v2, v1, vcc
	v_cmp_lt_i32_e64 s[0:1], v72, v92
	s_cbranch_scc1 .LBB15_27
; %bb.16:
	v_pk_mov_b32 v[76:77], 0, 0
	s_mov_b64 s[8:9], 0
	v_pk_mov_b32 v[58:59], v[76:77], v[76:77] op_sel:[0,1]
	v_pk_mov_b32 v[52:53], v[76:77], v[76:77] op_sel:[0,1]
	;; [unrolled: 1-line block ×7, first 2 shown]
	s_and_saveexec_b64 s[10:11], s[0:1]
	s_cbranch_execz .LBB15_26
; %bb.17:
	v_add_u32_e32 v0, v30, v69
	v_subrev_u32_e32 v0, s2, v0
	v_add_u32_e32 v0, 4, v0
	v_max_i32_e32 v0, v0, v92
	v_not_b32_e32 v1, v30
	v_add3_u32 v0, v0, s2, v1
	v_sub_u32_e32 v12, v0, v69
	v_lshrrev_b32_e32 v0, 2, v12
	v_add_u32_e32 v0, 1, v0
	v_and_b32_e32 v0, 3, v0
	v_pk_mov_b32 v[80:81], 0, 0
	v_cmp_ne_u32_e32 vcc, 0, v0
	v_pk_mov_b32 v[56:57], v[80:81], v[80:81] op_sel:[0,1]
	v_pk_mov_b32 v[78:79], v[80:81], v[80:81] op_sel:[0,1]
	;; [unrolled: 1-line block ×8, first 2 shown]
	v_mov_b32_e32 v16, v72
	s_and_saveexec_b64 s[14:15], vcc
	s_cbranch_execz .LBB15_21
; %bb.18:
	v_pk_mov_b32 v[76:77], 0, 0
	v_lshlrev_b32_e32 v13, 8, v0
	s_mov_b64 s[16:17], 0
	v_mov_b32_e32 v14, s13
	v_mov_b32_e32 v15, s5
	v_mov_b32_e32 v16, v72
	v_pk_mov_b32 v[18:19], v[74:75], v[74:75] op_sel:[0,1]
	v_pk_mov_b32 v[58:59], v[76:77], v[76:77] op_sel:[0,1]
	;; [unrolled: 1-line block ×8, first 2 shown]
.LBB15_19:                              ; =>This Inner Loop Header: Depth=1
	v_ashrrev_i32_e32 v17, 31, v16
	v_lshlrev_b64 v[28:29], 2, v[16:17]
	v_add_co_u32_e32 v28, vcc, s12, v28
	v_addc_co_u32_e32 v29, vcc, v14, v29, vcc
	global_load_dwordx4 v[0:3], v[18:19], off offset:16
	global_load_dwordx4 v[4:7], v[18:19], off
	global_load_dwordx4 v[8:11], v[18:19], off offset:80
	global_load_dwordx4 v[20:23], v[18:19], off offset:64
	;; [unrolled: 1-line block ×12, first 2 shown]
	global_load_dword v17, v[28:29], off
	v_add_u32_e32 v13, 0xffffff00, v13
	v_add_u32_e32 v16, 4, v16
	s_waitcnt vmcnt(0)
	v_subrev_u32_e32 v17, s2, v17
	v_lshlrev_b32_e32 v28, 2, v17
	v_ashrrev_i32_e32 v29, 31, v28
	v_lshlrev_b64 v[28:29], 4, v[28:29]
	v_add_co_u32_e32 v28, vcc, s4, v28
	v_addc_co_u32_e32 v29, vcc, v15, v29, vcc
	global_load_dwordx4 v[102:105], v[28:29], off
	global_load_dwordx4 v[106:109], v[28:29], off offset:16
	s_waitcnt vmcnt(1)
	v_fmac_f64_e32 v[58:59], v[4:5], v[102:103]
	v_fmac_f64_e32 v[76:77], v[6:7], v[102:103]
	v_fma_f64 v[58:59], -v[6:7], v[104:105], v[58:59]
	v_fmac_f64_e32 v[76:77], v[4:5], v[104:105]
	global_load_dwordx4 v[4:7], v[18:19], off offset:224
	v_fmac_f64_e32 v[56:57], v[20:21], v[102:103]
	v_fmac_f64_e32 v[80:81], v[22:23], v[102:103]
	;; [unrolled: 1-line block ×4, first 2 shown]
	v_fma_f64 v[56:57], -v[22:23], v[104:105], v[56:57]
	v_fmac_f64_e32 v[80:81], v[20:21], v[104:105]
	global_load_dwordx4 v[20:23], v[18:19], off offset:240
	v_fma_f64 v[54:55], -v[34:35], v[104:105], v[54:55]
	v_fmac_f64_e32 v[78:79], v[32:33], v[104:105]
	global_load_dwordx4 v[32:35], v[28:29], off offset:32
	global_load_dwordx4 v[110:113], v[28:29], off offset:48
	v_fmac_f64_e32 v[52:53], v[36:37], v[102:103]
	v_fmac_f64_e32 v[70:71], v[38:39], v[102:103]
	v_fma_f64 v[28:29], -v[38:39], v[104:105], v[52:53]
	v_fmac_f64_e32 v[70:71], v[36:37], v[104:105]
	s_waitcnt vmcnt(4)
	v_fmac_f64_e32 v[58:59], v[0:1], v[106:107]
	v_fmac_f64_e32 v[76:77], v[2:3], v[106:107]
	;; [unrolled: 1-line block ×8, first 2 shown]
	v_fma_f64 v[2:3], -v[2:3], v[108:109], v[58:59]
	v_fmac_f64_e32 v[76:77], v[0:1], v[108:109]
	v_fma_f64 v[0:1], -v[10:11], v[108:109], v[56:57]
	v_fmac_f64_e32 v[80:81], v[8:9], v[108:109]
	v_fma_f64 v[8:9], -v[26:27], v[108:109], v[54:55]
	v_fmac_f64_e32 v[78:79], v[24:25], v[108:109]
	v_fma_f64 v[10:11], -v[42:43], v[108:109], v[28:29]
	v_fmac_f64_e32 v[70:71], v[40:41], v[108:109]
	v_add_co_u32_e32 v18, vcc, 0x400, v18
	v_addc_co_u32_e32 v19, vcc, 0, v19, vcc
	v_cmp_eq_u32_e32 vcc, 0, v13
	s_or_b64 s[16:17], vcc, s[16:17]
	s_waitcnt vmcnt(1)
	v_fmac_f64_e32 v[2:3], v[48:49], v[32:33]
	v_fmac_f64_e32 v[76:77], v[50:51], v[32:33]
	;; [unrolled: 1-line block ×8, first 2 shown]
	v_fma_f64 v[2:3], -v[50:51], v[34:35], v[2:3]
	v_fmac_f64_e32 v[76:77], v[48:49], v[34:35]
	v_fma_f64 v[0:1], -v[88:89], v[34:35], v[0:1]
	v_fmac_f64_e32 v[80:81], v[86:87], v[34:35]
	v_fma_f64 v[8:9], -v[100:101], v[34:35], v[8:9]
	v_fmac_f64_e32 v[78:79], v[98:99], v[34:35]
	v_fma_f64 v[6:7], -v[6:7], v[34:35], v[10:11]
	v_fmac_f64_e32 v[70:71], v[4:5], v[34:35]
	s_waitcnt vmcnt(0)
	v_fmac_f64_e32 v[2:3], v[44:45], v[110:111]
	v_fmac_f64_e32 v[76:77], v[46:47], v[110:111]
	;; [unrolled: 1-line block ×8, first 2 shown]
	v_fma_f64 v[58:59], -v[46:47], v[112:113], v[2:3]
	v_fmac_f64_e32 v[76:77], v[44:45], v[112:113]
	v_fma_f64 v[56:57], -v[84:85], v[112:113], v[0:1]
	v_fmac_f64_e32 v[80:81], v[82:83], v[112:113]
	;; [unrolled: 2-line block ×4, first 2 shown]
	s_andn2_b64 exec, exec, s[16:17]
	s_cbranch_execnz .LBB15_19
; %bb.20:
	s_or_b64 exec, exec, s[16:17]
.LBB15_21:
	s_or_b64 exec, exec, s[14:15]
	v_cmp_lt_u32_e32 vcc, 11, v12
	s_and_saveexec_b64 s[14:15], vcc
	s_cbranch_execz .LBB15_25
; %bb.22:
	s_mov_b64 s[16:17], 0
	v_mov_b32_e32 v31, s13
	v_mov_b32_e32 v32, s5
.LBB15_23:                              ; =>This Inner Loop Header: Depth=1
	v_ashrrev_i32_e32 v17, 31, v16
	v_lshlrev_b64 v[0:1], 2, v[16:17]
	v_add_co_u32_e32 v20, vcc, s12, v0
	v_addc_co_u32_e32 v21, vcc, v31, v1, vcc
	global_load_dword v0, v[20:21], off
	global_load_dwordx4 v[24:27], v[18:19], off offset:48
	global_load_dwordx4 v[34:37], v[18:19], off offset:32
	;; [unrolled: 1-line block ×3, first 2 shown]
	global_load_dwordx4 v[42:45], v[18:19], off
	v_add_u32_e32 v16, 16, v16
	s_waitcnt vmcnt(4)
	v_subrev_u32_e32 v0, s2, v0
	v_lshlrev_b32_e32 v0, 2, v0
	v_ashrrev_i32_e32 v1, 31, v0
	v_lshlrev_b64 v[0:1], 4, v[0:1]
	v_add_co_u32_e32 v22, vcc, s4, v0
	v_addc_co_u32_e32 v23, vcc, v32, v1, vcc
	global_load_dwordx4 v[0:3], v[22:23], off offset:48
	global_load_dwordx4 v[4:7], v[22:23], off offset:32
	;; [unrolled: 1-line block ×3, first 2 shown]
	global_load_dwordx4 v[12:15], v[22:23], off
	s_waitcnt vmcnt(0)
	v_fmac_f64_e32 v[58:59], v[42:43], v[12:13]
	v_fma_f64 v[22:23], -v[44:45], v[14:15], v[58:59]
	v_fmac_f64_e32 v[76:77], v[44:45], v[12:13]
	v_fmac_f64_e32 v[76:77], v[42:43], v[14:15]
	v_fmac_f64_e32 v[22:23], v[38:39], v[8:9]
	v_fma_f64 v[22:23], -v[40:41], v[10:11], v[22:23]
	v_fmac_f64_e32 v[76:77], v[40:41], v[8:9]
	v_fmac_f64_e32 v[76:77], v[38:39], v[10:11]
	;; [unrolled: 4-line block ×3, first 2 shown]
	v_fmac_f64_e32 v[22:23], v[24:25], v[0:1]
	v_fma_f64 v[22:23], -v[26:27], v[2:3], v[22:23]
	v_fmac_f64_e32 v[76:77], v[26:27], v[0:1]
	global_load_dwordx4 v[26:29], v[18:19], off offset:112
	global_load_dwordx4 v[34:37], v[18:19], off offset:96
	;; [unrolled: 1-line block ×4, first 2 shown]
	v_fmac_f64_e32 v[76:77], v[24:25], v[2:3]
	s_waitcnt vmcnt(0)
	v_fmac_f64_e32 v[56:57], v[42:43], v[12:13]
	v_fmac_f64_e32 v[80:81], v[44:45], v[12:13]
	v_fma_f64 v[24:25], -v[44:45], v[14:15], v[56:57]
	v_fmac_f64_e32 v[80:81], v[42:43], v[14:15]
	v_fmac_f64_e32 v[24:25], v[38:39], v[8:9]
	v_fmac_f64_e32 v[80:81], v[40:41], v[8:9]
	v_fma_f64 v[24:25], -v[40:41], v[10:11], v[24:25]
	v_fmac_f64_e32 v[80:81], v[38:39], v[10:11]
	;; [unrolled: 4-line block ×4, first 2 shown]
	global_load_dwordx4 v[34:37], v[18:19], off offset:176
	global_load_dwordx4 v[26:29], v[18:19], off offset:160
	;; [unrolled: 1-line block ×4, first 2 shown]
	s_waitcnt vmcnt(0)
	v_fmac_f64_e32 v[54:55], v[42:43], v[12:13]
	v_fmac_f64_e32 v[78:79], v[44:45], v[12:13]
	v_fma_f64 v[46:47], -v[44:45], v[14:15], v[54:55]
	v_fmac_f64_e32 v[78:79], v[42:43], v[14:15]
	v_fmac_f64_e32 v[46:47], v[38:39], v[8:9]
	v_fmac_f64_e32 v[78:79], v[40:41], v[8:9]
	v_fma_f64 v[42:43], -v[40:41], v[10:11], v[46:47]
	v_fmac_f64_e32 v[78:79], v[38:39], v[10:11]
	;; [unrolled: 4-line block ×4, first 2 shown]
	global_load_dwordx4 v[34:37], v[18:19], off offset:240
	global_load_dwordx4 v[38:41], v[18:19], off offset:224
	;; [unrolled: 1-line block ×4, first 2 shown]
	s_waitcnt vmcnt(0)
	v_fmac_f64_e32 v[52:53], v[46:47], v[12:13]
	v_fmac_f64_e32 v[70:71], v[48:49], v[12:13]
	v_fma_f64 v[28:29], -v[48:49], v[14:15], v[52:53]
	v_fmac_f64_e32 v[70:71], v[46:47], v[14:15]
	v_fmac_f64_e32 v[28:29], v[42:43], v[8:9]
	v_fmac_f64_e32 v[70:71], v[44:45], v[8:9]
	v_fma_f64 v[12:13], -v[44:45], v[10:11], v[28:29]
	v_fmac_f64_e32 v[70:71], v[42:43], v[10:11]
	;; [unrolled: 4-line block ×3, first 2 shown]
	v_fmac_f64_e32 v[8:9], v[34:35], v[0:1]
	v_fmac_f64_e32 v[70:71], v[36:37], v[0:1]
	global_load_dword v0, v[20:21], off offset:16
	v_fma_f64 v[6:7], -v[36:37], v[2:3], v[8:9]
	v_fmac_f64_e32 v[70:71], v[34:35], v[2:3]
	global_load_dwordx4 v[2:5], v[18:19], off offset:1072
	global_load_dwordx4 v[8:11], v[18:19], off offset:1056
	;; [unrolled: 1-line block ×4, first 2 shown]
	s_waitcnt vmcnt(4)
	v_subrev_u32_e32 v0, s2, v0
	v_lshlrev_b32_e32 v0, 2, v0
	v_ashrrev_i32_e32 v1, 31, v0
	v_lshlrev_b64 v[0:1], 4, v[0:1]
	v_add_co_u32_e32 v0, vcc, s4, v0
	v_addc_co_u32_e32 v1, vcc, v32, v1, vcc
	global_load_dwordx4 v[38:41], v[0:1], off offset:48
	global_load_dwordx4 v[42:45], v[0:1], off offset:32
	;; [unrolled: 1-line block ×3, first 2 shown]
	global_load_dwordx4 v[50:53], v[0:1], off
	s_waitcnt vmcnt(0)
	v_fmac_f64_e32 v[22:23], v[34:35], v[50:51]
	v_fmac_f64_e32 v[76:77], v[36:37], v[50:51]
	v_fma_f64 v[0:1], -v[36:37], v[52:53], v[22:23]
	v_fmac_f64_e32 v[76:77], v[34:35], v[52:53]
	v_fmac_f64_e32 v[0:1], v[12:13], v[46:47]
	v_fmac_f64_e32 v[76:77], v[14:15], v[46:47]
	v_fma_f64 v[0:1], -v[14:15], v[48:49], v[0:1]
	v_fmac_f64_e32 v[76:77], v[12:13], v[48:49]
	v_fmac_f64_e32 v[0:1], v[8:9], v[42:43]
	v_fmac_f64_e32 v[76:77], v[10:11], v[42:43]
	v_fma_f64 v[0:1], -v[10:11], v[44:45], v[0:1]
	v_fmac_f64_e32 v[76:77], v[8:9], v[44:45]
	v_fmac_f64_e32 v[0:1], v[2:3], v[38:39]
	v_fmac_f64_e32 v[76:77], v[4:5], v[38:39]
	v_fma_f64 v[0:1], -v[4:5], v[40:41], v[0:1]
	v_fmac_f64_e32 v[76:77], v[2:3], v[40:41]
	global_load_dwordx4 v[8:11], v[18:19], off offset:1136
	global_load_dwordx4 v[2:5], v[18:19], off offset:1120
	global_load_dwordx4 v[12:15], v[18:19], off offset:1104
	global_load_dwordx4 v[34:37], v[18:19], off offset:1088
	s_waitcnt vmcnt(0)
	v_fmac_f64_e32 v[24:25], v[34:35], v[50:51]
	v_fmac_f64_e32 v[80:81], v[36:37], v[50:51]
	v_fma_f64 v[22:23], -v[36:37], v[52:53], v[24:25]
	v_fmac_f64_e32 v[80:81], v[34:35], v[52:53]
	v_fmac_f64_e32 v[22:23], v[12:13], v[46:47]
	v_fmac_f64_e32 v[80:81], v[14:15], v[46:47]
	v_fma_f64 v[22:23], -v[14:15], v[48:49], v[22:23]
	v_fmac_f64_e32 v[80:81], v[12:13], v[48:49]
	v_fmac_f64_e32 v[22:23], v[2:3], v[42:43]
	v_fmac_f64_e32 v[80:81], v[4:5], v[42:43]
	v_fma_f64 v[12:13], -v[4:5], v[44:45], v[22:23]
	v_fmac_f64_e32 v[80:81], v[2:3], v[44:45]
	v_fmac_f64_e32 v[12:13], v[8:9], v[38:39]
	v_fmac_f64_e32 v[80:81], v[10:11], v[38:39]
	v_fma_f64 v[2:3], -v[10:11], v[40:41], v[12:13]
	v_fmac_f64_e32 v[80:81], v[8:9], v[40:41]
	global_load_dwordx4 v[8:11], v[18:19], off offset:1200
	global_load_dwordx4 v[12:15], v[18:19], off offset:1184
	global_load_dwordx4 v[22:25], v[18:19], off offset:1168
	global_load_dwordx4 v[34:37], v[18:19], off offset:1152
	;; [unrolled: 21-line block ×3, first 2 shown]
	s_waitcnt vmcnt(0)
	v_fmac_f64_e32 v[70:71], v[28:29], v[50:51]
	v_fmac_f64_e32 v[6:7], v[26:27], v[50:51]
	v_fmac_f64_e32 v[70:71], v[26:27], v[52:53]
	v_fma_f64 v[6:7], -v[28:29], v[52:53], v[6:7]
	v_fmac_f64_e32 v[70:71], v[24:25], v[46:47]
	v_fmac_f64_e32 v[6:7], v[22:23], v[46:47]
	v_fmac_f64_e32 v[70:71], v[22:23], v[48:49]
	v_fma_f64 v[6:7], -v[24:25], v[48:49], v[6:7]
	v_fmac_f64_e32 v[70:71], v[14:15], v[42:43]
	v_fmac_f64_e32 v[6:7], v[12:13], v[42:43]
	v_fmac_f64_e32 v[70:71], v[12:13], v[44:45]
	v_fma_f64 v[6:7], -v[14:15], v[44:45], v[6:7]
	v_fmac_f64_e32 v[70:71], v[10:11], v[38:39]
	v_fmac_f64_e32 v[6:7], v[8:9], v[38:39]
	;; [unrolled: 1-line block ×3, first 2 shown]
	global_load_dword v8, v[20:21], off offset:32
	v_fma_f64 v[6:7], -v[10:11], v[40:41], v[6:7]
	s_waitcnt vmcnt(0)
	v_subrev_u32_e32 v8, s2, v8
	v_lshlrev_b32_e32 v34, 2, v8
	v_ashrrev_i32_e32 v35, 31, v34
	v_lshlrev_b64 v[34:35], 4, v[34:35]
	v_add_co_u32_e32 v50, vcc, s4, v34
	v_addc_co_u32_e32 v51, vcc, v32, v35, vcc
	global_load_dwordx4 v[8:11], v[18:19], off offset:2096
	global_load_dwordx4 v[12:15], v[18:19], off offset:2080
	global_load_dwordx4 v[22:25], v[18:19], off offset:2064
	global_load_dwordx4 v[26:29], v[18:19], off offset:2048
	global_load_dwordx4 v[34:37], v[50:51], off offset:48
	global_load_dwordx4 v[38:41], v[50:51], off offset:32
	global_load_dwordx4 v[42:45], v[50:51], off offset:16
	global_load_dwordx4 v[46:49], v[50:51], off
	s_waitcnt vmcnt(0)
	v_fmac_f64_e32 v[0:1], v[26:27], v[46:47]
	v_fmac_f64_e32 v[76:77], v[28:29], v[46:47]
	v_fma_f64 v[0:1], -v[28:29], v[48:49], v[0:1]
	v_fmac_f64_e32 v[76:77], v[26:27], v[48:49]
	v_fmac_f64_e32 v[0:1], v[22:23], v[42:43]
	v_fmac_f64_e32 v[76:77], v[24:25], v[42:43]
	v_fma_f64 v[0:1], -v[24:25], v[44:45], v[0:1]
	v_fmac_f64_e32 v[76:77], v[22:23], v[44:45]
	v_fmac_f64_e32 v[0:1], v[12:13], v[38:39]
	v_fmac_f64_e32 v[76:77], v[14:15], v[38:39]
	v_fma_f64 v[0:1], -v[14:15], v[40:41], v[0:1]
	v_fmac_f64_e32 v[76:77], v[12:13], v[40:41]
	v_fmac_f64_e32 v[0:1], v[8:9], v[34:35]
	v_fmac_f64_e32 v[76:77], v[10:11], v[34:35]
	v_fma_f64 v[28:29], -v[10:11], v[36:37], v[0:1]
	v_fmac_f64_e32 v[76:77], v[8:9], v[36:37]
	global_load_dwordx4 v[8:11], v[18:19], off offset:2160
	global_load_dwordx4 v[12:15], v[18:19], off offset:2144
	global_load_dwordx4 v[22:25], v[18:19], off offset:2128
	global_load_dwordx4 v[50:53], v[18:19], off offset:2112
	s_waitcnt vmcnt(0)
	v_fmac_f64_e32 v[2:3], v[50:51], v[46:47]
	v_fmac_f64_e32 v[80:81], v[52:53], v[46:47]
	v_fma_f64 v[0:1], -v[52:53], v[48:49], v[2:3]
	v_fmac_f64_e32 v[80:81], v[50:51], v[48:49]
	v_fmac_f64_e32 v[0:1], v[22:23], v[42:43]
	v_fmac_f64_e32 v[80:81], v[24:25], v[42:43]
	v_fma_f64 v[0:1], -v[24:25], v[44:45], v[0:1]
	v_fmac_f64_e32 v[80:81], v[22:23], v[44:45]
	v_fmac_f64_e32 v[0:1], v[12:13], v[38:39]
	v_fmac_f64_e32 v[80:81], v[14:15], v[38:39]
	v_fma_f64 v[0:1], -v[14:15], v[40:41], v[0:1]
	v_fmac_f64_e32 v[80:81], v[12:13], v[40:41]
	v_fmac_f64_e32 v[0:1], v[8:9], v[34:35]
	v_fmac_f64_e32 v[80:81], v[10:11], v[34:35]
	v_fma_f64 v[26:27], -v[10:11], v[36:37], v[0:1]
	v_fmac_f64_e32 v[80:81], v[8:9], v[36:37]
	global_load_dwordx4 v[0:3], v[18:19], off offset:2224
	global_load_dwordx4 v[8:11], v[18:19], off offset:2208
	global_load_dwordx4 v[12:15], v[18:19], off offset:2192
	global_load_dwordx4 v[22:25], v[18:19], off offset:2176
	;; [unrolled: 21-line block ×3, first 2 shown]
	s_waitcnt vmcnt(0)
	v_fmac_f64_e32 v[70:71], v[52:53], v[46:47]
	v_fmac_f64_e32 v[6:7], v[50:51], v[46:47]
	v_fmac_f64_e32 v[70:71], v[50:51], v[48:49]
	v_fma_f64 v[4:5], -v[52:53], v[48:49], v[6:7]
	v_fmac_f64_e32 v[70:71], v[14:15], v[42:43]
	v_fmac_f64_e32 v[4:5], v[12:13], v[42:43]
	v_fmac_f64_e32 v[70:71], v[12:13], v[44:45]
	v_fma_f64 v[4:5], -v[14:15], v[44:45], v[4:5]
	v_fmac_f64_e32 v[70:71], v[10:11], v[38:39]
	v_fmac_f64_e32 v[4:5], v[8:9], v[38:39]
	v_fmac_f64_e32 v[70:71], v[8:9], v[40:41]
	v_fma_f64 v[4:5], -v[10:11], v[40:41], v[4:5]
	v_fmac_f64_e32 v[70:71], v[2:3], v[34:35]
	v_fmac_f64_e32 v[4:5], v[0:1], v[34:35]
	;; [unrolled: 1-line block ×3, first 2 shown]
	global_load_dword v0, v[20:21], off offset:48
	v_fma_f64 v[22:23], -v[2:3], v[36:37], v[4:5]
	global_load_dwordx4 v[34:37], v[18:19], off offset:3120
	global_load_dwordx4 v[38:41], v[18:19], off offset:3104
	;; [unrolled: 1-line block ×4, first 2 shown]
	s_waitcnt vmcnt(4)
	v_subrev_u32_e32 v0, s2, v0
	v_lshlrev_b32_e32 v0, 2, v0
	v_ashrrev_i32_e32 v1, 31, v0
	v_lshlrev_b64 v[0:1], 4, v[0:1]
	v_add_co_u32_e32 v20, vcc, s4, v0
	v_addc_co_u32_e32 v21, vcc, v32, v1, vcc
	global_load_dwordx4 v[0:3], v[20:21], off offset:48
	global_load_dwordx4 v[4:7], v[20:21], off offset:32
	;; [unrolled: 1-line block ×3, first 2 shown]
	global_load_dwordx4 v[12:15], v[20:21], off
	s_waitcnt vmcnt(0)
	v_fmac_f64_e32 v[28:29], v[46:47], v[12:13]
	v_fmac_f64_e32 v[76:77], v[48:49], v[12:13]
	v_fma_f64 v[20:21], -v[48:49], v[14:15], v[28:29]
	v_fmac_f64_e32 v[76:77], v[46:47], v[14:15]
	v_fmac_f64_e32 v[20:21], v[42:43], v[8:9]
	v_fmac_f64_e32 v[76:77], v[44:45], v[8:9]
	v_fma_f64 v[20:21], -v[44:45], v[10:11], v[20:21]
	v_fmac_f64_e32 v[76:77], v[42:43], v[10:11]
	;; [unrolled: 4-line block ×4, first 2 shown]
	global_load_dwordx4 v[34:37], v[18:19], off offset:3184
	global_load_dwordx4 v[38:41], v[18:19], off offset:3168
	;; [unrolled: 1-line block ×4, first 2 shown]
	s_waitcnt vmcnt(0)
	v_fmac_f64_e32 v[26:27], v[46:47], v[12:13]
	v_fmac_f64_e32 v[80:81], v[48:49], v[12:13]
	v_fma_f64 v[20:21], -v[48:49], v[14:15], v[26:27]
	v_fmac_f64_e32 v[80:81], v[46:47], v[14:15]
	v_fmac_f64_e32 v[20:21], v[42:43], v[8:9]
	v_fmac_f64_e32 v[80:81], v[44:45], v[8:9]
	v_fma_f64 v[20:21], -v[44:45], v[10:11], v[20:21]
	v_fmac_f64_e32 v[80:81], v[42:43], v[10:11]
	;; [unrolled: 4-line block ×4, first 2 shown]
	global_load_dwordx4 v[26:29], v[18:19], off offset:3248
	global_load_dwordx4 v[34:37], v[18:19], off offset:3232
	;; [unrolled: 1-line block ×4, first 2 shown]
	s_waitcnt vmcnt(0)
	v_fmac_f64_e32 v[78:79], v[44:45], v[12:13]
	v_fmac_f64_e32 v[24:25], v[42:43], v[12:13]
	v_fmac_f64_e32 v[78:79], v[42:43], v[14:15]
	v_fma_f64 v[20:21], -v[44:45], v[14:15], v[24:25]
	v_fmac_f64_e32 v[78:79], v[40:41], v[8:9]
	v_fmac_f64_e32 v[20:21], v[38:39], v[8:9]
	v_fmac_f64_e32 v[78:79], v[38:39], v[10:11]
	v_fma_f64 v[20:21], -v[40:41], v[10:11], v[20:21]
	;; [unrolled: 4-line block ×3, first 2 shown]
	v_fmac_f64_e32 v[78:79], v[28:29], v[0:1]
	v_fmac_f64_e32 v[20:21], v[26:27], v[0:1]
	;; [unrolled: 1-line block ×3, first 2 shown]
	global_load_dwordx4 v[24:27], v[18:19], off offset:3312
	global_load_dwordx4 v[34:37], v[18:19], off offset:3296
	;; [unrolled: 1-line block ×4, first 2 shown]
	v_fma_f64 v[54:55], -v[28:29], v[2:3], v[20:21]
	v_add_co_u32_e32 v18, vcc, 0x1000, v18
	v_addc_co_u32_e32 v19, vcc, 0, v19, vcc
	v_cmp_ge_i32_e32 vcc, v16, v92
	s_or_b64 s[16:17], vcc, s[16:17]
	s_waitcnt vmcnt(0)
	v_fmac_f64_e32 v[22:23], v[42:43], v[12:13]
	v_fmac_f64_e32 v[70:71], v[44:45], v[12:13]
	v_fma_f64 v[20:21], -v[44:45], v[14:15], v[22:23]
	v_fmac_f64_e32 v[70:71], v[42:43], v[14:15]
	v_fmac_f64_e32 v[20:21], v[38:39], v[8:9]
	v_fmac_f64_e32 v[70:71], v[40:41], v[8:9]
	v_fma_f64 v[12:13], -v[40:41], v[10:11], v[20:21]
	v_fmac_f64_e32 v[70:71], v[38:39], v[10:11]
	;; [unrolled: 4-line block ×4, first 2 shown]
	s_andn2_b64 exec, exec, s[16:17]
	s_cbranch_execnz .LBB15_23
; %bb.24:
	s_or_b64 exec, exec, s[16:17]
.LBB15_25:
	s_or_b64 exec, exec, s[14:15]
.LBB15_26:
	s_or_b64 exec, exec, s[10:11]
	s_andn2_b64 vcc, exec, s[8:9]
	s_cbranch_vccz .LBB15_28
	s_branch .LBB15_39
.LBB15_27:
                                        ; implicit-def: $vgpr76_vgpr77
                                        ; implicit-def: $vgpr58_vgpr59
                                        ; implicit-def: $vgpr52_vgpr53
                                        ; implicit-def: $vgpr70_vgpr71
                                        ; implicit-def: $vgpr54_vgpr55
                                        ; implicit-def: $vgpr78_vgpr79
                                        ; implicit-def: $vgpr56_vgpr57
                                        ; implicit-def: $vgpr80_vgpr81
.LBB15_28:
	v_pk_mov_b32 v[76:77], 0, 0
	v_pk_mov_b32 v[58:59], v[76:77], v[76:77] op_sel:[0,1]
	v_pk_mov_b32 v[52:53], v[76:77], v[76:77] op_sel:[0,1]
	;; [unrolled: 1-line block ×7, first 2 shown]
	s_and_saveexec_b64 s[8:9], s[0:1]
	s_cbranch_execz .LBB15_38
; %bb.29:
	v_add_u32_e32 v0, v30, v69
	v_subrev_u32_e32 v0, s2, v0
	v_add_u32_e32 v0, 4, v0
	v_max_i32_e32 v0, v0, v92
	v_not_b32_e32 v1, v30
	v_add3_u32 v0, v0, s2, v1
	v_sub_u32_e32 v0, v0, v69
	v_lshrrev_b32_e32 v1, 2, v0
	v_add_u32_e32 v1, 1, v1
	v_and_b32_e32 v1, 3, v1
	v_pk_mov_b32 v[80:81], 0, 0
	v_cmp_ne_u32_e32 vcc, 0, v1
	v_pk_mov_b32 v[56:57], v[80:81], v[80:81] op_sel:[0,1]
	v_pk_mov_b32 v[78:79], v[80:81], v[80:81] op_sel:[0,1]
	;; [unrolled: 1-line block ×7, first 2 shown]
	s_and_saveexec_b64 s[0:1], vcc
	s_cbranch_execz .LBB15_33
; %bb.30:
	v_pk_mov_b32 v[76:77], 0, 0
	v_lshlrev_b32_e32 v1, 8, v1
	s_mov_b64 s[10:11], 0
	v_mov_b32_e32 v2, s13
	v_mov_b32_e32 v3, s5
	v_pk_mov_b32 v[58:59], v[76:77], v[76:77] op_sel:[0,1]
	v_pk_mov_b32 v[52:53], v[76:77], v[76:77] op_sel:[0,1]
	;; [unrolled: 1-line block ×7, first 2 shown]
.LBB15_31:                              ; =>This Inner Loop Header: Depth=1
	v_ashrrev_i32_e32 v73, 31, v72
	v_lshlrev_b64 v[4:5], 2, v[72:73]
	v_add_co_u32_e32 v90, vcc, s12, v4
	v_addc_co_u32_e32 v91, vcc, v2, v5, vcc
	global_load_dword v73, v[90:91], off
	global_load_dwordx4 v[4:7], v[74:75], off offset:48
	global_load_dwordx4 v[8:11], v[74:75], off offset:32
	;; [unrolled: 1-line block ×3, first 2 shown]
	global_load_dwordx4 v[16:19], v[74:75], off
	global_load_dwordx4 v[20:23], v[74:75], off offset:112
	global_load_dwordx4 v[24:27], v[74:75], off offset:96
	;; [unrolled: 1-line block ×10, first 2 shown]
                                        ; kill: killed $vgpr90 killed $vgpr91
	global_load_dwordx4 v[94:97], v[74:75], off offset:224
	global_load_dwordx4 v[98:101], v[74:75], off offset:240
	v_add_u32_e32 v1, 0xffffff00, v1
	v_add_u32_e32 v72, 4, v72
	s_waitcnt vmcnt(16)
	v_subrev_u32_e32 v73, s2, v73
	v_lshlrev_b32_e32 v90, 2, v73
	v_ashrrev_i32_e32 v91, 31, v90
	v_lshlrev_b64 v[90:91], 4, v[90:91]
	v_add_co_u32_e32 v90, vcc, s4, v90
	v_addc_co_u32_e32 v91, vcc, v3, v91, vcc
	global_load_dwordx4 v[102:105], v[90:91], off
	global_load_dwordx4 v[106:109], v[90:91], off offset:16
	global_load_dwordx4 v[110:113], v[90:91], off offset:32
	;; [unrolled: 1-line block ×3, first 2 shown]
	v_add_co_u32_e32 v74, vcc, 0x400, v74
	v_addc_co_u32_e32 v75, vcc, 0, v75, vcc
	v_cmp_eq_u32_e32 vcc, 0, v1
	s_or_b64 s[10:11], vcc, s[10:11]
	s_waitcnt vmcnt(3)
	v_fmac_f64_e32 v[58:59], v[16:17], v[102:103]
	v_fmac_f64_e32 v[76:77], v[18:19], v[102:103]
	v_fmac_f64_e32 v[56:57], v[12:13], v[102:103]
	v_fmac_f64_e32 v[80:81], v[14:15], v[102:103]
	v_fmac_f64_e32 v[54:55], v[8:9], v[102:103]
	v_fmac_f64_e32 v[78:79], v[10:11], v[102:103]
	v_fmac_f64_e32 v[52:53], v[4:5], v[102:103]
	v_fmac_f64_e32 v[70:71], v[6:7], v[102:103]
	v_fma_f64 v[18:19], -v[18:19], v[104:105], v[58:59]
	v_fmac_f64_e32 v[76:77], v[16:17], v[104:105]
	v_fma_f64 v[14:15], -v[14:15], v[104:105], v[56:57]
	v_fmac_f64_e32 v[80:81], v[12:13], v[104:105]
	v_fma_f64 v[10:11], -v[10:11], v[104:105], v[54:55]
	v_fmac_f64_e32 v[78:79], v[8:9], v[104:105]
	v_fma_f64 v[6:7], -v[6:7], v[104:105], v[52:53]
	v_fmac_f64_e32 v[70:71], v[4:5], v[104:105]
	s_waitcnt vmcnt(2)
	v_fmac_f64_e32 v[18:19], v[32:33], v[106:107]
	v_fmac_f64_e32 v[76:77], v[34:35], v[106:107]
	v_fmac_f64_e32 v[14:15], v[28:29], v[106:107]
	v_fmac_f64_e32 v[80:81], v[30:31], v[106:107]
	v_fmac_f64_e32 v[10:11], v[24:25], v[106:107]
	v_fmac_f64_e32 v[78:79], v[26:27], v[106:107]
	v_fmac_f64_e32 v[6:7], v[20:21], v[106:107]
	v_fmac_f64_e32 v[70:71], v[22:23], v[106:107]
	v_fma_f64 v[4:5], -v[34:35], v[108:109], v[18:19]
	v_fmac_f64_e32 v[76:77], v[32:33], v[108:109]
	v_fma_f64 v[8:9], -v[30:31], v[108:109], v[14:15]
	v_fmac_f64_e32 v[80:81], v[28:29], v[108:109]
	v_fma_f64 v[10:11], -v[26:27], v[108:109], v[10:11]
	v_fmac_f64_e32 v[78:79], v[24:25], v[108:109]
	v_fma_f64 v[6:7], -v[22:23], v[108:109], v[6:7]
	v_fmac_f64_e32 v[70:71], v[20:21], v[108:109]
	;; [unrolled: 17-line block ×4, first 2 shown]
	s_andn2_b64 exec, exec, s[10:11]
	s_cbranch_execnz .LBB15_31
; %bb.32:
	s_or_b64 exec, exec, s[10:11]
.LBB15_33:
	s_or_b64 exec, exec, s[0:1]
	v_cmp_lt_u32_e32 vcc, 11, v0
	s_and_saveexec_b64 s[0:1], vcc
	s_cbranch_execz .LBB15_37
; %bb.34:
	s_mov_b64 s[10:11], 0
	v_mov_b32_e32 v93, s13
	v_mov_b32_e32 v94, s5
.LBB15_35:                              ; =>This Inner Loop Header: Depth=1
	v_ashrrev_i32_e32 v73, 31, v72
	v_lshlrev_b64 v[48:49], 2, v[72:73]
	v_add_co_u32_e32 v82, vcc, s12, v48
	v_addc_co_u32_e32 v83, vcc, v93, v49, vcc
	global_load_dwordx4 v[0:3], v[74:75], off offset:48
	global_load_dwordx4 v[4:7], v[74:75], off offset:32
	;; [unrolled: 1-line block ×3, first 2 shown]
	global_load_dwordx4 v[86:89], v[74:75], off
	global_load_dwordx4 v[12:15], v[74:75], off offset:112
	global_load_dwordx4 v[16:19], v[74:75], off offset:96
	;; [unrolled: 1-line block ×9, first 2 shown]
	global_load_dword v48, v[82:83], off
	v_add_u32_e32 v72, 16, v72
	s_waitcnt vmcnt(0)
	v_subrev_u32_e32 v48, s2, v48
	v_lshlrev_b32_e32 v48, 2, v48
	v_ashrrev_i32_e32 v49, 31, v48
	v_lshlrev_b64 v[48:49], 4, v[48:49]
	v_add_co_u32_e32 v84, vcc, s4, v48
	v_addc_co_u32_e32 v85, vcc, v94, v49, vcc
	global_load_dwordx4 v[48:51], v[84:85], off
	s_waitcnt vmcnt(0)
	v_fmac_f64_e32 v[58:59], v[86:87], v[48:49]
	v_fmac_f64_e32 v[76:77], v[88:89], v[48:49]
	v_fmac_f64_e32 v[56:57], v[8:9], v[48:49]
	v_fmac_f64_e32 v[80:81], v[10:11], v[48:49]
	v_fmac_f64_e32 v[54:55], v[4:5], v[48:49]
	v_fmac_f64_e32 v[78:79], v[6:7], v[48:49]
	v_fmac_f64_e32 v[52:53], v[0:1], v[48:49]
	v_fmac_f64_e32 v[70:71], v[2:3], v[48:49]
	v_fma_f64 v[58:59], -v[88:89], v[50:51], v[58:59]
	v_fmac_f64_e32 v[76:77], v[86:87], v[50:51]
	global_load_dwordx4 v[86:89], v[74:75], off offset:224
	v_fma_f64 v[56:57], -v[10:11], v[50:51], v[56:57]
	v_fmac_f64_e32 v[80:81], v[8:9], v[50:51]
	global_load_dwordx4 v[8:11], v[74:75], off offset:208
	v_fma_f64 v[54:55], -v[6:7], v[50:51], v[54:55]
	v_fmac_f64_e32 v[78:79], v[4:5], v[50:51]
	global_load_dwordx4 v[4:7], v[74:75], off offset:192
	v_fma_f64 v[52:53], -v[2:3], v[50:51], v[52:53]
	v_fmac_f64_e32 v[70:71], v[0:1], v[50:51]
	global_load_dwordx4 v[0:3], v[74:75], off offset:1072
	global_load_dwordx4 v[48:51], v[84:85], off offset:16
	s_waitcnt vmcnt(0)
	v_fmac_f64_e32 v[58:59], v[32:33], v[48:49]
	v_fmac_f64_e32 v[76:77], v[34:35], v[48:49]
	v_fmac_f64_e32 v[56:57], v[20:21], v[48:49]
	v_fmac_f64_e32 v[80:81], v[22:23], v[48:49]
	v_fmac_f64_e32 v[54:55], v[16:17], v[48:49]
	v_fmac_f64_e32 v[78:79], v[18:19], v[48:49]
	v_fmac_f64_e32 v[52:53], v[12:13], v[48:49]
	v_fmac_f64_e32 v[70:71], v[14:15], v[48:49]
	v_fma_f64 v[58:59], -v[34:35], v[50:51], v[58:59]
	v_fmac_f64_e32 v[76:77], v[32:33], v[50:51]
	global_load_dwordx4 v[32:35], v[74:75], off offset:1056
	v_fma_f64 v[56:57], -v[22:23], v[50:51], v[56:57]
	v_fmac_f64_e32 v[80:81], v[20:21], v[50:51]
	global_load_dwordx4 v[20:23], v[74:75], off offset:1040
	v_fma_f64 v[54:55], -v[18:19], v[50:51], v[54:55]
	v_fmac_f64_e32 v[78:79], v[16:17], v[50:51]
	global_load_dwordx4 v[16:19], v[74:75], off offset:1024
	v_fma_f64 v[52:53], -v[14:15], v[50:51], v[52:53]
	v_fmac_f64_e32 v[70:71], v[12:13], v[50:51]
	global_load_dwordx4 v[12:15], v[74:75], off offset:1136
	global_load_dwordx4 v[48:51], v[84:85], off offset:32
	;; [unrolled: 22-line block ×3, first 2 shown]
	global_load_dwordx4 v[52:55], v[84:85], off offset:48
	s_waitcnt vmcnt(0)
	v_fmac_f64_e32 v[70:71], v[46:47], v[52:53]
	v_fmac_f64_e32 v[96:97], v[44:45], v[52:53]
	;; [unrolled: 1-line block ×3, first 2 shown]
	global_load_dword v44, v[82:83], off offset:16
	v_fmac_f64_e32 v[58:59], v[4:5], v[52:53]
	v_fmac_f64_e32 v[76:77], v[6:7], v[52:53]
	;; [unrolled: 1-line block ×6, first 2 shown]
	v_fma_f64 v[84:85], -v[6:7], v[54:55], v[58:59]
	v_fmac_f64_e32 v[76:77], v[4:5], v[54:55]
	v_fma_f64 v[98:99], -v[10:11], v[54:55], v[56:57]
	v_fmac_f64_e32 v[80:81], v[8:9], v[54:55]
	;; [unrolled: 2-line block ×3, first 2 shown]
	v_fma_f64 v[52:53], -v[46:47], v[54:55], v[96:97]
	global_load_dwordx4 v[4:7], v[74:75], off offset:1168
	global_load_dwordx4 v[8:11], v[74:75], off offset:1152
	;; [unrolled: 1-line block ×3, first 2 shown]
	s_waitcnt vmcnt(3)
	v_subrev_u32_e32 v44, s2, v44
	v_lshlrev_b32_e32 v44, 2, v44
	v_ashrrev_i32_e32 v45, 31, v44
	v_lshlrev_b64 v[44:45], 4, v[44:45]
	v_add_co_u32_e32 v54, vcc, s4, v44
	v_addc_co_u32_e32 v55, vcc, v94, v45, vcc
	global_load_dwordx4 v[44:47], v[54:55], off
	s_waitcnt vmcnt(0)
	v_fmac_f64_e32 v[84:85], v[16:17], v[44:45]
	v_fmac_f64_e32 v[76:77], v[18:19], v[44:45]
	v_fmac_f64_e32 v[98:99], v[20:21], v[44:45]
	v_fmac_f64_e32 v[80:81], v[22:23], v[44:45]
	v_fmac_f64_e32 v[88:89], v[32:33], v[44:45]
	v_fmac_f64_e32 v[78:79], v[34:35], v[44:45]
	v_fmac_f64_e32 v[52:53], v[0:1], v[44:45]
	v_fmac_f64_e32 v[70:71], v[2:3], v[44:45]
	v_fma_f64 v[84:85], -v[18:19], v[46:47], v[84:85]
	v_fmac_f64_e32 v[76:77], v[16:17], v[46:47]
	global_load_dwordx4 v[16:19], v[74:75], off offset:1248
	v_fma_f64 v[86:87], -v[22:23], v[46:47], v[98:99]
	v_fmac_f64_e32 v[80:81], v[20:21], v[46:47]
	global_load_dwordx4 v[20:23], v[74:75], off offset:1232
	v_fma_f64 v[88:89], -v[34:35], v[46:47], v[88:89]
	v_fmac_f64_e32 v[78:79], v[32:33], v[46:47]
	global_load_dwordx4 v[32:35], v[74:75], off offset:1216
	v_fma_f64 v[52:53], -v[2:3], v[46:47], v[52:53]
	v_fmac_f64_e32 v[70:71], v[0:1], v[46:47]
	global_load_dwordx4 v[0:3], v[74:75], off offset:2096
	global_load_dwordx4 v[44:47], v[54:55], off offset:16
	s_waitcnt vmcnt(0)
	v_fmac_f64_e32 v[84:85], v[28:29], v[44:45]
	v_fmac_f64_e32 v[76:77], v[30:31], v[44:45]
	v_fmac_f64_e32 v[86:87], v[36:37], v[44:45]
	v_fmac_f64_e32 v[80:81], v[38:39], v[44:45]
	v_fmac_f64_e32 v[88:89], v[40:41], v[44:45]
	v_fmac_f64_e32 v[78:79], v[42:43], v[44:45]
	v_fmac_f64_e32 v[52:53], v[12:13], v[44:45]
	v_fmac_f64_e32 v[70:71], v[14:15], v[44:45]
	v_fma_f64 v[84:85], -v[30:31], v[46:47], v[84:85]
	v_fmac_f64_e32 v[76:77], v[28:29], v[46:47]
	global_load_dwordx4 v[28:31], v[74:75], off offset:2080
	v_fma_f64 v[86:87], -v[38:39], v[46:47], v[86:87]
	v_fmac_f64_e32 v[80:81], v[36:37], v[46:47]
	global_load_dwordx4 v[36:39], v[74:75], off offset:2064
	v_fma_f64 v[88:89], -v[42:43], v[46:47], v[88:89]
	v_fmac_f64_e32 v[78:79], v[40:41], v[46:47]
	global_load_dwordx4 v[40:43], v[74:75], off offset:2048
	v_fma_f64 v[52:53], -v[14:15], v[46:47], v[52:53]
	v_fmac_f64_e32 v[70:71], v[12:13], v[46:47]
	global_load_dwordx4 v[12:15], v[74:75], off offset:2160
	global_load_dwordx4 v[44:47], v[54:55], off offset:32
	;; [unrolled: 22-line block ×3, first 2 shown]
	global_load_dwordx4 v[44:47], v[54:55], off offset:48
	s_waitcnt vmcnt(0)
	v_fmac_f64_e32 v[78:79], v[18:19], v[44:45]
	v_fmac_f64_e32 v[88:89], v[16:17], v[44:45]
	;; [unrolled: 1-line block ×3, first 2 shown]
	global_load_dword v16, v[82:83], off offset:32
	v_fma_f64 v[88:89], -v[18:19], v[46:47], v[88:89]
	v_fmac_f64_e32 v[90:91], v[32:33], v[44:45]
	v_fmac_f64_e32 v[76:77], v[34:35], v[44:45]
	;; [unrolled: 1-line block ×6, first 2 shown]
	v_fma_f64 v[54:55], -v[34:35], v[46:47], v[90:91]
	v_fmac_f64_e32 v[76:77], v[32:33], v[46:47]
	v_fma_f64 v[90:91], -v[22:23], v[46:47], v[96:97]
	v_fmac_f64_e32 v[80:81], v[20:21], v[46:47]
	;; [unrolled: 2-line block ×3, first 2 shown]
	global_load_dwordx4 v[32:35], v[74:75], off offset:2192
	global_load_dwordx4 v[20:23], v[74:75], off offset:2176
	;; [unrolled: 1-line block ×4, first 2 shown]
	s_waitcnt vmcnt(4)
	v_subrev_u32_e32 v16, s2, v16
	v_lshlrev_b32_e32 v16, 2, v16
	v_ashrrev_i32_e32 v17, 31, v16
	v_lshlrev_b64 v[16:17], 4, v[16:17]
	v_add_co_u32_e32 v100, vcc, s4, v16
	v_addc_co_u32_e32 v101, vcc, v94, v17, vcc
	global_load_dwordx4 v[16:19], v[100:101], off
	s_waitcnt vmcnt(0)
	v_fmac_f64_e32 v[54:55], v[40:41], v[16:17]
	v_fmac_f64_e32 v[76:77], v[42:43], v[16:17]
	;; [unrolled: 1-line block ×8, first 2 shown]
	v_fma_f64 v[46:47], -v[42:43], v[18:19], v[54:55]
	v_fmac_f64_e32 v[76:77], v[40:41], v[18:19]
	v_fma_f64 v[52:53], -v[38:39], v[18:19], v[90:91]
	v_fmac_f64_e32 v[80:81], v[36:37], v[18:19]
	global_load_dwordx4 v[36:39], v[74:75], off offset:2256
	v_fma_f64 v[54:55], -v[30:31], v[18:19], v[88:89]
	v_fmac_f64_e32 v[78:79], v[28:29], v[18:19]
	global_load_dwordx4 v[28:31], v[74:75], off offset:2240
	;; [unrolled: 3-line block ×3, first 2 shown]
	global_load_dwordx4 v[0:3], v[100:101], off offset:16
	s_waitcnt vmcnt(0)
	v_fmac_f64_e32 v[46:47], v[48:49], v[0:1]
	v_fmac_f64_e32 v[76:77], v[50:51], v[0:1]
	v_fmac_f64_e32 v[52:53], v[4:5], v[0:1]
	v_fmac_f64_e32 v[80:81], v[6:7], v[0:1]
	v_fmac_f64_e32 v[54:55], v[8:9], v[0:1]
	v_fmac_f64_e32 v[78:79], v[10:11], v[0:1]
	v_fmac_f64_e32 v[16:17], v[12:13], v[0:1]
	v_fmac_f64_e32 v[70:71], v[14:15], v[0:1]
	v_fma_f64 v[18:19], -v[50:51], v[2:3], v[46:47]
	v_fmac_f64_e32 v[76:77], v[48:49], v[2:3]
	global_load_dwordx4 v[44:47], v[74:75], off offset:3104
	v_fma_f64 v[88:89], -v[6:7], v[2:3], v[52:53]
	v_fmac_f64_e32 v[80:81], v[4:5], v[2:3]
	global_load_dwordx4 v[48:51], v[74:75], off offset:3088
	v_fma_f64 v[90:91], -v[10:11], v[2:3], v[54:55]
	global_load_dwordx4 v[52:55], v[74:75], off offset:3072
	v_fmac_f64_e32 v[78:79], v[8:9], v[2:3]
	v_fma_f64 v[14:15], -v[14:15], v[2:3], v[16:17]
	v_fmac_f64_e32 v[70:71], v[12:13], v[2:3]
	global_load_dwordx4 v[0:3], v[74:75], off offset:3184
	global_load_dwordx4 v[4:7], v[100:101], off offset:32
	;; [unrolled: 1-line block ×3, first 2 shown]
	s_waitcnt vmcnt(1)
	v_fmac_f64_e32 v[18:19], v[20:21], v[4:5]
	v_fmac_f64_e32 v[76:77], v[22:23], v[4:5]
	;; [unrolled: 1-line block ×8, first 2 shown]
	v_fma_f64 v[16:17], -v[22:23], v[6:7], v[18:19]
	v_fmac_f64_e32 v[76:77], v[20:21], v[6:7]
	v_fma_f64 v[18:19], -v[34:35], v[6:7], v[88:89]
	v_fmac_f64_e32 v[80:81], v[32:33], v[6:7]
	global_load_dwordx4 v[20:23], v[74:75], off offset:3152
	global_load_dwordx4 v[32:35], v[74:75], off offset:3136
	v_fma_f64 v[86:87], -v[86:87], v[6:7], v[90:91]
	v_fmac_f64_e32 v[78:79], v[84:85], v[6:7]
	v_fma_f64 v[102:103], -v[26:27], v[6:7], v[14:15]
	v_fmac_f64_e32 v[70:71], v[24:25], v[6:7]
	global_load_dwordx4 v[4:7], v[74:75], off offset:3248
	global_load_dwordx4 v[12:15], v[74:75], off offset:3232
	;; [unrolled: 1-line block ×3, first 2 shown]
	s_waitcnt vmcnt(0)
	v_fmac_f64_e32 v[16:17], v[28:29], v[24:25]
	v_fmac_f64_e32 v[76:77], v[30:31], v[24:25]
	;; [unrolled: 1-line block ×8, first 2 shown]
	v_fma_f64 v[90:91], -v[30:31], v[26:27], v[16:17]
	v_fmac_f64_e32 v[76:77], v[28:29], v[26:27]
	global_load_dwordx4 v[28:31], v[74:75], off offset:3216
	v_fma_f64 v[88:89], -v[38:39], v[26:27], v[18:19]
	v_fmac_f64_e32 v[80:81], v[36:37], v[26:27]
	global_load_dwordx4 v[36:39], v[74:75], off offset:3200
	;; [unrolled: 3-line block ×4, first 2 shown]
	global_load_dword v56, v[82:83], off offset:48
	global_load_dwordx4 v[96:99], v[74:75], off offset:3264
	s_waitcnt vmcnt(1)
	v_subrev_u32_e32 v56, s2, v56
	v_lshlrev_b32_e32 v56, 2, v56
	v_ashrrev_i32_e32 v57, 31, v56
	v_lshlrev_b64 v[56:57], 4, v[56:57]
	v_add_co_u32_e32 v82, vcc, s4, v56
	v_addc_co_u32_e32 v83, vcc, v94, v57, vcc
	global_load_dwordx4 v[56:59], v[82:83], off
	s_waitcnt vmcnt(0)
	v_fmac_f64_e32 v[76:77], v[54:55], v[56:57]
	v_fmac_f64_e32 v[88:89], v[48:49], v[56:57]
	;; [unrolled: 1-line block ×6, first 2 shown]
	v_fma_f64 v[52:53], -v[50:51], v[58:59], v[88:89]
	v_fma_f64 v[88:89], -v[46:47], v[58:59], v[84:85]
	v_fmac_f64_e32 v[78:79], v[44:45], v[58:59]
	global_load_dwordx4 v[44:47], v[82:83], off offset:16
	v_fmac_f64_e32 v[80:81], v[50:51], v[56:57]
	v_fmac_f64_e32 v[86:87], v[40:41], v[56:57]
	v_fmac_f64_e32 v[70:71], v[42:43], v[56:57]
	v_fmac_f64_e32 v[80:81], v[48:49], v[58:59]
	global_load_dwordx4 v[48:51], v[74:75], off offset:3312
	v_fma_f64 v[56:57], -v[42:43], v[58:59], v[86:87]
	v_fmac_f64_e32 v[70:71], v[40:41], v[58:59]
	global_load_dwordx4 v[40:43], v[82:83], off offset:32
	global_load_dwordx4 v[84:87], v[82:83], off offset:48
	v_fma_f64 v[54:55], -v[54:55], v[58:59], v[90:91]
	v_add_co_u32_e32 v74, vcc, 0x1000, v74
	v_addc_co_u32_e32 v75, vcc, 0, v75, vcc
	v_cmp_ge_i32_e32 vcc, v72, v92
	s_or_b64 s[10:11], vcc, s[10:11]
	s_waitcnt vmcnt(3)
	v_fmac_f64_e32 v[54:55], v[32:33], v[44:45]
	v_fmac_f64_e32 v[76:77], v[34:35], v[44:45]
	v_fmac_f64_e32 v[52:53], v[20:21], v[44:45]
	v_fmac_f64_e32 v[80:81], v[22:23], v[44:45]
	v_fmac_f64_e32 v[88:89], v[8:9], v[44:45]
	v_fmac_f64_e32 v[78:79], v[10:11], v[44:45]
	v_fmac_f64_e32 v[56:57], v[0:1], v[44:45]
	v_fmac_f64_e32 v[70:71], v[2:3], v[44:45]
	v_fma_f64 v[34:35], -v[34:35], v[46:47], v[54:55]
	v_fmac_f64_e32 v[76:77], v[32:33], v[46:47]
	v_fma_f64 v[22:23], -v[22:23], v[46:47], v[52:53]
	v_fmac_f64_e32 v[80:81], v[20:21], v[46:47]
	v_fma_f64 v[10:11], -v[10:11], v[46:47], v[88:89]
	v_fmac_f64_e32 v[78:79], v[8:9], v[46:47]
	v_fma_f64 v[2:3], -v[2:3], v[46:47], v[56:57]
	v_fmac_f64_e32 v[70:71], v[0:1], v[46:47]
	s_waitcnt vmcnt(1)
	v_fmac_f64_e32 v[34:35], v[36:37], v[40:41]
	v_fmac_f64_e32 v[76:77], v[38:39], v[40:41]
	v_fmac_f64_e32 v[22:23], v[28:29], v[40:41]
	v_fmac_f64_e32 v[80:81], v[30:31], v[40:41]
	v_fmac_f64_e32 v[10:11], v[12:13], v[40:41]
	v_fmac_f64_e32 v[78:79], v[14:15], v[40:41]
	v_fmac_f64_e32 v[2:3], v[4:5], v[40:41]
	v_fmac_f64_e32 v[70:71], v[6:7], v[40:41]
	v_fma_f64 v[0:1], -v[38:39], v[42:43], v[34:35]
	v_fmac_f64_e32 v[76:77], v[36:37], v[42:43]
	v_fma_f64 v[8:9], -v[30:31], v[42:43], v[22:23]
	v_fmac_f64_e32 v[80:81], v[28:29], v[42:43]
	v_fma_f64 v[10:11], -v[14:15], v[42:43], v[10:11]
	v_fmac_f64_e32 v[78:79], v[12:13], v[42:43]
	v_fma_f64 v[2:3], -v[6:7], v[42:43], v[2:3]
	v_fmac_f64_e32 v[70:71], v[4:5], v[42:43]
	;; [unrolled: 17-line block ×3, first 2 shown]
	s_andn2_b64 exec, exec, s[10:11]
	s_cbranch_execnz .LBB15_35
; %bb.36:
	s_or_b64 exec, exec, s[10:11]
.LBB15_37:
	s_or_b64 exec, exec, s[0:1]
.LBB15_38:
	s_or_b64 exec, exec, s[8:9]
.LBB15_39:
	v_mov_b32_dpp v0, v58 row_shr:1 row_mask:0xf bank_mask:0xf
	v_mov_b32_dpp v1, v59 row_shr:1 row_mask:0xf bank_mask:0xf
	;; [unrolled: 1-line block ×16, first 2 shown]
	v_add_f64 v[0:1], v[58:59], v[0:1]
	v_add_f64 v[4:5], v[76:77], v[4:5]
	;; [unrolled: 1-line block ×8, first 2 shown]
	v_mov_b32_dpp v2, v0 row_shr:2 row_mask:0xf bank_mask:0xf
	v_mov_b32_dpp v3, v1 row_shr:2 row_mask:0xf bank_mask:0xf
	v_mov_b32_dpp v6, v4 row_shr:2 row_mask:0xf bank_mask:0xf
	v_mov_b32_dpp v7, v5 row_shr:2 row_mask:0xf bank_mask:0xf
	v_mov_b32_dpp v10, v8 row_shr:2 row_mask:0xf bank_mask:0xf
	v_mov_b32_dpp v11, v9 row_shr:2 row_mask:0xf bank_mask:0xf
	v_mov_b32_dpp v14, v12 row_shr:2 row_mask:0xf bank_mask:0xf
	v_mov_b32_dpp v15, v13 row_shr:2 row_mask:0xf bank_mask:0xf
	v_mov_b32_dpp v18, v16 row_shr:2 row_mask:0xf bank_mask:0xf
	v_mov_b32_dpp v19, v17 row_shr:2 row_mask:0xf bank_mask:0xf
	v_mov_b32_dpp v22, v20 row_shr:2 row_mask:0xf bank_mask:0xf
	v_mov_b32_dpp v23, v21 row_shr:2 row_mask:0xf bank_mask:0xf
	v_mov_b32_dpp v26, v24 row_shr:2 row_mask:0xf bank_mask:0xf
	v_mov_b32_dpp v27, v25 row_shr:2 row_mask:0xf bank_mask:0xf
	v_mov_b32_dpp v30, v28 row_shr:2 row_mask:0xf bank_mask:0xf
	v_mov_b32_dpp v31, v29 row_shr:2 row_mask:0xf bank_mask:0xf
	v_cmp_eq_u32_e32 vcc, 3, v69
	s_and_b64 exec, exec, vcc
	s_cbranch_execz .LBB15_12
; %bb.40:
	s_load_dwordx2 s[2:3], s[6:7], 0x60
	v_add_f64 v[32:33], v[0:1], v[2:3]
	v_add_f64 v[0:1], v[4:5], v[6:7]
	;; [unrolled: 1-line block ×8, first 2 shown]
	v_cmp_eq_f64_e32 vcc, 0, v[60:61]
	v_cmp_eq_f64_e64 s[0:1], 0, v[62:63]
	v_mul_f64 v[12:13], v[0:1], -v[66:67]
	v_mul_f64 v[14:15], v[64:65], v[0:1]
	v_mul_f64 v[8:9], v[2:3], -v[66:67]
	v_mul_f64 v[10:11], v[64:65], v[2:3]
	;; [unrolled: 2-line block ×4, first 2 shown]
	s_and_b64 s[0:1], vcc, s[0:1]
	v_fmac_f64_e32 v[12:13], v[64:65], v[32:33]
	v_fmac_f64_e32 v[14:15], v[66:67], v[32:33]
	v_lshlrev_b32_e32 v16, 2, v68
	v_fmac_f64_e32 v[8:9], v[64:65], v[34:35]
	v_fmac_f64_e32 v[10:11], v[66:67], v[34:35]
	;; [unrolled: 1-line block ×6, first 2 shown]
	s_and_saveexec_b64 s[4:5], s[0:1]
	s_xor_b64 s[0:1], exec, s[4:5]
	s_cbranch_execz .LBB15_42
; %bb.41:
	v_ashrrev_i32_e32 v17, 31, v16
	v_lshlrev_b64 v[16:17], 4, v[16:17]
	s_waitcnt lgkmcnt(0)
	v_mov_b32_e32 v18, s3
	v_add_co_u32_e32 v16, vcc, s2, v16
	v_addc_co_u32_e32 v17, vcc, v18, v17, vcc
	global_store_dwordx4 v[16:17], v[12:15], off
	global_store_dwordx4 v[16:17], v[8:11], off offset:16
	global_store_dwordx4 v[16:17], v[4:7], off offset:32
	;; [unrolled: 1-line block ×3, first 2 shown]
                                        ; implicit-def: $vgpr60_vgpr61
                                        ; implicit-def: $vgpr62_vgpr63
                                        ; implicit-def: $vgpr12_vgpr13
                                        ; implicit-def: $vgpr16
                                        ; implicit-def: $vgpr8_vgpr9
                                        ; implicit-def: $vgpr4_vgpr5
                                        ; implicit-def: $vgpr0_vgpr1
.LBB15_42:
	s_andn2_saveexec_b64 s[0:1], s[0:1]
	s_cbranch_execz .LBB15_12
; %bb.43:
	v_ashrrev_i32_e32 v17, 31, v16
	v_lshlrev_b64 v[16:17], 4, v[16:17]
	s_waitcnt lgkmcnt(0)
	v_mov_b32_e32 v18, s3
	v_add_co_u32_e32 v32, vcc, s2, v16
	v_addc_co_u32_e32 v33, vcc, v18, v17, vcc
	global_load_dwordx4 v[16:19], v[32:33], off
	global_load_dwordx4 v[20:23], v[32:33], off offset:16
	global_load_dwordx4 v[24:27], v[32:33], off offset:32
	;; [unrolled: 1-line block ×3, first 2 shown]
	s_waitcnt vmcnt(3)
	v_fmac_f64_e32 v[12:13], v[60:61], v[16:17]
	v_fmac_f64_e32 v[14:15], v[62:63], v[16:17]
	s_waitcnt vmcnt(2)
	v_fmac_f64_e32 v[8:9], v[60:61], v[20:21]
	v_fmac_f64_e32 v[10:11], v[62:63], v[20:21]
	;; [unrolled: 3-line block ×4, first 2 shown]
	v_fma_f64 v[12:13], -v[62:63], v[18:19], v[12:13]
	v_fmac_f64_e32 v[14:15], v[60:61], v[18:19]
	v_fma_f64 v[8:9], -v[62:63], v[22:23], v[8:9]
	v_fmac_f64_e32 v[10:11], v[60:61], v[22:23]
	;; [unrolled: 2-line block ×4, first 2 shown]
	global_store_dwordx4 v[32:33], v[12:15], off
	global_store_dwordx4 v[32:33], v[8:11], off offset:16
	global_store_dwordx4 v[32:33], v[4:7], off offset:32
	;; [unrolled: 1-line block ×3, first 2 shown]
	s_endpgm
	.section	.rodata,"a",@progbits
	.p2align	6, 0x0
	.amdhsa_kernel _ZN9rocsparseL18bsrxmvn_4x4_kernelILj128ELj4E21rocsparse_complex_numIdEiiS2_S2_S2_EEvT3_20rocsparse_direction_NS_24const_host_device_scalarIT1_EES3_PKS3_PKT2_SC_S9_PKT4_PKT5_S7_PT6_21rocsparse_index_base_b
		.amdhsa_group_segment_fixed_size 2048
		.amdhsa_private_segment_fixed_size 0
		.amdhsa_kernarg_size 112
		.amdhsa_user_sgpr_count 8
		.amdhsa_user_sgpr_private_segment_buffer 1
		.amdhsa_user_sgpr_dispatch_ptr 1
		.amdhsa_user_sgpr_queue_ptr 0
		.amdhsa_user_sgpr_kernarg_segment_ptr 1
		.amdhsa_user_sgpr_dispatch_id 0
		.amdhsa_user_sgpr_flat_scratch_init 0
		.amdhsa_user_sgpr_kernarg_preload_length 0
		.amdhsa_user_sgpr_kernarg_preload_offset 0
		.amdhsa_user_sgpr_private_segment_size 0
		.amdhsa_uses_dynamic_stack 0
		.amdhsa_system_sgpr_private_segment_wavefront_offset 0
		.amdhsa_system_sgpr_workgroup_id_x 1
		.amdhsa_system_sgpr_workgroup_id_y 0
		.amdhsa_system_sgpr_workgroup_id_z 0
		.amdhsa_system_sgpr_workgroup_info 0
		.amdhsa_system_vgpr_workitem_id 2
		.amdhsa_next_free_vgpr 118
		.amdhsa_next_free_sgpr 22
		.amdhsa_accum_offset 120
		.amdhsa_reserve_vcc 1
		.amdhsa_reserve_flat_scratch 0
		.amdhsa_float_round_mode_32 0
		.amdhsa_float_round_mode_16_64 0
		.amdhsa_float_denorm_mode_32 3
		.amdhsa_float_denorm_mode_16_64 3
		.amdhsa_dx10_clamp 1
		.amdhsa_ieee_mode 1
		.amdhsa_fp16_overflow 0
		.amdhsa_tg_split 0
		.amdhsa_exception_fp_ieee_invalid_op 0
		.amdhsa_exception_fp_denorm_src 0
		.amdhsa_exception_fp_ieee_div_zero 0
		.amdhsa_exception_fp_ieee_overflow 0
		.amdhsa_exception_fp_ieee_underflow 0
		.amdhsa_exception_fp_ieee_inexact 0
		.amdhsa_exception_int_div_zero 0
	.end_amdhsa_kernel
	.section	.text._ZN9rocsparseL18bsrxmvn_4x4_kernelILj128ELj4E21rocsparse_complex_numIdEiiS2_S2_S2_EEvT3_20rocsparse_direction_NS_24const_host_device_scalarIT1_EES3_PKS3_PKT2_SC_S9_PKT4_PKT5_S7_PT6_21rocsparse_index_base_b,"axG",@progbits,_ZN9rocsparseL18bsrxmvn_4x4_kernelILj128ELj4E21rocsparse_complex_numIdEiiS2_S2_S2_EEvT3_20rocsparse_direction_NS_24const_host_device_scalarIT1_EES3_PKS3_PKT2_SC_S9_PKT4_PKT5_S7_PT6_21rocsparse_index_base_b,comdat
.Lfunc_end15:
	.size	_ZN9rocsparseL18bsrxmvn_4x4_kernelILj128ELj4E21rocsparse_complex_numIdEiiS2_S2_S2_EEvT3_20rocsparse_direction_NS_24const_host_device_scalarIT1_EES3_PKS3_PKT2_SC_S9_PKT4_PKT5_S7_PT6_21rocsparse_index_base_b, .Lfunc_end15-_ZN9rocsparseL18bsrxmvn_4x4_kernelILj128ELj4E21rocsparse_complex_numIdEiiS2_S2_S2_EEvT3_20rocsparse_direction_NS_24const_host_device_scalarIT1_EES3_PKS3_PKT2_SC_S9_PKT4_PKT5_S7_PT6_21rocsparse_index_base_b
                                        ; -- End function
	.section	.AMDGPU.csdata,"",@progbits
; Kernel info:
; codeLenInByte = 7696
; NumSgprs: 26
; NumVgprs: 118
; NumAgprs: 0
; TotalNumVgprs: 118
; ScratchSize: 0
; MemoryBound: 1
; FloatMode: 240
; IeeeMode: 1
; LDSByteSize: 2048 bytes/workgroup (compile time only)
; SGPRBlocks: 3
; VGPRBlocks: 14
; NumSGPRsForWavesPerEU: 26
; NumVGPRsForWavesPerEU: 118
; AccumOffset: 120
; Occupancy: 4
; WaveLimiterHint : 1
; COMPUTE_PGM_RSRC2:SCRATCH_EN: 0
; COMPUTE_PGM_RSRC2:USER_SGPR: 8
; COMPUTE_PGM_RSRC2:TRAP_HANDLER: 0
; COMPUTE_PGM_RSRC2:TGID_X_EN: 1
; COMPUTE_PGM_RSRC2:TGID_Y_EN: 0
; COMPUTE_PGM_RSRC2:TGID_Z_EN: 0
; COMPUTE_PGM_RSRC2:TIDIG_COMP_CNT: 2
; COMPUTE_PGM_RSRC3_GFX90A:ACCUM_OFFSET: 29
; COMPUTE_PGM_RSRC3_GFX90A:TG_SPLIT: 0
	.section	.text._ZN9rocsparseL18bsrxmvn_4x4_kernelILj128ELj8E21rocsparse_complex_numIdEiiS2_S2_S2_EEvT3_20rocsparse_direction_NS_24const_host_device_scalarIT1_EES3_PKS3_PKT2_SC_S9_PKT4_PKT5_S7_PT6_21rocsparse_index_base_b,"axG",@progbits,_ZN9rocsparseL18bsrxmvn_4x4_kernelILj128ELj8E21rocsparse_complex_numIdEiiS2_S2_S2_EEvT3_20rocsparse_direction_NS_24const_host_device_scalarIT1_EES3_PKS3_PKT2_SC_S9_PKT4_PKT5_S7_PT6_21rocsparse_index_base_b,comdat
	.globl	_ZN9rocsparseL18bsrxmvn_4x4_kernelILj128ELj8E21rocsparse_complex_numIdEiiS2_S2_S2_EEvT3_20rocsparse_direction_NS_24const_host_device_scalarIT1_EES3_PKS3_PKT2_SC_S9_PKT4_PKT5_S7_PT6_21rocsparse_index_base_b ; -- Begin function _ZN9rocsparseL18bsrxmvn_4x4_kernelILj128ELj8E21rocsparse_complex_numIdEiiS2_S2_S2_EEvT3_20rocsparse_direction_NS_24const_host_device_scalarIT1_EES3_PKS3_PKT2_SC_S9_PKT4_PKT5_S7_PT6_21rocsparse_index_base_b
	.p2align	8
	.type	_ZN9rocsparseL18bsrxmvn_4x4_kernelILj128ELj8E21rocsparse_complex_numIdEiiS2_S2_S2_EEvT3_20rocsparse_direction_NS_24const_host_device_scalarIT1_EES3_PKS3_PKT2_SC_S9_PKT4_PKT5_S7_PT6_21rocsparse_index_base_b,@function
_ZN9rocsparseL18bsrxmvn_4x4_kernelILj128ELj8E21rocsparse_complex_numIdEiiS2_S2_S2_EEvT3_20rocsparse_direction_NS_24const_host_device_scalarIT1_EES3_PKS3_PKT2_SC_S9_PKT4_PKT5_S7_PT6_21rocsparse_index_base_b: ; @_ZN9rocsparseL18bsrxmvn_4x4_kernelILj128ELj8E21rocsparse_complex_numIdEiiS2_S2_S2_EEvT3_20rocsparse_direction_NS_24const_host_device_scalarIT1_EES3_PKS3_PKT2_SC_S9_PKT4_PKT5_S7_PT6_21rocsparse_index_base_b
; %bb.0:
	s_load_dwordx2 s[20:21], s[6:7], 0x68
	s_load_dwordx4 s[12:15], s[6:7], 0x8
	s_load_dwordx2 s[10:11], s[4:5], 0x4
	s_load_dwordx4 s[16:19], s[6:7], 0x50
	s_mov_b64 s[2:3], src_shared_base
	v_bfe_u32 v2, v0, 10, 10
	s_waitcnt lgkmcnt(0)
	s_bitcmp1_b32 s21, 0
	s_cselect_b64 s[0:1], -1, 0
	s_and_b64 vcc, s[0:1], exec
	s_cselect_b32 s2, s3, s13
	s_lshr_b32 s4, s10, 16
	v_and_b32_e32 v1, 0x3ff, v0
	s_mul_i32 s4, s4, s11
	v_mul_u32_u24_e32 v2, s11, v2
	v_mad_u32_u24 v2, s4, v1, v2
	v_bfe_u32 v0, v0, 20, 10
	v_add_lshl_u32 v0, v2, v0, 3
	v_mov_b32_e32 v6, s12
	v_add_u32_e32 v7, 0x400, v0
	v_pk_mov_b32 v[2:3], s[12:13], s[12:13] op_sel:[0,1]
	v_pk_mov_b32 v[4:5], s[16:17], s[16:17] op_sel:[0,1]
	ds_write2st64_b64 v0, v[4:5], v[2:3] offset1:2
	v_cndmask_b32_e64 v2, v6, v7, s[0:1]
	v_mov_b32_e32 v3, s2
	flat_load_dwordx2 v[64:65], v[2:3]
	s_xor_b64 s[4:5], s[0:1], -1
	v_pk_mov_b32 v[66:67], s[14:15], s[14:15] op_sel:[0,1]
	s_cbranch_vccnz .LBB16_2
; %bb.1:
	v_pk_mov_b32 v[2:3], s[12:13], s[12:13] op_sel:[0,1]
	flat_load_dwordx2 v[66:67], v[2:3] offset:8
.LBB16_2:
	s_and_b64 s[10:11], s[0:1], exec
	s_cselect_b32 s2, s3, s17
	v_mov_b32_e32 v2, s16
	v_cndmask_b32_e64 v2, v2, v0, s[0:1]
	v_mov_b32_e32 v3, s2
	flat_load_dwordx2 v[60:61], v[2:3]
	s_andn2_b64 vcc, exec, s[4:5]
	v_pk_mov_b32 v[62:63], s[18:19], s[18:19] op_sel:[0,1]
	s_cbranch_vccnz .LBB16_4
; %bb.3:
	v_pk_mov_b32 v[2:3], s[16:17], s[16:17] op_sel:[0,1]
	flat_load_dwordx2 v[62:63], v[2:3] offset:8
.LBB16_4:
	s_waitcnt vmcnt(0) lgkmcnt(0)
	v_cmp_eq_f64_e32 vcc, 0, v[64:65]
	v_cmp_eq_f64_e64 s[0:1], 0, v[66:67]
	s_and_b64 s[4:5], vcc, s[0:1]
	s_mov_b64 s[0:1], -1
	s_and_saveexec_b64 s[2:3], s[4:5]
; %bb.5:
	v_cmp_neq_f64_e32 vcc, 1.0, v[60:61]
	v_cmp_neq_f64_e64 s[0:1], 0, v[62:63]
	s_or_b64 s[0:1], vcc, s[0:1]
	s_orn2_b64 s[0:1], s[0:1], exec
; %bb.6:
	s_or_b64 exec, exec, s[2:3]
	s_and_saveexec_b64 s[2:3], s[0:1]
	s_cbranch_execz .LBB16_12
; %bb.7:
	s_load_dwordx2 s[4:5], s[6:7], 0x20
	s_load_dwordx2 s[0:1], s[6:7], 0x0
	v_lshrrev_b32_e32 v0, 3, v1
	v_lshl_or_b32 v68, s8, 4, v0
	s_mov_b64 s[2:3], 0
	s_waitcnt lgkmcnt(0)
	s_cmp_lg_u64 s[4:5], 0
	s_cbranch_scc0 .LBB16_13
; %bb.8:
	s_load_dword s8, s[6:7], 0x18
                                        ; implicit-def: $vgpr0
	s_waitcnt lgkmcnt(0)
	v_cmp_gt_i32_e32 vcc, s8, v68
	s_and_saveexec_b64 s[8:9], vcc
	s_xor_b64 s[8:9], exec, s[8:9]
	s_cbranch_execz .LBB16_10
; %bb.9:
	v_ashrrev_i32_e32 v69, 31, v68
	v_lshlrev_b64 v[2:3], 2, v[68:69]
	v_mov_b32_e32 v0, s5
	v_add_co_u32_e32 v2, vcc, s4, v2
	v_addc_co_u32_e32 v3, vcc, v0, v3, vcc
	global_load_dword v0, v[2:3], off
	s_mov_b64 s[2:3], exec
	s_waitcnt vmcnt(0)
	v_subrev_u32_e32 v0, s20, v0
.LBB16_10:
	s_or_b64 exec, exec, s[8:9]
	s_branch .LBB16_14
.LBB16_11:
	v_cmp_gt_i32_e32 vcc, s0, v68
	s_andn2_b64 s[2:3], s[2:3], exec
	s_and_b64 s[4:5], vcc, exec
	s_or_b64 s[2:3], s[2:3], s[4:5]
	s_and_b64 exec, exec, s[2:3]
	s_cbranch_execnz .LBB16_15
.LBB16_12:
	s_endpgm
.LBB16_13:
                                        ; implicit-def: $vgpr0
	s_cbranch_execnz .LBB16_11
.LBB16_14:
	v_mov_b32_e32 v68, v0
	s_and_b64 exec, exec, s[2:3]
	s_cbranch_execz .LBB16_12
.LBB16_15:
	s_load_dwordx8 s[8:15], s[6:7], 0x28
	v_ashrrev_i32_e32 v69, 31, v68
	v_lshlrev_b64 v[2:3], 2, v[68:69]
	v_and_b32_e32 v69, 7, v1
	s_load_dwordx2 s[4:5], s[6:7], 0x48
	s_waitcnt lgkmcnt(0)
	v_mov_b32_e32 v0, s9
	v_add_co_u32_e32 v4, vcc, s8, v2
	v_addc_co_u32_e32 v5, vcc, v0, v3, vcc
	v_add_co_u32_e32 v0, vcc, 4, v4
	global_load_dword v28, v[4:5], off
	v_addc_co_u32_e32 v4, vcc, 0, v5, vcc
	v_mov_b32_e32 v5, s11
	v_add_co_u32_e32 v2, vcc, s10, v2
	s_cmp_eq_u64 s[10:11], 0
	v_addc_co_u32_e32 v3, vcc, v5, v3, vcc
	s_cselect_b64 vcc, -1, 0
	v_cndmask_b32_e32 v3, v3, v4, vcc
	v_cndmask_b32_e32 v2, v2, v0, vcc
	global_load_dword v0, v[2:3], off
	v_mov_b32_e32 v2, s15
	s_cmp_eq_u32 s1, 1
	s_waitcnt vmcnt(1)
	v_subrev_u32_e32 v1, s20, v28
	v_add_u32_e32 v76, v1, v69
	v_ashrrev_i32_e32 v77, 31, v76
	s_waitcnt vmcnt(0)
	v_subrev_u32_e32 v90, s20, v0
	v_lshlrev_b64 v[0:1], 8, v[76:77]
	v_add_co_u32_e32 v80, vcc, s14, v0
	v_addc_co_u32_e32 v81, vcc, v2, v1, vcc
	v_cmp_lt_i32_e64 s[0:1], v76, v90
	s_cbranch_scc1 .LBB16_27
; %bb.16:
	v_pk_mov_b32 v[78:79], 0, 0
	s_mov_b64 s[8:9], 0
	v_pk_mov_b32 v[58:59], v[78:79], v[78:79] op_sel:[0,1]
	v_pk_mov_b32 v[52:53], v[78:79], v[78:79] op_sel:[0,1]
	;; [unrolled: 1-line block ×7, first 2 shown]
	s_and_saveexec_b64 s[10:11], s[0:1]
	s_cbranch_execz .LBB16_26
; %bb.17:
	v_add_u32_e32 v0, v28, v69
	v_subrev_u32_e32 v0, s20, v0
	v_add_u32_e32 v0, 8, v0
	v_max_i32_e32 v0, v0, v90
	v_not_b32_e32 v1, v28
	v_add3_u32 v0, v0, s20, v1
	v_sub_u32_e32 v12, v0, v69
	v_lshrrev_b32_e32 v0, 3, v12
	v_add_u32_e32 v0, 1, v0
	v_and_b32_e32 v0, 3, v0
	v_pk_mov_b32 v[74:75], 0, 0
	v_cmp_ne_u32_e32 vcc, 0, v0
	v_pk_mov_b32 v[56:57], v[74:75], v[74:75] op_sel:[0,1]
	v_pk_mov_b32 v[72:73], v[74:75], v[74:75] op_sel:[0,1]
	;; [unrolled: 1-line block ×8, first 2 shown]
	v_mov_b32_e32 v16, v76
	s_and_saveexec_b64 s[2:3], vcc
	s_cbranch_execz .LBB16_21
; %bb.18:
	v_pk_mov_b32 v[78:79], 0, 0
	v_lshlrev_b32_e32 v13, 8, v0
	s_mov_b64 s[14:15], 0
	v_mov_b32_e32 v14, s13
	v_mov_b32_e32 v15, s5
	v_mov_b32_e32 v16, v76
	v_pk_mov_b32 v[18:19], v[80:81], v[80:81] op_sel:[0,1]
	v_pk_mov_b32 v[58:59], v[78:79], v[78:79] op_sel:[0,1]
	;; [unrolled: 1-line block ×8, first 2 shown]
.LBB16_19:                              ; =>This Inner Loop Header: Depth=1
	v_ashrrev_i32_e32 v17, 31, v16
	v_lshlrev_b64 v[50:51], 2, v[16:17]
	v_add_co_u32_e32 v50, vcc, s12, v50
	v_addc_co_u32_e32 v51, vcc, v14, v51, vcc
	global_load_dwordx4 v[0:3], v[18:19], off offset:16
	global_load_dwordx4 v[4:7], v[18:19], off
	global_load_dwordx4 v[8:11], v[18:19], off offset:80
	global_load_dwordx4 v[20:23], v[18:19], off offset:64
	;; [unrolled: 1-line block ×12, first 2 shown]
	global_load_dword v17, v[50:51], off
	v_add_u32_e32 v13, 0xffffff00, v13
	v_add_u32_e32 v16, 8, v16
	s_waitcnt vmcnt(0)
	v_subrev_u32_e32 v17, s20, v17
	v_lshlrev_b32_e32 v50, 2, v17
	v_ashrrev_i32_e32 v51, 31, v50
	v_lshlrev_b64 v[50:51], 4, v[50:51]
	v_add_co_u32_e32 v50, vcc, s4, v50
	v_addc_co_u32_e32 v51, vcc, v15, v51, vcc
	global_load_dwordx4 v[100:103], v[50:51], off
	global_load_dwordx4 v[104:107], v[50:51], off offset:16
	s_waitcnt vmcnt(1)
	v_fmac_f64_e32 v[58:59], v[4:5], v[100:101]
	v_fmac_f64_e32 v[78:79], v[6:7], v[100:101]
	v_fma_f64 v[58:59], -v[6:7], v[102:103], v[58:59]
	v_fmac_f64_e32 v[78:79], v[4:5], v[102:103]
	global_load_dwordx4 v[4:7], v[18:19], off offset:224
	v_fmac_f64_e32 v[56:57], v[20:21], v[100:101]
	v_fmac_f64_e32 v[74:75], v[22:23], v[100:101]
	;; [unrolled: 1-line block ×4, first 2 shown]
	v_fma_f64 v[56:57], -v[22:23], v[102:103], v[56:57]
	v_fmac_f64_e32 v[74:75], v[20:21], v[102:103]
	global_load_dwordx4 v[20:23], v[18:19], off offset:240
	v_fma_f64 v[54:55], -v[32:33], v[102:103], v[54:55]
	v_fmac_f64_e32 v[72:73], v[30:31], v[102:103]
	global_load_dwordx4 v[30:33], v[50:51], off offset:32
	global_load_dwordx4 v[108:111], v[50:51], off offset:48
	v_fmac_f64_e32 v[52:53], v[34:35], v[100:101]
	v_fmac_f64_e32 v[70:71], v[36:37], v[100:101]
	v_fma_f64 v[36:37], -v[36:37], v[102:103], v[52:53]
	v_fmac_f64_e32 v[70:71], v[34:35], v[102:103]
	s_waitcnt vmcnt(4)
	v_fmac_f64_e32 v[58:59], v[0:1], v[104:105]
	v_fmac_f64_e32 v[78:79], v[2:3], v[104:105]
	;; [unrolled: 1-line block ×8, first 2 shown]
	v_fma_f64 v[2:3], -v[2:3], v[106:107], v[58:59]
	v_fmac_f64_e32 v[78:79], v[0:1], v[106:107]
	v_fma_f64 v[0:1], -v[10:11], v[106:107], v[56:57]
	v_fmac_f64_e32 v[74:75], v[8:9], v[106:107]
	;; [unrolled: 2-line block ×4, first 2 shown]
	v_add_co_u32_e32 v18, vcc, 0x800, v18
	v_addc_co_u32_e32 v19, vcc, 0, v19, vcc
	v_cmp_eq_u32_e32 vcc, 0, v13
	s_or_b64 s[14:15], vcc, s[14:15]
	s_waitcnt vmcnt(1)
	v_fmac_f64_e32 v[2:3], v[46:47], v[30:31]
	v_fmac_f64_e32 v[78:79], v[48:49], v[30:31]
	;; [unrolled: 1-line block ×8, first 2 shown]
	v_fma_f64 v[2:3], -v[48:49], v[32:33], v[2:3]
	v_fmac_f64_e32 v[78:79], v[46:47], v[32:33]
	v_fma_f64 v[0:1], -v[88:89], v[32:33], v[0:1]
	v_fmac_f64_e32 v[74:75], v[86:87], v[32:33]
	v_fma_f64 v[8:9], -v[98:99], v[32:33], v[8:9]
	v_fmac_f64_e32 v[72:73], v[96:97], v[32:33]
	v_fma_f64 v[6:7], -v[6:7], v[32:33], v[10:11]
	v_fmac_f64_e32 v[70:71], v[4:5], v[32:33]
	s_waitcnt vmcnt(0)
	v_fmac_f64_e32 v[2:3], v[42:43], v[108:109]
	v_fmac_f64_e32 v[78:79], v[44:45], v[108:109]
	;; [unrolled: 1-line block ×8, first 2 shown]
	v_fma_f64 v[58:59], -v[44:45], v[110:111], v[2:3]
	v_fmac_f64_e32 v[78:79], v[42:43], v[110:111]
	v_fma_f64 v[56:57], -v[84:85], v[110:111], v[0:1]
	v_fmac_f64_e32 v[74:75], v[82:83], v[110:111]
	;; [unrolled: 2-line block ×4, first 2 shown]
	s_andn2_b64 exec, exec, s[14:15]
	s_cbranch_execnz .LBB16_19
; %bb.20:
	s_or_b64 exec, exec, s[14:15]
.LBB16_21:
	s_or_b64 exec, exec, s[2:3]
	v_cmp_lt_u32_e32 vcc, 23, v12
	s_and_saveexec_b64 s[14:15], vcc
	s_cbranch_execz .LBB16_25
; %bb.22:
	s_mov_b64 s[16:17], 0
	v_mov_b32_e32 v29, s13
	v_mov_b32_e32 v30, s5
	s_movk_i32 s18, 0x1000
.LBB16_23:                              ; =>This Inner Loop Header: Depth=1
	v_ashrrev_i32_e32 v17, 31, v16
	v_lshlrev_b64 v[0:1], 2, v[16:17]
	v_add_co_u32_e32 v20, vcc, s12, v0
	v_addc_co_u32_e32 v21, vcc, v29, v1, vcc
	global_load_dword v0, v[20:21], off
	global_load_dwordx4 v[24:27], v[18:19], off offset:48
	global_load_dwordx4 v[32:35], v[18:19], off offset:32
	;; [unrolled: 1-line block ×3, first 2 shown]
	global_load_dwordx4 v[40:43], v[18:19], off
	v_add_u32_e32 v16, 32, v16
	v_cmp_ge_i32_e64 s[2:3], v16, v90
	s_or_b64 s[16:17], s[2:3], s[16:17]
	s_waitcnt vmcnt(4)
	v_subrev_u32_e32 v0, s20, v0
	v_lshlrev_b32_e32 v0, 2, v0
	v_ashrrev_i32_e32 v1, 31, v0
	v_lshlrev_b64 v[0:1], 4, v[0:1]
	v_add_co_u32_e32 v22, vcc, s4, v0
	v_addc_co_u32_e32 v23, vcc, v30, v1, vcc
	global_load_dwordx4 v[0:3], v[22:23], off offset:48
	global_load_dwordx4 v[4:7], v[22:23], off offset:32
	;; [unrolled: 1-line block ×3, first 2 shown]
	global_load_dwordx4 v[12:15], v[22:23], off
	s_waitcnt vmcnt(0)
	v_fmac_f64_e32 v[58:59], v[40:41], v[12:13]
	v_fmac_f64_e32 v[78:79], v[42:43], v[12:13]
	v_fma_f64 v[22:23], -v[42:43], v[14:15], v[58:59]
	v_fmac_f64_e32 v[78:79], v[40:41], v[14:15]
	v_fmac_f64_e32 v[22:23], v[36:37], v[8:9]
	v_fmac_f64_e32 v[78:79], v[38:39], v[8:9]
	v_fma_f64 v[22:23], -v[38:39], v[10:11], v[22:23]
	v_fmac_f64_e32 v[78:79], v[36:37], v[10:11]
	v_fmac_f64_e32 v[22:23], v[32:33], v[4:5]
	v_fmac_f64_e32 v[78:79], v[34:35], v[4:5]
	v_fma_f64 v[22:23], -v[34:35], v[6:7], v[22:23]
	v_fmac_f64_e32 v[78:79], v[32:33], v[6:7]
	v_fmac_f64_e32 v[22:23], v[24:25], v[0:1]
	v_fmac_f64_e32 v[78:79], v[26:27], v[0:1]
	v_fma_f64 v[22:23], -v[26:27], v[2:3], v[22:23]
	v_fmac_f64_e32 v[78:79], v[24:25], v[2:3]
	global_load_dwordx4 v[32:35], v[18:19], off offset:112
	global_load_dwordx4 v[24:27], v[18:19], off offset:96
	global_load_dwordx4 v[36:39], v[18:19], off offset:80
	global_load_dwordx4 v[40:43], v[18:19], off offset:64
	s_waitcnt vmcnt(0)
	v_fmac_f64_e32 v[56:57], v[40:41], v[12:13]
	v_fmac_f64_e32 v[74:75], v[42:43], v[12:13]
	v_fma_f64 v[44:45], -v[42:43], v[14:15], v[56:57]
	v_fmac_f64_e32 v[74:75], v[40:41], v[14:15]
	v_fmac_f64_e32 v[44:45], v[36:37], v[8:9]
	v_fmac_f64_e32 v[74:75], v[38:39], v[8:9]
	v_fma_f64 v[40:41], -v[38:39], v[10:11], v[44:45]
	v_fmac_f64_e32 v[74:75], v[36:37], v[10:11]
	v_fmac_f64_e32 v[40:41], v[24:25], v[4:5]
	v_fmac_f64_e32 v[74:75], v[26:27], v[4:5]
	v_fma_f64 v[36:37], -v[26:27], v[6:7], v[40:41]
	v_fmac_f64_e32 v[74:75], v[24:25], v[6:7]
	v_fmac_f64_e32 v[36:37], v[32:33], v[0:1]
	v_fmac_f64_e32 v[74:75], v[34:35], v[0:1]
	v_fma_f64 v[24:25], -v[34:35], v[2:3], v[36:37]
	v_fmac_f64_e32 v[74:75], v[32:33], v[2:3]
	global_load_dwordx4 v[32:35], v[18:19], off offset:176
	global_load_dwordx4 v[36:39], v[18:19], off offset:160
	global_load_dwordx4 v[40:43], v[18:19], off offset:144
	global_load_dwordx4 v[44:47], v[18:19], off offset:128
	;; [unrolled: 21-line block ×3, first 2 shown]
	s_waitcnt vmcnt(0)
	v_fmac_f64_e32 v[52:53], v[44:45], v[12:13]
	v_fmac_f64_e32 v[70:71], v[46:47], v[12:13]
	v_fma_f64 v[48:49], -v[46:47], v[14:15], v[52:53]
	v_fmac_f64_e32 v[70:71], v[44:45], v[14:15]
	v_fmac_f64_e32 v[48:49], v[40:41], v[8:9]
	v_fmac_f64_e32 v[70:71], v[42:43], v[8:9]
	v_fma_f64 v[12:13], -v[42:43], v[10:11], v[48:49]
	v_fmac_f64_e32 v[70:71], v[40:41], v[10:11]
	;; [unrolled: 4-line block ×3, first 2 shown]
	v_fmac_f64_e32 v[8:9], v[32:33], v[0:1]
	v_fmac_f64_e32 v[70:71], v[34:35], v[0:1]
	global_load_dword v0, v[20:21], off offset:32
	v_fma_f64 v[4:5], -v[34:35], v[2:3], v[8:9]
	v_fmac_f64_e32 v[70:71], v[32:33], v[2:3]
	s_waitcnt vmcnt(0)
	v_subrev_u32_e32 v0, s20, v0
	v_lshlrev_b32_e32 v14, 2, v0
	v_ashrrev_i32_e32 v15, 31, v14
	v_lshlrev_b64 v[14:15], 4, v[14:15]
	v_add_co_u32_e32 v14, vcc, s4, v14
	v_addc_co_u32_e32 v15, vcc, v30, v15, vcc
	global_load_dwordx4 v[6:9], v[18:19], off offset:2096
	global_load_dwordx4 v[0:3], v[18:19], off offset:2080
	;; [unrolled: 1-line block ×7, first 2 shown]
	global_load_dwordx4 v[48:51], v[14:15], off
	s_waitcnt vmcnt(0)
	v_fmac_f64_e32 v[22:23], v[32:33], v[48:49]
	v_fma_f64 v[14:15], -v[34:35], v[50:51], v[22:23]
	v_fmac_f64_e32 v[78:79], v[34:35], v[48:49]
	v_fmac_f64_e32 v[78:79], v[32:33], v[50:51]
	v_fmac_f64_e32 v[14:15], v[10:11], v[44:45]
	v_fma_f64 v[14:15], -v[12:13], v[46:47], v[14:15]
	v_fmac_f64_e32 v[78:79], v[12:13], v[44:45]
	v_fmac_f64_e32 v[78:79], v[10:11], v[46:47]
	v_fmac_f64_e32 v[14:15], v[0:1], v[40:41]
	v_fma_f64 v[10:11], -v[2:3], v[42:43], v[14:15]
	v_fmac_f64_e32 v[78:79], v[2:3], v[40:41]
	v_fmac_f64_e32 v[78:79], v[0:1], v[42:43]
	v_fmac_f64_e32 v[10:11], v[6:7], v[36:37]
	v_fma_f64 v[2:3], -v[8:9], v[38:39], v[10:11]
	v_fmac_f64_e32 v[78:79], v[8:9], v[36:37]
	global_load_dwordx4 v[8:11], v[18:19], off offset:2160
	global_load_dwordx4 v[12:15], v[18:19], off offset:2144
	global_load_dwordx4 v[32:35], v[18:19], off offset:2128
	global_load_dwordx4 v[52:55], v[18:19], off offset:2112
	v_fmac_f64_e32 v[78:79], v[6:7], v[38:39]
	s_waitcnt vmcnt(0)
	v_fmac_f64_e32 v[24:25], v[52:53], v[48:49]
	v_fma_f64 v[0:1], -v[54:55], v[50:51], v[24:25]
	v_fmac_f64_e32 v[74:75], v[54:55], v[48:49]
	v_fmac_f64_e32 v[74:75], v[52:53], v[50:51]
	v_fmac_f64_e32 v[0:1], v[32:33], v[44:45]
	v_fma_f64 v[0:1], -v[34:35], v[46:47], v[0:1]
	v_fmac_f64_e32 v[74:75], v[34:35], v[44:45]
	v_fmac_f64_e32 v[74:75], v[32:33], v[46:47]
	v_fmac_f64_e32 v[0:1], v[12:13], v[40:41]
	v_fma_f64 v[0:1], -v[14:15], v[42:43], v[0:1]
	v_fmac_f64_e32 v[74:75], v[14:15], v[40:41]
	v_fmac_f64_e32 v[74:75], v[12:13], v[42:43]
	v_fmac_f64_e32 v[0:1], v[8:9], v[36:37]
	v_fma_f64 v[6:7], -v[10:11], v[38:39], v[0:1]
	v_fmac_f64_e32 v[74:75], v[10:11], v[36:37]
	global_load_dwordx4 v[10:13], v[18:19], off offset:2224
	global_load_dwordx4 v[22:25], v[18:19], off offset:2208
	global_load_dwordx4 v[32:35], v[18:19], off offset:2192
	global_load_dwordx4 v[52:55], v[18:19], off offset:2176
	v_fmac_f64_e32 v[74:75], v[8:9], v[38:39]
	;; [unrolled: 21-line block ×3, first 2 shown]
	s_waitcnt vmcnt(0)
	v_fmac_f64_e32 v[4:5], v[52:53], v[48:49]
	v_fma_f64 v[0:1], -v[54:55], v[50:51], v[4:5]
	global_load_dword v4, v[20:21], off offset:64
	v_fmac_f64_e32 v[0:1], v[32:33], v[44:45]
	v_fma_f64 v[0:1], -v[34:35], v[46:47], v[0:1]
	v_fmac_f64_e32 v[70:71], v[54:55], v[48:49]
	v_fmac_f64_e32 v[0:1], v[22:23], v[40:41]
	;; [unrolled: 1-line block ×3, first 2 shown]
	v_fma_f64 v[0:1], -v[24:25], v[42:43], v[0:1]
	v_fmac_f64_e32 v[70:71], v[34:35], v[44:45]
	v_fmac_f64_e32 v[0:1], v[12:13], v[36:37]
	v_fmac_f64_e32 v[70:71], v[32:33], v[46:47]
	v_fma_f64 v[10:11], -v[14:15], v[38:39], v[0:1]
	v_add_co_u32_e32 v0, vcc, s18, v18
	v_fmac_f64_e32 v[70:71], v[24:25], v[40:41]
	v_addc_co_u32_e32 v1, vcc, 0, v19, vcc
	v_fmac_f64_e32 v[70:71], v[22:23], v[42:43]
	v_fmac_f64_e32 v[70:71], v[14:15], v[36:37]
	;; [unrolled: 1-line block ×3, first 2 shown]
	global_load_dwordx4 v[12:15], v[0:1], off
	global_load_dwordx4 v[22:25], v[0:1], off offset:48
	global_load_dwordx4 v[32:35], v[0:1], off offset:32
	;; [unrolled: 1-line block ×3, first 2 shown]
	s_waitcnt vmcnt(4)
	v_subrev_u32_e32 v4, s20, v4
	v_lshlrev_b32_e32 v4, 2, v4
	v_ashrrev_i32_e32 v5, 31, v4
	v_lshlrev_b64 v[4:5], 4, v[4:5]
	v_add_co_u32_e32 v4, vcc, s4, v4
	v_addc_co_u32_e32 v5, vcc, v30, v5, vcc
	global_load_dwordx4 v[40:43], v[4:5], off offset:48
	global_load_dwordx4 v[44:47], v[4:5], off offset:32
	global_load_dwordx4 v[48:51], v[4:5], off offset:16
	global_load_dwordx4 v[52:55], v[4:5], off
	s_waitcnt vmcnt(0)
	v_fmac_f64_e32 v[2:3], v[12:13], v[52:53]
	v_fmac_f64_e32 v[78:79], v[14:15], v[52:53]
	v_fma_f64 v[2:3], -v[14:15], v[54:55], v[2:3]
	v_fmac_f64_e32 v[78:79], v[12:13], v[54:55]
	v_fmac_f64_e32 v[2:3], v[36:37], v[48:49]
	v_fmac_f64_e32 v[78:79], v[38:39], v[48:49]
	v_fma_f64 v[2:3], -v[38:39], v[50:51], v[2:3]
	v_fmac_f64_e32 v[78:79], v[36:37], v[50:51]
	v_fmac_f64_e32 v[2:3], v[32:33], v[44:45]
	v_fmac_f64_e32 v[78:79], v[34:35], v[44:45]
	v_fma_f64 v[2:3], -v[34:35], v[46:47], v[2:3]
	v_fmac_f64_e32 v[78:79], v[32:33], v[46:47]
	v_fmac_f64_e32 v[2:3], v[22:23], v[40:41]
	v_fmac_f64_e32 v[78:79], v[24:25], v[40:41]
	v_fma_f64 v[4:5], -v[24:25], v[42:43], v[2:3]
	v_fmac_f64_e32 v[78:79], v[22:23], v[42:43]
	global_load_dwordx4 v[12:15], v[0:1], off offset:112
	global_load_dwordx4 v[22:25], v[0:1], off offset:96
	global_load_dwordx4 v[32:35], v[0:1], off offset:80
	global_load_dwordx4 v[36:39], v[0:1], off offset:64
	s_waitcnt vmcnt(0)
	v_fmac_f64_e32 v[6:7], v[36:37], v[52:53]
	v_fmac_f64_e32 v[74:75], v[38:39], v[52:53]
	v_fma_f64 v[2:3], -v[38:39], v[54:55], v[6:7]
	v_fmac_f64_e32 v[74:75], v[36:37], v[54:55]
	v_fmac_f64_e32 v[2:3], v[32:33], v[48:49]
	v_fmac_f64_e32 v[74:75], v[34:35], v[48:49]
	v_fma_f64 v[2:3], -v[34:35], v[50:51], v[2:3]
	v_fmac_f64_e32 v[74:75], v[32:33], v[50:51]
	v_fmac_f64_e32 v[2:3], v[22:23], v[44:45]
	v_fmac_f64_e32 v[74:75], v[24:25], v[44:45]
	v_fma_f64 v[2:3], -v[24:25], v[46:47], v[2:3]
	v_fmac_f64_e32 v[74:75], v[22:23], v[46:47]
	v_fmac_f64_e32 v[2:3], v[12:13], v[40:41]
	v_fmac_f64_e32 v[74:75], v[14:15], v[40:41]
	v_fma_f64 v[6:7], -v[14:15], v[42:43], v[2:3]
	v_fmac_f64_e32 v[74:75], v[12:13], v[42:43]
	global_load_dwordx4 v[12:15], v[0:1], off offset:176
	global_load_dwordx4 v[22:25], v[0:1], off offset:160
	global_load_dwordx4 v[32:35], v[0:1], off offset:144
	global_load_dwordx4 v[36:39], v[0:1], off offset:128
	s_waitcnt vmcnt(0)
	v_fmac_f64_e32 v[8:9], v[36:37], v[52:53]
	v_fmac_f64_e32 v[72:73], v[38:39], v[52:53]
	v_fma_f64 v[2:3], -v[38:39], v[54:55], v[8:9]
	v_fmac_f64_e32 v[72:73], v[36:37], v[54:55]
	v_fmac_f64_e32 v[2:3], v[32:33], v[48:49]
	v_fmac_f64_e32 v[72:73], v[34:35], v[48:49]
	v_fma_f64 v[2:3], -v[34:35], v[50:51], v[2:3]
	v_fmac_f64_e32 v[72:73], v[32:33], v[50:51]
	v_fmac_f64_e32 v[2:3], v[22:23], v[44:45]
	v_fmac_f64_e32 v[72:73], v[24:25], v[44:45]
	v_fma_f64 v[2:3], -v[24:25], v[46:47], v[2:3]
	v_fmac_f64_e32 v[72:73], v[22:23], v[46:47]
	v_fmac_f64_e32 v[2:3], v[12:13], v[40:41]
	v_fmac_f64_e32 v[72:73], v[14:15], v[40:41]
	v_fma_f64 v[8:9], -v[14:15], v[42:43], v[2:3]
	v_fmac_f64_e32 v[72:73], v[12:13], v[42:43]
	global_load_dwordx4 v[12:15], v[0:1], off offset:240
	global_load_dwordx4 v[22:25], v[0:1], off offset:224
	global_load_dwordx4 v[32:35], v[0:1], off offset:208
	global_load_dwordx4 v[36:39], v[0:1], off offset:192
	s_waitcnt vmcnt(0)
	v_fmac_f64_e32 v[10:11], v[36:37], v[52:53]
	v_fma_f64 v[2:3], -v[38:39], v[54:55], v[10:11]
	global_load_dword v10, v[20:21], off offset:96
	v_fmac_f64_e32 v[70:71], v[38:39], v[52:53]
	v_fmac_f64_e32 v[70:71], v[36:37], v[54:55]
	v_fmac_f64_e32 v[2:3], v[32:33], v[48:49]
	v_fma_f64 v[2:3], -v[34:35], v[50:51], v[2:3]
	v_fmac_f64_e32 v[70:71], v[34:35], v[48:49]
	v_fmac_f64_e32 v[70:71], v[32:33], v[50:51]
	v_fmac_f64_e32 v[2:3], v[22:23], v[44:45]
	v_fma_f64 v[2:3], -v[24:25], v[46:47], v[2:3]
	;; [unrolled: 4-line block ×3, first 2 shown]
	v_fmac_f64_e32 v[70:71], v[14:15], v[40:41]
	v_fmac_f64_e32 v[70:71], v[12:13], v[42:43]
	s_waitcnt vmcnt(0)
	v_subrev_u32_e32 v10, s20, v10
	v_lshlrev_b32_e32 v14, 2, v10
	v_ashrrev_i32_e32 v15, 31, v14
	v_lshlrev_b64 v[14:15], 4, v[14:15]
	v_add_co_u32_e32 v14, vcc, s4, v14
	v_addc_co_u32_e32 v15, vcc, v30, v15, vcc
	global_load_dwordx4 v[10:13], v[0:1], off offset:2096
	global_load_dwordx4 v[20:23], v[0:1], off offset:2080
	;; [unrolled: 1-line block ×7, first 2 shown]
	global_load_dwordx4 v[48:51], v[14:15], off
	v_add_co_u32_e32 v18, vcc, 0x2000, v18
	v_addc_co_u32_e32 v19, vcc, 0, v19, vcc
	s_waitcnt vmcnt(0)
	v_fmac_f64_e32 v[4:5], v[32:33], v[48:49]
	v_fmac_f64_e32 v[78:79], v[34:35], v[48:49]
	v_fma_f64 v[4:5], -v[34:35], v[50:51], v[4:5]
	v_fmac_f64_e32 v[78:79], v[32:33], v[50:51]
	v_fmac_f64_e32 v[4:5], v[24:25], v[44:45]
	v_fmac_f64_e32 v[78:79], v[26:27], v[44:45]
	v_fma_f64 v[4:5], -v[26:27], v[46:47], v[4:5]
	v_fmac_f64_e32 v[78:79], v[24:25], v[46:47]
	v_fmac_f64_e32 v[4:5], v[20:21], v[40:41]
	v_fmac_f64_e32 v[78:79], v[22:23], v[40:41]
	v_fma_f64 v[4:5], -v[22:23], v[42:43], v[4:5]
	v_fmac_f64_e32 v[78:79], v[20:21], v[42:43]
	v_fmac_f64_e32 v[4:5], v[10:11], v[36:37]
	v_fmac_f64_e32 v[78:79], v[12:13], v[36:37]
	v_fma_f64 v[58:59], -v[12:13], v[38:39], v[4:5]
	v_fmac_f64_e32 v[78:79], v[10:11], v[38:39]
	global_load_dwordx4 v[10:13], v[0:1], off offset:2160
	global_load_dwordx4 v[20:23], v[0:1], off offset:2144
	global_load_dwordx4 v[24:27], v[0:1], off offset:2128
	global_load_dwordx4 v[32:35], v[0:1], off offset:2112
	s_waitcnt vmcnt(0)
	v_fmac_f64_e32 v[6:7], v[32:33], v[48:49]
	v_fmac_f64_e32 v[74:75], v[34:35], v[48:49]
	v_fma_f64 v[4:5], -v[34:35], v[50:51], v[6:7]
	v_fmac_f64_e32 v[74:75], v[32:33], v[50:51]
	v_fmac_f64_e32 v[4:5], v[24:25], v[44:45]
	v_fmac_f64_e32 v[74:75], v[26:27], v[44:45]
	v_fma_f64 v[4:5], -v[26:27], v[46:47], v[4:5]
	v_fmac_f64_e32 v[74:75], v[24:25], v[46:47]
	v_fmac_f64_e32 v[4:5], v[20:21], v[40:41]
	v_fmac_f64_e32 v[74:75], v[22:23], v[40:41]
	v_fma_f64 v[4:5], -v[22:23], v[42:43], v[4:5]
	v_fmac_f64_e32 v[74:75], v[20:21], v[42:43]
	v_fmac_f64_e32 v[4:5], v[10:11], v[36:37]
	v_fmac_f64_e32 v[74:75], v[12:13], v[36:37]
	v_fma_f64 v[56:57], -v[12:13], v[38:39], v[4:5]
	v_fmac_f64_e32 v[74:75], v[10:11], v[38:39]
	global_load_dwordx4 v[4:7], v[0:1], off offset:2224
	global_load_dwordx4 v[10:13], v[0:1], off offset:2208
	global_load_dwordx4 v[20:23], v[0:1], off offset:2192
	global_load_dwordx4 v[24:27], v[0:1], off offset:2176
	;; [unrolled: 21-line block ×3, first 2 shown]
	s_waitcnt vmcnt(0)
	v_fmac_f64_e32 v[2:3], v[20:21], v[48:49]
	v_fmac_f64_e32 v[70:71], v[22:23], v[48:49]
	v_fma_f64 v[0:1], -v[22:23], v[50:51], v[2:3]
	v_fmac_f64_e32 v[70:71], v[20:21], v[50:51]
	v_fmac_f64_e32 v[0:1], v[12:13], v[44:45]
	v_fmac_f64_e32 v[70:71], v[14:15], v[44:45]
	v_fma_f64 v[0:1], -v[14:15], v[46:47], v[0:1]
	v_fmac_f64_e32 v[70:71], v[12:13], v[46:47]
	;; [unrolled: 4-line block ×4, first 2 shown]
	s_andn2_b64 exec, exec, s[16:17]
	s_cbranch_execnz .LBB16_23
; %bb.24:
	s_or_b64 exec, exec, s[16:17]
.LBB16_25:
	s_or_b64 exec, exec, s[14:15]
.LBB16_26:
	s_or_b64 exec, exec, s[10:11]
	s_andn2_b64 vcc, exec, s[8:9]
	s_cbranch_vccz .LBB16_28
	s_branch .LBB16_39
.LBB16_27:
                                        ; implicit-def: $vgpr78_vgpr79
                                        ; implicit-def: $vgpr58_vgpr59
                                        ; implicit-def: $vgpr52_vgpr53
                                        ; implicit-def: $vgpr70_vgpr71
                                        ; implicit-def: $vgpr54_vgpr55
                                        ; implicit-def: $vgpr72_vgpr73
                                        ; implicit-def: $vgpr56_vgpr57
                                        ; implicit-def: $vgpr74_vgpr75
.LBB16_28:
	v_pk_mov_b32 v[78:79], 0, 0
	v_pk_mov_b32 v[58:59], v[78:79], v[78:79] op_sel:[0,1]
	v_pk_mov_b32 v[52:53], v[78:79], v[78:79] op_sel:[0,1]
	;; [unrolled: 1-line block ×7, first 2 shown]
	s_and_saveexec_b64 s[2:3], s[0:1]
	s_cbranch_execz .LBB16_38
; %bb.29:
	v_add_u32_e32 v0, v28, v69
	v_subrev_u32_e32 v0, s20, v0
	v_add_u32_e32 v0, 8, v0
	v_max_i32_e32 v0, v0, v90
	v_not_b32_e32 v1, v28
	v_add3_u32 v0, v0, s20, v1
	v_sub_u32_e32 v0, v0, v69
	v_lshrrev_b32_e32 v1, 3, v0
	v_add_u32_e32 v1, 1, v1
	v_and_b32_e32 v1, 3, v1
	v_pk_mov_b32 v[74:75], 0, 0
	v_cmp_ne_u32_e32 vcc, 0, v1
	v_pk_mov_b32 v[56:57], v[74:75], v[74:75] op_sel:[0,1]
	v_pk_mov_b32 v[72:73], v[74:75], v[74:75] op_sel:[0,1]
	;; [unrolled: 1-line block ×7, first 2 shown]
	s_and_saveexec_b64 s[0:1], vcc
	s_cbranch_execz .LBB16_33
; %bb.30:
	v_pk_mov_b32 v[78:79], 0, 0
	v_lshlrev_b32_e32 v1, 8, v1
	s_mov_b64 s[8:9], 0
	v_mov_b32_e32 v2, s13
	v_mov_b32_e32 v3, s5
	v_pk_mov_b32 v[58:59], v[78:79], v[78:79] op_sel:[0,1]
	v_pk_mov_b32 v[52:53], v[78:79], v[78:79] op_sel:[0,1]
	;; [unrolled: 1-line block ×7, first 2 shown]
.LBB16_31:                              ; =>This Inner Loop Header: Depth=1
	v_ashrrev_i32_e32 v77, 31, v76
	v_lshlrev_b64 v[4:5], 2, v[76:77]
	v_add_co_u32_e32 v92, vcc, s12, v4
	v_addc_co_u32_e32 v93, vcc, v2, v5, vcc
	global_load_dword v77, v[92:93], off
	global_load_dwordx4 v[4:7], v[80:81], off offset:48
	global_load_dwordx4 v[8:11], v[80:81], off offset:32
	;; [unrolled: 1-line block ×3, first 2 shown]
	global_load_dwordx4 v[16:19], v[80:81], off
	global_load_dwordx4 v[20:23], v[80:81], off offset:112
	global_load_dwordx4 v[24:27], v[80:81], off offset:96
	;; [unrolled: 1-line block ×10, first 2 shown]
                                        ; kill: killed $vgpr92 killed $vgpr93
	global_load_dwordx4 v[92:95], v[80:81], off offset:224
	global_load_dwordx4 v[96:99], v[80:81], off offset:240
	v_add_u32_e32 v1, 0xffffff00, v1
	v_add_u32_e32 v76, 8, v76
	s_waitcnt vmcnt(16)
	v_subrev_u32_e32 v77, s20, v77
	v_lshlrev_b32_e32 v100, 2, v77
	v_ashrrev_i32_e32 v101, 31, v100
	v_lshlrev_b64 v[100:101], 4, v[100:101]
	v_add_co_u32_e32 v116, vcc, s4, v100
	v_addc_co_u32_e32 v117, vcc, v3, v101, vcc
	global_load_dwordx4 v[100:103], v[116:117], off
	global_load_dwordx4 v[104:107], v[116:117], off offset:16
	global_load_dwordx4 v[108:111], v[116:117], off offset:32
	;; [unrolled: 1-line block ×3, first 2 shown]
	v_add_co_u32_e32 v80, vcc, 0x800, v80
	v_addc_co_u32_e32 v81, vcc, 0, v81, vcc
	v_cmp_eq_u32_e32 vcc, 0, v1
	s_or_b64 s[8:9], vcc, s[8:9]
	s_waitcnt vmcnt(3)
	v_fmac_f64_e32 v[58:59], v[16:17], v[100:101]
	v_fmac_f64_e32 v[78:79], v[18:19], v[100:101]
	v_fmac_f64_e32 v[56:57], v[12:13], v[100:101]
	v_fmac_f64_e32 v[74:75], v[14:15], v[100:101]
	v_fmac_f64_e32 v[54:55], v[8:9], v[100:101]
	v_fmac_f64_e32 v[72:73], v[10:11], v[100:101]
	v_fmac_f64_e32 v[52:53], v[4:5], v[100:101]
	v_fmac_f64_e32 v[70:71], v[6:7], v[100:101]
	v_fma_f64 v[18:19], -v[18:19], v[102:103], v[58:59]
	v_fmac_f64_e32 v[78:79], v[16:17], v[102:103]
	v_fma_f64 v[14:15], -v[14:15], v[102:103], v[56:57]
	v_fmac_f64_e32 v[74:75], v[12:13], v[102:103]
	v_fma_f64 v[10:11], -v[10:11], v[102:103], v[54:55]
	v_fmac_f64_e32 v[72:73], v[8:9], v[102:103]
	v_fma_f64 v[6:7], -v[6:7], v[102:103], v[52:53]
	v_fmac_f64_e32 v[70:71], v[4:5], v[102:103]
	s_waitcnt vmcnt(2)
	v_fmac_f64_e32 v[18:19], v[32:33], v[104:105]
	v_fmac_f64_e32 v[78:79], v[34:35], v[104:105]
	v_fmac_f64_e32 v[14:15], v[28:29], v[104:105]
	v_fmac_f64_e32 v[74:75], v[30:31], v[104:105]
	v_fmac_f64_e32 v[10:11], v[24:25], v[104:105]
	v_fmac_f64_e32 v[72:73], v[26:27], v[104:105]
	v_fmac_f64_e32 v[6:7], v[20:21], v[104:105]
	v_fmac_f64_e32 v[70:71], v[22:23], v[104:105]
	v_fma_f64 v[4:5], -v[34:35], v[106:107], v[18:19]
	v_fmac_f64_e32 v[78:79], v[32:33], v[106:107]
	v_fma_f64 v[8:9], -v[30:31], v[106:107], v[14:15]
	v_fmac_f64_e32 v[74:75], v[28:29], v[106:107]
	v_fma_f64 v[10:11], -v[26:27], v[106:107], v[10:11]
	v_fmac_f64_e32 v[72:73], v[24:25], v[106:107]
	v_fma_f64 v[6:7], -v[22:23], v[106:107], v[6:7]
	v_fmac_f64_e32 v[70:71], v[20:21], v[106:107]
	;; [unrolled: 17-line block ×4, first 2 shown]
	s_andn2_b64 exec, exec, s[8:9]
	s_cbranch_execnz .LBB16_31
; %bb.32:
	s_or_b64 exec, exec, s[8:9]
.LBB16_33:
	s_or_b64 exec, exec, s[0:1]
	v_cmp_lt_u32_e32 vcc, 23, v0
	s_and_saveexec_b64 s[0:1], vcc
	s_cbranch_execz .LBB16_37
; %bb.34:
	s_mov_b64 s[8:9], 0
	v_mov_b32_e32 v91, s13
	v_mov_b32_e32 v92, s5
	s_movk_i32 s5, 0x1000
.LBB16_35:                              ; =>This Inner Loop Header: Depth=1
	v_ashrrev_i32_e32 v77, 31, v76
	v_lshlrev_b64 v[48:49], 2, v[76:77]
	v_add_co_u32_e32 v82, vcc, s12, v48
	v_addc_co_u32_e32 v83, vcc, v91, v49, vcc
	global_load_dwordx4 v[0:3], v[80:81], off offset:48
	global_load_dwordx4 v[4:7], v[80:81], off offset:32
	;; [unrolled: 1-line block ×3, first 2 shown]
	global_load_dwordx4 v[86:89], v[80:81], off
	global_load_dwordx4 v[12:15], v[80:81], off offset:112
	global_load_dwordx4 v[16:19], v[80:81], off offset:96
	;; [unrolled: 1-line block ×9, first 2 shown]
	global_load_dword v48, v[82:83], off
	v_add_u32_e32 v76, 32, v76
	s_waitcnt vmcnt(0)
	v_subrev_u32_e32 v48, s20, v48
	v_lshlrev_b32_e32 v48, 2, v48
	v_ashrrev_i32_e32 v49, 31, v48
	v_lshlrev_b64 v[48:49], 4, v[48:49]
	v_add_co_u32_e32 v84, vcc, s4, v48
	v_addc_co_u32_e32 v85, vcc, v92, v49, vcc
	global_load_dwordx4 v[48:51], v[84:85], off
	s_waitcnt vmcnt(0)
	v_fmac_f64_e32 v[58:59], v[86:87], v[48:49]
	v_fmac_f64_e32 v[78:79], v[88:89], v[48:49]
	v_fmac_f64_e32 v[56:57], v[8:9], v[48:49]
	v_fmac_f64_e32 v[74:75], v[10:11], v[48:49]
	v_fmac_f64_e32 v[54:55], v[4:5], v[48:49]
	v_fmac_f64_e32 v[72:73], v[6:7], v[48:49]
	v_fmac_f64_e32 v[52:53], v[0:1], v[48:49]
	v_fmac_f64_e32 v[70:71], v[2:3], v[48:49]
	v_fma_f64 v[58:59], -v[88:89], v[50:51], v[58:59]
	v_fmac_f64_e32 v[78:79], v[86:87], v[50:51]
	global_load_dwordx4 v[86:89], v[80:81], off offset:224
	v_fma_f64 v[56:57], -v[10:11], v[50:51], v[56:57]
	v_fmac_f64_e32 v[74:75], v[8:9], v[50:51]
	global_load_dwordx4 v[8:11], v[80:81], off offset:208
	v_fma_f64 v[54:55], -v[6:7], v[50:51], v[54:55]
	v_fmac_f64_e32 v[72:73], v[4:5], v[50:51]
	global_load_dwordx4 v[4:7], v[80:81], off offset:192
	v_fma_f64 v[52:53], -v[2:3], v[50:51], v[52:53]
	v_fmac_f64_e32 v[70:71], v[0:1], v[50:51]
	global_load_dwordx4 v[0:3], v[80:81], off offset:2096
	global_load_dwordx4 v[48:51], v[84:85], off offset:16
	s_waitcnt vmcnt(0)
	v_fmac_f64_e32 v[58:59], v[32:33], v[48:49]
	v_fmac_f64_e32 v[78:79], v[34:35], v[48:49]
	v_fmac_f64_e32 v[56:57], v[20:21], v[48:49]
	v_fmac_f64_e32 v[74:75], v[22:23], v[48:49]
	v_fmac_f64_e32 v[54:55], v[16:17], v[48:49]
	v_fmac_f64_e32 v[72:73], v[18:19], v[48:49]
	v_fmac_f64_e32 v[52:53], v[12:13], v[48:49]
	v_fmac_f64_e32 v[70:71], v[14:15], v[48:49]
	v_fma_f64 v[58:59], -v[34:35], v[50:51], v[58:59]
	v_fmac_f64_e32 v[78:79], v[32:33], v[50:51]
	global_load_dwordx4 v[32:35], v[80:81], off offset:2080
	v_fma_f64 v[56:57], -v[22:23], v[50:51], v[56:57]
	v_fmac_f64_e32 v[74:75], v[20:21], v[50:51]
	global_load_dwordx4 v[20:23], v[80:81], off offset:2064
	v_fma_f64 v[54:55], -v[18:19], v[50:51], v[54:55]
	v_fmac_f64_e32 v[72:73], v[16:17], v[50:51]
	global_load_dwordx4 v[16:19], v[80:81], off offset:2048
	v_fma_f64 v[52:53], -v[14:15], v[50:51], v[52:53]
	v_fmac_f64_e32 v[70:71], v[12:13], v[50:51]
	global_load_dwordx4 v[12:15], v[80:81], off offset:2160
	global_load_dwordx4 v[48:51], v[84:85], off offset:32
	;; [unrolled: 22-line block ×3, first 2 shown]
	global_load_dwordx4 v[52:55], v[84:85], off offset:48
	s_waitcnt vmcnt(0)
	v_fmac_f64_e32 v[70:71], v[46:47], v[52:53]
	v_fmac_f64_e32 v[96:97], v[44:45], v[52:53]
	v_fmac_f64_e32 v[70:71], v[44:45], v[54:55]
	global_load_dword v44, v[82:83], off offset:32
	v_fmac_f64_e32 v[94:95], v[86:87], v[52:53]
	v_fmac_f64_e32 v[72:73], v[88:89], v[52:53]
	v_fma_f64 v[88:89], -v[88:89], v[54:55], v[94:95]
	v_fmac_f64_e32 v[58:59], v[4:5], v[52:53]
	v_fmac_f64_e32 v[78:79], v[6:7], v[52:53]
	v_fmac_f64_e32 v[56:57], v[8:9], v[52:53]
	v_fmac_f64_e32 v[74:75], v[10:11], v[52:53]
	v_fma_f64 v[52:53], -v[46:47], v[54:55], v[96:97]
	v_fma_f64 v[58:59], -v[6:7], v[54:55], v[58:59]
	;; [unrolled: 1-line block ×3, first 2 shown]
	v_fmac_f64_e32 v[78:79], v[4:5], v[54:55]
	v_fmac_f64_e32 v[74:75], v[8:9], v[54:55]
	v_fmac_f64_e32 v[72:73], v[86:87], v[54:55]
	global_load_dwordx4 v[4:7], v[80:81], off offset:2192
	global_load_dwordx4 v[8:11], v[80:81], off offset:2176
	;; [unrolled: 1-line block ×3, first 2 shown]
	s_waitcnt vmcnt(3)
	v_subrev_u32_e32 v44, s20, v44
	v_lshlrev_b32_e32 v44, 2, v44
	v_ashrrev_i32_e32 v45, 31, v44
	v_lshlrev_b64 v[44:45], 4, v[44:45]
	v_add_co_u32_e32 v94, vcc, s4, v44
	v_addc_co_u32_e32 v95, vcc, v92, v45, vcc
	global_load_dwordx4 v[44:47], v[94:95], off
	s_waitcnt vmcnt(0)
	v_fmac_f64_e32 v[58:59], v[16:17], v[44:45]
	v_fmac_f64_e32 v[56:57], v[20:21], v[44:45]
	v_fma_f64 v[54:55], -v[18:19], v[46:47], v[58:59]
	v_fma_f64 v[58:59], -v[22:23], v[46:47], v[56:57]
	v_add_co_u32_e32 v56, vcc, s5, v80
	v_fmac_f64_e32 v[78:79], v[18:19], v[44:45]
	v_fmac_f64_e32 v[74:75], v[22:23], v[44:45]
	;; [unrolled: 1-line block ×4, first 2 shown]
	v_addc_co_u32_e32 v57, vcc, 0, v81, vcc
	v_fmac_f64_e32 v[52:53], v[0:1], v[44:45]
	v_fmac_f64_e32 v[70:71], v[2:3], v[44:45]
	;; [unrolled: 1-line block ×3, first 2 shown]
	global_load_dwordx4 v[16:19], v[80:81], off offset:2272
	v_fmac_f64_e32 v[74:75], v[20:21], v[46:47]
	global_load_dwordx4 v[20:23], v[80:81], off offset:2256
	v_fma_f64 v[88:89], -v[34:35], v[46:47], v[88:89]
	v_fmac_f64_e32 v[72:73], v[32:33], v[46:47]
	global_load_dwordx4 v[32:35], v[80:81], off offset:2240
	v_fma_f64 v[52:53], -v[2:3], v[46:47], v[52:53]
	v_fmac_f64_e32 v[70:71], v[0:1], v[46:47]
	global_load_dwordx4 v[0:3], v[56:57], off offset:48
	global_load_dwordx4 v[44:47], v[94:95], off offset:16
	s_waitcnt vmcnt(0)
	v_fmac_f64_e32 v[54:55], v[28:29], v[44:45]
	v_fmac_f64_e32 v[78:79], v[30:31], v[44:45]
	;; [unrolled: 1-line block ×8, first 2 shown]
	v_fma_f64 v[54:55], -v[30:31], v[46:47], v[54:55]
	v_fmac_f64_e32 v[78:79], v[28:29], v[46:47]
	global_load_dwordx4 v[28:31], v[56:57], off offset:32
	v_fma_f64 v[58:59], -v[38:39], v[46:47], v[58:59]
	v_fmac_f64_e32 v[74:75], v[36:37], v[46:47]
	global_load_dwordx4 v[36:39], v[56:57], off
	v_fma_f64 v[88:89], -v[42:43], v[46:47], v[88:89]
	v_fmac_f64_e32 v[72:73], v[40:41], v[46:47]
	global_load_dwordx4 v[40:43], v[56:57], off offset:16
	v_fma_f64 v[96:97], -v[14:15], v[46:47], v[52:53]
	v_fmac_f64_e32 v[70:71], v[12:13], v[46:47]
	global_load_dwordx4 v[12:15], v[56:57], off offset:112
	global_load_dwordx4 v[44:47], v[94:95], off offset:32
	s_waitcnt vmcnt(0)
	v_fmac_f64_e32 v[54:55], v[8:9], v[44:45]
	v_fmac_f64_e32 v[78:79], v[10:11], v[44:45]
	;; [unrolled: 1-line block ×8, first 2 shown]
	v_fma_f64 v[98:99], -v[10:11], v[46:47], v[54:55]
	v_fmac_f64_e32 v[78:79], v[8:9], v[46:47]
	global_load_dwordx4 v[8:11], v[56:57], off offset:96
	v_fma_f64 v[58:59], -v[6:7], v[46:47], v[58:59]
	v_fmac_f64_e32 v[74:75], v[4:5], v[46:47]
	global_load_dwordx4 v[4:7], v[56:57], off offset:80
	global_load_dwordx4 v[52:55], v[56:57], off offset:64
	v_fma_f64 v[50:51], -v[50:51], v[46:47], v[88:89]
	v_fmac_f64_e32 v[72:73], v[48:49], v[46:47]
	v_fma_f64 v[48:49], -v[26:27], v[46:47], v[96:97]
	v_fmac_f64_e32 v[70:71], v[24:25], v[46:47]
	global_load_dwordx4 v[24:27], v[56:57], off offset:176
	global_load_dwordx4 v[44:47], v[94:95], off offset:48
	s_waitcnt vmcnt(0)
	v_fmac_f64_e32 v[98:99], v[32:33], v[44:45]
	v_fmac_f64_e32 v[78:79], v[34:35], v[44:45]
	;; [unrolled: 1-line block ×8, first 2 shown]
	v_fma_f64 v[88:89], -v[34:35], v[46:47], v[98:99]
	v_fmac_f64_e32 v[78:79], v[32:33], v[46:47]
	global_load_dwordx4 v[32:35], v[56:57], off offset:160
	v_fma_f64 v[58:59], -v[22:23], v[46:47], v[58:59]
	v_fmac_f64_e32 v[74:75], v[20:21], v[46:47]
	global_load_dwordx4 v[20:23], v[56:57], off offset:144
	;; [unrolled: 3-line block ×4, first 2 shown]
	global_load_dword v44, v[82:83], off offset:64
	global_load_dwordx4 v[94:97], v[56:57], off offset:224
	global_load_dwordx4 v[98:101], v[56:57], off offset:208
	global_load_dwordx4 v[102:105], v[56:57], off offset:192
	s_waitcnt vmcnt(3)
	v_subrev_u32_e32 v44, s20, v44
	v_lshlrev_b32_e32 v44, 2, v44
	v_ashrrev_i32_e32 v45, 31, v44
	v_lshlrev_b64 v[44:45], 4, v[44:45]
	v_add_co_u32_e32 v106, vcc, s4, v44
	v_addc_co_u32_e32 v107, vcc, v92, v45, vcc
	global_load_dwordx4 v[44:47], v[106:107], off
	s_waitcnt vmcnt(0)
	v_fmac_f64_e32 v[50:51], v[28:29], v[44:45]
	v_fmac_f64_e32 v[72:73], v[30:31], v[44:45]
	;; [unrolled: 1-line block ×4, first 2 shown]
	v_fma_f64 v[30:31], -v[30:31], v[46:47], v[50:51]
	v_fmac_f64_e32 v[72:73], v[28:29], v[46:47]
	v_fma_f64 v[28:29], -v[2:3], v[46:47], v[48:49]
	v_fmac_f64_e32 v[70:71], v[0:1], v[46:47]
	global_load_dwordx4 v[48:51], v[56:57], off offset:2096
	global_load_dwordx4 v[0:3], v[106:107], off offset:16
	v_fmac_f64_e32 v[88:89], v[36:37], v[44:45]
	v_fmac_f64_e32 v[78:79], v[38:39], v[44:45]
	;; [unrolled: 1-line block ×4, first 2 shown]
	v_fma_f64 v[38:39], -v[38:39], v[46:47], v[88:89]
	v_fmac_f64_e32 v[78:79], v[36:37], v[46:47]
	v_fma_f64 v[36:37], -v[42:43], v[46:47], v[58:59]
	v_fmac_f64_e32 v[74:75], v[40:41], v[46:47]
	global_load_dwordx4 v[40:43], v[56:57], off offset:2064
	s_waitcnt vmcnt(1)
	v_fmac_f64_e32 v[38:39], v[52:53], v[0:1]
	v_fmac_f64_e32 v[78:79], v[54:55], v[0:1]
	;; [unrolled: 1-line block ×8, first 2 shown]
	v_fma_f64 v[44:45], -v[54:55], v[2:3], v[38:39]
	v_fmac_f64_e32 v[78:79], v[52:53], v[2:3]
	global_load_dwordx4 v[52:55], v[56:57], off offset:2080
	v_fma_f64 v[46:47], -v[6:7], v[2:3], v[36:37]
	global_load_dwordx4 v[36:39], v[56:57], off offset:2048
	v_fmac_f64_e32 v[74:75], v[4:5], v[2:3]
	v_fma_f64 v[30:31], -v[10:11], v[2:3], v[30:31]
	v_fmac_f64_e32 v[72:73], v[8:9], v[2:3]
	v_fma_f64 v[14:15], -v[14:15], v[2:3], v[28:29]
	v_fmac_f64_e32 v[70:71], v[12:13], v[2:3]
	global_load_dwordx4 v[0:3], v[56:57], off offset:2160
	global_load_dwordx4 v[4:7], v[106:107], off offset:32
	;; [unrolled: 1-line block ×3, first 2 shown]
	s_waitcnt vmcnt(1)
	v_fmac_f64_e32 v[44:45], v[16:17], v[4:5]
	v_fmac_f64_e32 v[78:79], v[18:19], v[4:5]
	;; [unrolled: 1-line block ×8, first 2 shown]
	v_fma_f64 v[18:19], -v[18:19], v[6:7], v[44:45]
	v_fmac_f64_e32 v[78:79], v[16:17], v[6:7]
	v_fma_f64 v[46:47], -v[22:23], v[6:7], v[46:47]
	v_fmac_f64_e32 v[74:75], v[20:21], v[6:7]
	global_load_dwordx4 v[20:23], v[56:57], off offset:2128
	v_fma_f64 v[34:35], -v[34:35], v[6:7], v[30:31]
	global_load_dwordx4 v[28:31], v[56:57], off offset:2112
	v_fmac_f64_e32 v[72:73], v[32:33], v[6:7]
	v_fma_f64 v[88:89], -v[26:27], v[6:7], v[14:15]
	v_fmac_f64_e32 v[70:71], v[24:25], v[6:7]
	global_load_dwordx4 v[4:7], v[56:57], off offset:2224
	global_load_dwordx4 v[12:15], v[106:107], off offset:48
	;; [unrolled: 1-line block ×3, first 2 shown]
	s_waitcnt vmcnt(1)
	v_fmac_f64_e32 v[18:19], v[102:103], v[12:13]
	v_fmac_f64_e32 v[78:79], v[104:105], v[12:13]
	;; [unrolled: 1-line block ×8, first 2 shown]
	v_fma_f64 v[44:45], -v[104:105], v[14:15], v[18:19]
	v_fmac_f64_e32 v[78:79], v[102:103], v[14:15]
	global_load_dwordx4 v[16:19], v[56:57], off offset:2208
	v_fma_f64 v[46:47], -v[100:101], v[14:15], v[46:47]
	v_fmac_f64_e32 v[74:75], v[98:99], v[14:15]
	v_fma_f64 v[58:59], -v[96:97], v[14:15], v[34:35]
	global_load_dwordx4 v[32:35], v[56:57], off offset:2176
	v_fmac_f64_e32 v[72:73], v[94:95], v[14:15]
	v_fma_f64 v[88:89], -v[86:87], v[14:15], v[88:89]
	v_fmac_f64_e32 v[70:71], v[84:85], v[14:15]
	global_load_dwordx4 v[12:15], v[56:57], off offset:2272
	global_load_dword v77, v[82:83], off offset:96
	s_waitcnt vmcnt(0)
	v_subrev_u32_e32 v77, s20, v77
	v_lshlrev_b32_e32 v82, 2, v77
	v_ashrrev_i32_e32 v83, 31, v82
	v_lshlrev_b64 v[82:83], 4, v[82:83]
	v_add_co_u32_e32 v98, vcc, s4, v82
	v_addc_co_u32_e32 v99, vcc, v92, v83, vcc
	global_load_dwordx4 v[94:97], v[98:99], off
	v_add_co_u32_e32 v80, vcc, 0x2000, v80
	v_addc_co_u32_e32 v81, vcc, 0, v81, vcc
	v_cmp_ge_i32_e32 vcc, v76, v90
	s_or_b64 s[8:9], vcc, s[8:9]
	s_waitcnt vmcnt(0)
	v_fmac_f64_e32 v[44:45], v[36:37], v[94:95]
	v_fmac_f64_e32 v[78:79], v[38:39], v[94:95]
	;; [unrolled: 1-line block ×5, first 2 shown]
	v_fma_f64 v[82:83], -v[38:39], v[96:97], v[44:45]
	v_fmac_f64_e32 v[78:79], v[36:37], v[96:97]
	global_load_dwordx4 v[36:39], v[56:57], off offset:2256
	v_fma_f64 v[84:85], -v[42:43], v[96:97], v[46:47]
	v_fmac_f64_e32 v[74:75], v[40:41], v[96:97]
	global_load_dwordx4 v[44:47], v[56:57], off offset:2240
	global_load_dwordx4 v[40:43], v[56:57], off offset:2288
	v_fma_f64 v[86:87], -v[54:55], v[96:97], v[58:59]
	global_load_dwordx4 v[56:59], v[98:99], off offset:16
	v_fmac_f64_e32 v[72:73], v[54:55], v[94:95]
	v_fmac_f64_e32 v[88:89], v[48:49], v[94:95]
	;; [unrolled: 1-line block ×4, first 2 shown]
	v_fma_f64 v[88:89], -v[50:51], v[96:97], v[88:89]
	v_fmac_f64_e32 v[70:71], v[48:49], v[96:97]
	global_load_dwordx4 v[52:55], v[98:99], off offset:32
	global_load_dwordx4 v[48:51], v[98:99], off offset:48
	s_waitcnt vmcnt(2)
	v_fmac_f64_e32 v[82:83], v[28:29], v[56:57]
	v_fmac_f64_e32 v[78:79], v[30:31], v[56:57]
	v_fmac_f64_e32 v[84:85], v[20:21], v[56:57]
	v_fmac_f64_e32 v[74:75], v[22:23], v[56:57]
	v_fmac_f64_e32 v[86:87], v[8:9], v[56:57]
	v_fmac_f64_e32 v[72:73], v[10:11], v[56:57]
	v_fmac_f64_e32 v[88:89], v[0:1], v[56:57]
	v_fmac_f64_e32 v[70:71], v[2:3], v[56:57]
	v_fma_f64 v[30:31], -v[30:31], v[58:59], v[82:83]
	v_fmac_f64_e32 v[78:79], v[28:29], v[58:59]
	v_fma_f64 v[22:23], -v[22:23], v[58:59], v[84:85]
	v_fmac_f64_e32 v[74:75], v[20:21], v[58:59]
	v_fma_f64 v[10:11], -v[10:11], v[58:59], v[86:87]
	v_fmac_f64_e32 v[72:73], v[8:9], v[58:59]
	v_fma_f64 v[2:3], -v[2:3], v[58:59], v[88:89]
	v_fmac_f64_e32 v[70:71], v[0:1], v[58:59]
	s_waitcnt vmcnt(1)
	v_fmac_f64_e32 v[30:31], v[32:33], v[52:53]
	v_fmac_f64_e32 v[78:79], v[34:35], v[52:53]
	v_fmac_f64_e32 v[22:23], v[24:25], v[52:53]
	v_fmac_f64_e32 v[74:75], v[26:27], v[52:53]
	v_fmac_f64_e32 v[10:11], v[16:17], v[52:53]
	v_fmac_f64_e32 v[72:73], v[18:19], v[52:53]
	v_fmac_f64_e32 v[2:3], v[4:5], v[52:53]
	v_fmac_f64_e32 v[70:71], v[6:7], v[52:53]
	v_fma_f64 v[0:1], -v[34:35], v[54:55], v[30:31]
	v_fmac_f64_e32 v[78:79], v[32:33], v[54:55]
	v_fma_f64 v[8:9], -v[26:27], v[54:55], v[22:23]
	v_fmac_f64_e32 v[74:75], v[24:25], v[54:55]
	v_fma_f64 v[10:11], -v[18:19], v[54:55], v[10:11]
	v_fmac_f64_e32 v[72:73], v[16:17], v[54:55]
	v_fma_f64 v[2:3], -v[6:7], v[54:55], v[2:3]
	v_fmac_f64_e32 v[70:71], v[4:5], v[54:55]
	;; [unrolled: 17-line block ×3, first 2 shown]
	s_andn2_b64 exec, exec, s[8:9]
	s_cbranch_execnz .LBB16_35
; %bb.36:
	s_or_b64 exec, exec, s[8:9]
.LBB16_37:
	s_or_b64 exec, exec, s[0:1]
.LBB16_38:
	s_or_b64 exec, exec, s[2:3]
.LBB16_39:
	v_mov_b32_dpp v0, v58 row_shr:1 row_mask:0xf bank_mask:0xf
	v_mov_b32_dpp v1, v59 row_shr:1 row_mask:0xf bank_mask:0xf
	;; [unrolled: 1-line block ×16, first 2 shown]
	v_add_f64 v[0:1], v[58:59], v[0:1]
	v_add_f64 v[4:5], v[78:79], v[4:5]
	;; [unrolled: 1-line block ×8, first 2 shown]
	v_mov_b32_dpp v2, v0 row_shr:2 row_mask:0xf bank_mask:0xf
	v_mov_b32_dpp v3, v1 row_shr:2 row_mask:0xf bank_mask:0xf
	;; [unrolled: 1-line block ×16, first 2 shown]
	v_add_f64 v[0:1], v[0:1], v[2:3]
	v_add_f64 v[4:5], v[4:5], v[6:7]
	;; [unrolled: 1-line block ×8, first 2 shown]
	v_mov_b32_dpp v2, v0 row_shr:4 row_mask:0xf bank_mask:0xe
	v_mov_b32_dpp v3, v1 row_shr:4 row_mask:0xf bank_mask:0xe
	;; [unrolled: 1-line block ×16, first 2 shown]
	v_cmp_eq_u32_e32 vcc, 7, v69
	s_and_b64 exec, exec, vcc
	s_cbranch_execz .LBB16_12
; %bb.40:
	s_load_dwordx2 s[2:3], s[6:7], 0x60
	v_add_f64 v[32:33], v[0:1], v[2:3]
	v_add_f64 v[0:1], v[4:5], v[6:7]
	;; [unrolled: 1-line block ×8, first 2 shown]
	v_cmp_eq_f64_e32 vcc, 0, v[60:61]
	v_cmp_eq_f64_e64 s[0:1], 0, v[62:63]
	v_mul_f64 v[12:13], v[0:1], -v[66:67]
	v_mul_f64 v[14:15], v[64:65], v[0:1]
	v_mul_f64 v[8:9], v[2:3], -v[66:67]
	v_mul_f64 v[10:11], v[64:65], v[2:3]
	;; [unrolled: 2-line block ×4, first 2 shown]
	s_and_b64 s[0:1], vcc, s[0:1]
	v_fmac_f64_e32 v[12:13], v[64:65], v[32:33]
	v_fmac_f64_e32 v[14:15], v[66:67], v[32:33]
	v_lshlrev_b32_e32 v16, 2, v68
	v_fmac_f64_e32 v[8:9], v[64:65], v[34:35]
	v_fmac_f64_e32 v[10:11], v[66:67], v[34:35]
	;; [unrolled: 1-line block ×6, first 2 shown]
	s_and_saveexec_b64 s[4:5], s[0:1]
	s_xor_b64 s[0:1], exec, s[4:5]
	s_cbranch_execz .LBB16_42
; %bb.41:
	v_ashrrev_i32_e32 v17, 31, v16
	v_lshlrev_b64 v[16:17], 4, v[16:17]
	s_waitcnt lgkmcnt(0)
	v_mov_b32_e32 v18, s3
	v_add_co_u32_e32 v16, vcc, s2, v16
	v_addc_co_u32_e32 v17, vcc, v18, v17, vcc
	global_store_dwordx4 v[16:17], v[12:15], off
	global_store_dwordx4 v[16:17], v[8:11], off offset:16
	global_store_dwordx4 v[16:17], v[4:7], off offset:32
	;; [unrolled: 1-line block ×3, first 2 shown]
                                        ; implicit-def: $vgpr60_vgpr61
                                        ; implicit-def: $vgpr62_vgpr63
                                        ; implicit-def: $vgpr12_vgpr13
                                        ; implicit-def: $vgpr16
                                        ; implicit-def: $vgpr8_vgpr9
                                        ; implicit-def: $vgpr4_vgpr5
                                        ; implicit-def: $vgpr0_vgpr1
.LBB16_42:
	s_andn2_saveexec_b64 s[0:1], s[0:1]
	s_cbranch_execz .LBB16_12
; %bb.43:
	v_ashrrev_i32_e32 v17, 31, v16
	v_lshlrev_b64 v[16:17], 4, v[16:17]
	s_waitcnt lgkmcnt(0)
	v_mov_b32_e32 v18, s3
	v_add_co_u32_e32 v32, vcc, s2, v16
	v_addc_co_u32_e32 v33, vcc, v18, v17, vcc
	global_load_dwordx4 v[16:19], v[32:33], off
	global_load_dwordx4 v[20:23], v[32:33], off offset:16
	global_load_dwordx4 v[24:27], v[32:33], off offset:32
	;; [unrolled: 1-line block ×3, first 2 shown]
	s_waitcnt vmcnt(3)
	v_fmac_f64_e32 v[12:13], v[60:61], v[16:17]
	v_fmac_f64_e32 v[14:15], v[62:63], v[16:17]
	s_waitcnt vmcnt(2)
	v_fmac_f64_e32 v[8:9], v[60:61], v[20:21]
	v_fmac_f64_e32 v[10:11], v[62:63], v[20:21]
	;; [unrolled: 3-line block ×4, first 2 shown]
	v_fma_f64 v[12:13], -v[62:63], v[18:19], v[12:13]
	v_fmac_f64_e32 v[14:15], v[60:61], v[18:19]
	v_fma_f64 v[8:9], -v[62:63], v[22:23], v[8:9]
	v_fmac_f64_e32 v[10:11], v[60:61], v[22:23]
	;; [unrolled: 2-line block ×4, first 2 shown]
	global_store_dwordx4 v[32:33], v[12:15], off
	global_store_dwordx4 v[32:33], v[8:11], off offset:16
	global_store_dwordx4 v[32:33], v[4:7], off offset:32
	;; [unrolled: 1-line block ×3, first 2 shown]
	s_endpgm
	.section	.rodata,"a",@progbits
	.p2align	6, 0x0
	.amdhsa_kernel _ZN9rocsparseL18bsrxmvn_4x4_kernelILj128ELj8E21rocsparse_complex_numIdEiiS2_S2_S2_EEvT3_20rocsparse_direction_NS_24const_host_device_scalarIT1_EES3_PKS3_PKT2_SC_S9_PKT4_PKT5_S7_PT6_21rocsparse_index_base_b
		.amdhsa_group_segment_fixed_size 2048
		.amdhsa_private_segment_fixed_size 0
		.amdhsa_kernarg_size 112
		.amdhsa_user_sgpr_count 8
		.amdhsa_user_sgpr_private_segment_buffer 1
		.amdhsa_user_sgpr_dispatch_ptr 1
		.amdhsa_user_sgpr_queue_ptr 0
		.amdhsa_user_sgpr_kernarg_segment_ptr 1
		.amdhsa_user_sgpr_dispatch_id 0
		.amdhsa_user_sgpr_flat_scratch_init 0
		.amdhsa_user_sgpr_kernarg_preload_length 0
		.amdhsa_user_sgpr_kernarg_preload_offset 0
		.amdhsa_user_sgpr_private_segment_size 0
		.amdhsa_uses_dynamic_stack 0
		.amdhsa_system_sgpr_private_segment_wavefront_offset 0
		.amdhsa_system_sgpr_workgroup_id_x 1
		.amdhsa_system_sgpr_workgroup_id_y 0
		.amdhsa_system_sgpr_workgroup_id_z 0
		.amdhsa_system_sgpr_workgroup_info 0
		.amdhsa_system_vgpr_workitem_id 2
		.amdhsa_next_free_vgpr 118
		.amdhsa_next_free_sgpr 22
		.amdhsa_accum_offset 120
		.amdhsa_reserve_vcc 1
		.amdhsa_reserve_flat_scratch 0
		.amdhsa_float_round_mode_32 0
		.amdhsa_float_round_mode_16_64 0
		.amdhsa_float_denorm_mode_32 3
		.amdhsa_float_denorm_mode_16_64 3
		.amdhsa_dx10_clamp 1
		.amdhsa_ieee_mode 1
		.amdhsa_fp16_overflow 0
		.amdhsa_tg_split 0
		.amdhsa_exception_fp_ieee_invalid_op 0
		.amdhsa_exception_fp_denorm_src 0
		.amdhsa_exception_fp_ieee_div_zero 0
		.amdhsa_exception_fp_ieee_overflow 0
		.amdhsa_exception_fp_ieee_underflow 0
		.amdhsa_exception_fp_ieee_inexact 0
		.amdhsa_exception_int_div_zero 0
	.end_amdhsa_kernel
	.section	.text._ZN9rocsparseL18bsrxmvn_4x4_kernelILj128ELj8E21rocsparse_complex_numIdEiiS2_S2_S2_EEvT3_20rocsparse_direction_NS_24const_host_device_scalarIT1_EES3_PKS3_PKT2_SC_S9_PKT4_PKT5_S7_PT6_21rocsparse_index_base_b,"axG",@progbits,_ZN9rocsparseL18bsrxmvn_4x4_kernelILj128ELj8E21rocsparse_complex_numIdEiiS2_S2_S2_EEvT3_20rocsparse_direction_NS_24const_host_device_scalarIT1_EES3_PKS3_PKT2_SC_S9_PKT4_PKT5_S7_PT6_21rocsparse_index_base_b,comdat
.Lfunc_end16:
	.size	_ZN9rocsparseL18bsrxmvn_4x4_kernelILj128ELj8E21rocsparse_complex_numIdEiiS2_S2_S2_EEvT3_20rocsparse_direction_NS_24const_host_device_scalarIT1_EES3_PKS3_PKT2_SC_S9_PKT4_PKT5_S7_PT6_21rocsparse_index_base_b, .Lfunc_end16-_ZN9rocsparseL18bsrxmvn_4x4_kernelILj128ELj8E21rocsparse_complex_numIdEiiS2_S2_S2_EEvT3_20rocsparse_direction_NS_24const_host_device_scalarIT1_EES3_PKS3_PKT2_SC_S9_PKT4_PKT5_S7_PT6_21rocsparse_index_base_b
                                        ; -- End function
	.section	.AMDGPU.csdata,"",@progbits
; Kernel info:
; codeLenInByte = 7916
; NumSgprs: 26
; NumVgprs: 118
; NumAgprs: 0
; TotalNumVgprs: 118
; ScratchSize: 0
; MemoryBound: 1
; FloatMode: 240
; IeeeMode: 1
; LDSByteSize: 2048 bytes/workgroup (compile time only)
; SGPRBlocks: 3
; VGPRBlocks: 14
; NumSGPRsForWavesPerEU: 26
; NumVGPRsForWavesPerEU: 118
; AccumOffset: 120
; Occupancy: 4
; WaveLimiterHint : 1
; COMPUTE_PGM_RSRC2:SCRATCH_EN: 0
; COMPUTE_PGM_RSRC2:USER_SGPR: 8
; COMPUTE_PGM_RSRC2:TRAP_HANDLER: 0
; COMPUTE_PGM_RSRC2:TGID_X_EN: 1
; COMPUTE_PGM_RSRC2:TGID_Y_EN: 0
; COMPUTE_PGM_RSRC2:TGID_Z_EN: 0
; COMPUTE_PGM_RSRC2:TIDIG_COMP_CNT: 2
; COMPUTE_PGM_RSRC3_GFX90A:ACCUM_OFFSET: 29
; COMPUTE_PGM_RSRC3_GFX90A:TG_SPLIT: 0
	.section	.text._ZN9rocsparseL18bsrxmvn_4x4_kernelILj128ELj16E21rocsparse_complex_numIdEiiS2_S2_S2_EEvT3_20rocsparse_direction_NS_24const_host_device_scalarIT1_EES3_PKS3_PKT2_SC_S9_PKT4_PKT5_S7_PT6_21rocsparse_index_base_b,"axG",@progbits,_ZN9rocsparseL18bsrxmvn_4x4_kernelILj128ELj16E21rocsparse_complex_numIdEiiS2_S2_S2_EEvT3_20rocsparse_direction_NS_24const_host_device_scalarIT1_EES3_PKS3_PKT2_SC_S9_PKT4_PKT5_S7_PT6_21rocsparse_index_base_b,comdat
	.globl	_ZN9rocsparseL18bsrxmvn_4x4_kernelILj128ELj16E21rocsparse_complex_numIdEiiS2_S2_S2_EEvT3_20rocsparse_direction_NS_24const_host_device_scalarIT1_EES3_PKS3_PKT2_SC_S9_PKT4_PKT5_S7_PT6_21rocsparse_index_base_b ; -- Begin function _ZN9rocsparseL18bsrxmvn_4x4_kernelILj128ELj16E21rocsparse_complex_numIdEiiS2_S2_S2_EEvT3_20rocsparse_direction_NS_24const_host_device_scalarIT1_EES3_PKS3_PKT2_SC_S9_PKT4_PKT5_S7_PT6_21rocsparse_index_base_b
	.p2align	8
	.type	_ZN9rocsparseL18bsrxmvn_4x4_kernelILj128ELj16E21rocsparse_complex_numIdEiiS2_S2_S2_EEvT3_20rocsparse_direction_NS_24const_host_device_scalarIT1_EES3_PKS3_PKT2_SC_S9_PKT4_PKT5_S7_PT6_21rocsparse_index_base_b,@function
_ZN9rocsparseL18bsrxmvn_4x4_kernelILj128ELj16E21rocsparse_complex_numIdEiiS2_S2_S2_EEvT3_20rocsparse_direction_NS_24const_host_device_scalarIT1_EES3_PKS3_PKT2_SC_S9_PKT4_PKT5_S7_PT6_21rocsparse_index_base_b: ; @_ZN9rocsparseL18bsrxmvn_4x4_kernelILj128ELj16E21rocsparse_complex_numIdEiiS2_S2_S2_EEvT3_20rocsparse_direction_NS_24const_host_device_scalarIT1_EES3_PKS3_PKT2_SC_S9_PKT4_PKT5_S7_PT6_21rocsparse_index_base_b
; %bb.0:
	s_load_dwordx2 s[20:21], s[6:7], 0x68
	s_load_dwordx4 s[12:15], s[6:7], 0x8
	s_load_dwordx2 s[10:11], s[4:5], 0x4
	s_load_dwordx4 s[16:19], s[6:7], 0x50
	s_mov_b64 s[2:3], src_shared_base
	v_bfe_u32 v2, v0, 10, 10
	s_waitcnt lgkmcnt(0)
	s_bitcmp1_b32 s21, 0
	s_cselect_b64 s[0:1], -1, 0
	s_and_b64 vcc, s[0:1], exec
	s_cselect_b32 s2, s3, s13
	s_lshr_b32 s4, s10, 16
	v_and_b32_e32 v1, 0x3ff, v0
	s_mul_i32 s4, s4, s11
	v_mul_u32_u24_e32 v2, s11, v2
	v_mad_u32_u24 v2, s4, v1, v2
	v_bfe_u32 v0, v0, 20, 10
	v_add_lshl_u32 v0, v2, v0, 3
	v_mov_b32_e32 v6, s12
	v_add_u32_e32 v7, 0x400, v0
	v_pk_mov_b32 v[2:3], s[12:13], s[12:13] op_sel:[0,1]
	v_pk_mov_b32 v[4:5], s[16:17], s[16:17] op_sel:[0,1]
	ds_write2st64_b64 v0, v[4:5], v[2:3] offset1:2
	v_cndmask_b32_e64 v2, v6, v7, s[0:1]
	v_mov_b32_e32 v3, s2
	flat_load_dwordx2 v[60:61], v[2:3]
	s_xor_b64 s[4:5], s[0:1], -1
	v_pk_mov_b32 v[62:63], s[14:15], s[14:15] op_sel:[0,1]
	s_cbranch_vccnz .LBB17_2
; %bb.1:
	v_pk_mov_b32 v[2:3], s[12:13], s[12:13] op_sel:[0,1]
	flat_load_dwordx2 v[62:63], v[2:3] offset:8
.LBB17_2:
	s_and_b64 s[10:11], s[0:1], exec
	s_cselect_b32 s2, s3, s17
	v_mov_b32_e32 v2, s16
	v_cndmask_b32_e64 v2, v2, v0, s[0:1]
	v_mov_b32_e32 v3, s2
	flat_load_dwordx2 v[56:57], v[2:3]
	s_andn2_b64 vcc, exec, s[4:5]
	v_pk_mov_b32 v[58:59], s[18:19], s[18:19] op_sel:[0,1]
	s_cbranch_vccnz .LBB17_4
; %bb.3:
	v_pk_mov_b32 v[2:3], s[16:17], s[16:17] op_sel:[0,1]
	flat_load_dwordx2 v[58:59], v[2:3] offset:8
.LBB17_4:
	s_waitcnt vmcnt(0) lgkmcnt(0)
	v_cmp_eq_f64_e32 vcc, 0, v[60:61]
	v_cmp_eq_f64_e64 s[0:1], 0, v[62:63]
	s_and_b64 s[4:5], vcc, s[0:1]
	s_mov_b64 s[0:1], -1
	s_and_saveexec_b64 s[2:3], s[4:5]
; %bb.5:
	v_cmp_neq_f64_e32 vcc, 1.0, v[56:57]
	v_cmp_neq_f64_e64 s[0:1], 0, v[58:59]
	s_or_b64 s[0:1], vcc, s[0:1]
	s_orn2_b64 s[0:1], s[0:1], exec
; %bb.6:
	s_or_b64 exec, exec, s[2:3]
	s_and_saveexec_b64 s[2:3], s[0:1]
	s_cbranch_execz .LBB17_12
; %bb.7:
	s_load_dwordx2 s[4:5], s[6:7], 0x20
	s_load_dwordx2 s[0:1], s[6:7], 0x0
	v_lshrrev_b32_e32 v0, 4, v1
	v_lshl_or_b32 v64, s8, 3, v0
	s_mov_b64 s[2:3], 0
	s_waitcnt lgkmcnt(0)
	s_cmp_lg_u64 s[4:5], 0
	s_cbranch_scc0 .LBB17_13
; %bb.8:
	s_load_dword s8, s[6:7], 0x18
                                        ; implicit-def: $vgpr0
	s_waitcnt lgkmcnt(0)
	v_cmp_gt_i32_e32 vcc, s8, v64
	s_and_saveexec_b64 s[8:9], vcc
	s_xor_b64 s[8:9], exec, s[8:9]
	s_cbranch_execz .LBB17_10
; %bb.9:
	v_ashrrev_i32_e32 v65, 31, v64
	v_lshlrev_b64 v[2:3], 2, v[64:65]
	v_mov_b32_e32 v0, s5
	v_add_co_u32_e32 v2, vcc, s4, v2
	v_addc_co_u32_e32 v3, vcc, v0, v3, vcc
	global_load_dword v0, v[2:3], off
	s_mov_b64 s[2:3], exec
	s_waitcnt vmcnt(0)
	v_subrev_u32_e32 v0, s20, v0
.LBB17_10:
	s_or_b64 exec, exec, s[8:9]
	s_branch .LBB17_14
.LBB17_11:
	v_cmp_gt_i32_e32 vcc, s0, v64
	s_andn2_b64 s[2:3], s[2:3], exec
	s_and_b64 s[4:5], vcc, exec
	s_or_b64 s[2:3], s[2:3], s[4:5]
	s_and_b64 exec, exec, s[2:3]
	s_cbranch_execnz .LBB17_15
.LBB17_12:
	s_endpgm
.LBB17_13:
                                        ; implicit-def: $vgpr0
	s_cbranch_execnz .LBB17_11
.LBB17_14:
	v_mov_b32_e32 v64, v0
	s_and_b64 exec, exec, s[2:3]
	s_cbranch_execz .LBB17_12
.LBB17_15:
	s_load_dwordx8 s[8:15], s[6:7], 0x28
	v_ashrrev_i32_e32 v65, 31, v64
	v_lshlrev_b64 v[2:3], 2, v[64:65]
	v_and_b32_e32 v65, 15, v1
	s_load_dwordx2 s[4:5], s[6:7], 0x48
	s_waitcnt lgkmcnt(0)
	v_mov_b32_e32 v0, s9
	v_add_co_u32_e32 v4, vcc, s8, v2
	v_addc_co_u32_e32 v5, vcc, v0, v3, vcc
	v_add_co_u32_e32 v0, vcc, 4, v4
	global_load_dword v34, v[4:5], off
	v_addc_co_u32_e32 v4, vcc, 0, v5, vcc
	v_mov_b32_e32 v5, s11
	v_add_co_u32_e32 v2, vcc, s10, v2
	s_cmp_eq_u64 s[10:11], 0
	v_addc_co_u32_e32 v3, vcc, v5, v3, vcc
	s_cselect_b64 vcc, -1, 0
	v_cndmask_b32_e32 v3, v3, v4, vcc
	v_cndmask_b32_e32 v2, v2, v0, vcc
	global_load_dword v0, v[2:3], off
	v_mov_b32_e32 v2, s15
	s_cmp_eq_u32 s1, 1
	s_waitcnt vmcnt(1)
	v_subrev_u32_e32 v1, s20, v34
	v_add_u32_e32 v74, v1, v65
	v_ashrrev_i32_e32 v75, 31, v74
	s_waitcnt vmcnt(0)
	v_subrev_u32_e32 v90, s20, v0
	v_lshlrev_b64 v[0:1], 8, v[74:75]
	v_add_co_u32_e32 v76, vcc, s14, v0
	v_addc_co_u32_e32 v77, vcc, v2, v1, vcc
	v_cmp_lt_i32_e64 s[0:1], v74, v90
	s_cbranch_scc1 .LBB17_27
; %bb.16:
	v_pk_mov_b32 v[72:73], 0, 0
	s_mov_b64 s[8:9], 0
	v_pk_mov_b32 v[80:81], v[72:73], v[72:73] op_sel:[0,1]
	v_pk_mov_b32 v[52:53], v[72:73], v[72:73] op_sel:[0,1]
	;; [unrolled: 1-line block ×7, first 2 shown]
	s_and_saveexec_b64 s[10:11], s[0:1]
	s_cbranch_execz .LBB17_26
; %bb.17:
	v_add_u32_e32 v0, v34, v65
	v_subrev_u32_e32 v0, s20, v0
	v_add_u32_e32 v0, 16, v0
	v_max_i32_e32 v0, v0, v90
	v_not_b32_e32 v1, v34
	v_add3_u32 v0, v0, s20, v1
	v_sub_u32_e32 v12, v0, v65
	v_lshrrev_b32_e32 v0, 4, v12
	v_add_u32_e32 v0, 1, v0
	v_and_b32_e32 v0, 3, v0
	v_pk_mov_b32 v[70:71], 0, 0
	v_cmp_ne_u32_e32 vcc, 0, v0
	v_pk_mov_b32 v[78:79], v[70:71], v[70:71] op_sel:[0,1]
	v_pk_mov_b32 v[68:69], v[70:71], v[70:71] op_sel:[0,1]
	;; [unrolled: 1-line block ×8, first 2 shown]
	v_mov_b32_e32 v20, v74
	s_and_saveexec_b64 s[2:3], vcc
	s_cbranch_execz .LBB17_21
; %bb.18:
	v_pk_mov_b32 v[72:73], 0, 0
	v_lshlrev_b32_e32 v13, 8, v0
	s_mov_b64 s[14:15], 0
	v_mov_b32_e32 v14, s13
	v_mov_b32_e32 v15, s5
	;; [unrolled: 1-line block ×3, first 2 shown]
	v_pk_mov_b32 v[22:23], v[76:77], v[76:77] op_sel:[0,1]
	v_pk_mov_b32 v[80:81], v[72:73], v[72:73] op_sel:[0,1]
	;; [unrolled: 1-line block ×8, first 2 shown]
.LBB17_19:                              ; =>This Inner Loop Header: Depth=1
	v_ashrrev_i32_e32 v21, 31, v20
	v_lshlrev_b64 v[32:33], 2, v[20:21]
	v_add_co_u32_e32 v32, vcc, s12, v32
	v_addc_co_u32_e32 v33, vcc, v14, v33, vcc
	global_load_dwordx4 v[0:3], v[22:23], off offset:16
	global_load_dwordx4 v[4:7], v[22:23], off
	global_load_dwordx4 v[8:11], v[22:23], off offset:80
	global_load_dwordx4 v[16:19], v[22:23], off offset:64
	;; [unrolled: 1-line block ×12, first 2 shown]
	global_load_dword v21, v[32:33], off
	v_add_u32_e32 v13, 0xffffff00, v13
	v_add_u32_e32 v20, 16, v20
	s_waitcnt vmcnt(0)
	v_subrev_u32_e32 v21, s20, v21
	v_lshlrev_b32_e32 v32, 2, v21
	v_ashrrev_i32_e32 v33, 31, v32
	v_lshlrev_b64 v[32:33], 4, v[32:33]
	v_add_co_u32_e32 v32, vcc, s4, v32
	v_addc_co_u32_e32 v33, vcc, v15, v33, vcc
	global_load_dwordx4 v[100:103], v[32:33], off
	global_load_dwordx4 v[104:107], v[32:33], off offset:16
	s_waitcnt vmcnt(1)
	v_fmac_f64_e32 v[80:81], v[4:5], v[100:101]
	v_fmac_f64_e32 v[72:73], v[6:7], v[100:101]
	v_fma_f64 v[80:81], -v[6:7], v[102:103], v[80:81]
	v_fmac_f64_e32 v[72:73], v[4:5], v[102:103]
	global_load_dwordx4 v[4:7], v[22:23], off offset:224
	v_fmac_f64_e32 v[78:79], v[16:17], v[100:101]
	v_fmac_f64_e32 v[70:71], v[18:19], v[100:101]
	;; [unrolled: 1-line block ×4, first 2 shown]
	v_fma_f64 v[78:79], -v[18:19], v[102:103], v[78:79]
	v_fmac_f64_e32 v[70:71], v[16:17], v[102:103]
	global_load_dwordx4 v[16:19], v[22:23], off offset:240
	v_fma_f64 v[54:55], -v[30:31], v[102:103], v[54:55]
	v_fmac_f64_e32 v[68:69], v[28:29], v[102:103]
	global_load_dwordx4 v[28:31], v[32:33], off offset:32
	global_load_dwordx4 v[108:111], v[32:33], off offset:48
	v_fmac_f64_e32 v[52:53], v[36:37], v[100:101]
	v_fmac_f64_e32 v[66:67], v[38:39], v[100:101]
	v_fma_f64 v[32:33], -v[38:39], v[102:103], v[52:53]
	v_fmac_f64_e32 v[66:67], v[36:37], v[102:103]
	s_waitcnt vmcnt(4)
	v_fmac_f64_e32 v[80:81], v[0:1], v[104:105]
	v_fmac_f64_e32 v[72:73], v[2:3], v[104:105]
	;; [unrolled: 1-line block ×8, first 2 shown]
	v_fma_f64 v[2:3], -v[2:3], v[106:107], v[80:81]
	v_fmac_f64_e32 v[72:73], v[0:1], v[106:107]
	v_fma_f64 v[0:1], -v[10:11], v[106:107], v[78:79]
	v_fmac_f64_e32 v[70:71], v[8:9], v[106:107]
	;; [unrolled: 2-line block ×4, first 2 shown]
	v_add_co_u32_e32 v22, vcc, 0x1000, v22
	v_addc_co_u32_e32 v23, vcc, 0, v23, vcc
	v_cmp_eq_u32_e32 vcc, 0, v13
	s_or_b64 s[14:15], vcc, s[14:15]
	s_waitcnt vmcnt(1)
	v_fmac_f64_e32 v[2:3], v[48:49], v[28:29]
	v_fmac_f64_e32 v[72:73], v[50:51], v[28:29]
	;; [unrolled: 1-line block ×8, first 2 shown]
	v_fma_f64 v[2:3], -v[50:51], v[30:31], v[2:3]
	v_fmac_f64_e32 v[72:73], v[48:49], v[30:31]
	v_fma_f64 v[0:1], -v[88:89], v[30:31], v[0:1]
	v_fmac_f64_e32 v[70:71], v[86:87], v[30:31]
	;; [unrolled: 2-line block ×4, first 2 shown]
	s_waitcnt vmcnt(0)
	v_fmac_f64_e32 v[2:3], v[44:45], v[108:109]
	v_fmac_f64_e32 v[72:73], v[46:47], v[108:109]
	v_fmac_f64_e32 v[0:1], v[82:83], v[108:109]
	v_fmac_f64_e32 v[70:71], v[84:85], v[108:109]
	v_fmac_f64_e32 v[8:9], v[92:93], v[108:109]
	v_fmac_f64_e32 v[68:69], v[94:95], v[108:109]
	v_fmac_f64_e32 v[6:7], v[16:17], v[108:109]
	v_fmac_f64_e32 v[66:67], v[18:19], v[108:109]
	v_fma_f64 v[80:81], -v[46:47], v[110:111], v[2:3]
	v_fmac_f64_e32 v[72:73], v[44:45], v[110:111]
	v_fma_f64 v[78:79], -v[84:85], v[110:111], v[0:1]
	v_fmac_f64_e32 v[70:71], v[82:83], v[110:111]
	;; [unrolled: 2-line block ×4, first 2 shown]
	s_andn2_b64 exec, exec, s[14:15]
	s_cbranch_execnz .LBB17_19
; %bb.20:
	s_or_b64 exec, exec, s[14:15]
.LBB17_21:
	s_or_b64 exec, exec, s[2:3]
	v_cmp_lt_u32_e32 vcc, 47, v12
	s_and_saveexec_b64 s[14:15], vcc
	s_cbranch_execz .LBB17_25
; %bb.22:
	s_mov_b64 s[16:17], 0
	v_mov_b32_e32 v35, s13
	v_mov_b32_e32 v36, s5
	s_movk_i32 s18, 0x1000
	s_movk_i32 s19, 0x2000
	;; [unrolled: 1-line block ×3, first 2 shown]
.LBB17_23:                              ; =>This Inner Loop Header: Depth=1
	v_ashrrev_i32_e32 v21, 31, v20
	v_lshlrev_b64 v[0:1], 2, v[20:21]
	v_add_co_u32_e32 v16, vcc, s12, v0
	v_addc_co_u32_e32 v17, vcc, v35, v1, vcc
	global_load_dword v0, v[16:17], off
	global_load_dwordx4 v[24:27], v[22:23], off offset:48
	global_load_dwordx4 v[28:31], v[22:23], off offset:32
	;; [unrolled: 1-line block ×3, first 2 shown]
	global_load_dwordx4 v[42:45], v[22:23], off
	v_add_u32_e32 v20, 64, v20
	v_cmp_ge_i32_e64 s[2:3], v20, v90
	s_or_b64 s[16:17], s[2:3], s[16:17]
	s_waitcnt vmcnt(4)
	v_subrev_u32_e32 v0, s20, v0
	v_lshlrev_b32_e32 v0, 2, v0
	v_ashrrev_i32_e32 v1, 31, v0
	v_lshlrev_b64 v[0:1], 4, v[0:1]
	v_add_co_u32_e32 v18, vcc, s4, v0
	v_addc_co_u32_e32 v19, vcc, v36, v1, vcc
	global_load_dwordx4 v[0:3], v[18:19], off offset:48
	global_load_dwordx4 v[4:7], v[18:19], off offset:32
	;; [unrolled: 1-line block ×3, first 2 shown]
	global_load_dwordx4 v[12:15], v[18:19], off
	v_add_co_u32_e32 v50, vcc, s18, v22
	v_addc_co_u32_e32 v51, vcc, 0, v23, vcc
	s_waitcnt vmcnt(0)
	v_fmac_f64_e32 v[80:81], v[42:43], v[12:13]
	v_fma_f64 v[18:19], -v[44:45], v[14:15], v[80:81]
	v_fmac_f64_e32 v[72:73], v[44:45], v[12:13]
	v_fmac_f64_e32 v[72:73], v[42:43], v[14:15]
	v_fmac_f64_e32 v[18:19], v[38:39], v[8:9]
	v_fma_f64 v[18:19], -v[40:41], v[10:11], v[18:19]
	v_fmac_f64_e32 v[72:73], v[40:41], v[8:9]
	v_fmac_f64_e32 v[72:73], v[38:39], v[10:11]
	;; [unrolled: 4-line block ×3, first 2 shown]
	v_fmac_f64_e32 v[18:19], v[24:25], v[0:1]
	v_fma_f64 v[18:19], -v[26:27], v[2:3], v[18:19]
	v_fmac_f64_e32 v[72:73], v[26:27], v[0:1]
	global_load_dwordx4 v[26:29], v[22:23], off offset:112
	global_load_dwordx4 v[30:33], v[22:23], off offset:96
	;; [unrolled: 1-line block ×4, first 2 shown]
	v_fmac_f64_e32 v[72:73], v[24:25], v[2:3]
	s_waitcnt vmcnt(0)
	v_fmac_f64_e32 v[78:79], v[42:43], v[12:13]
	v_fmac_f64_e32 v[70:71], v[44:45], v[12:13]
	v_fma_f64 v[24:25], -v[44:45], v[14:15], v[78:79]
	v_fmac_f64_e32 v[70:71], v[42:43], v[14:15]
	v_fmac_f64_e32 v[24:25], v[38:39], v[8:9]
	v_fmac_f64_e32 v[70:71], v[40:41], v[8:9]
	v_fma_f64 v[24:25], -v[40:41], v[10:11], v[24:25]
	v_fmac_f64_e32 v[70:71], v[38:39], v[10:11]
	;; [unrolled: 4-line block ×4, first 2 shown]
	global_load_dwordx4 v[26:29], v[22:23], off offset:176
	global_load_dwordx4 v[30:33], v[22:23], off offset:160
	;; [unrolled: 1-line block ×4, first 2 shown]
	s_waitcnt vmcnt(0)
	v_fmac_f64_e32 v[54:55], v[42:43], v[12:13]
	v_fmac_f64_e32 v[68:69], v[44:45], v[12:13]
	v_fma_f64 v[46:47], -v[44:45], v[14:15], v[54:55]
	v_fmac_f64_e32 v[68:69], v[42:43], v[14:15]
	v_fmac_f64_e32 v[46:47], v[38:39], v[8:9]
	v_fmac_f64_e32 v[68:69], v[40:41], v[8:9]
	v_fma_f64 v[42:43], -v[40:41], v[10:11], v[46:47]
	v_fmac_f64_e32 v[68:69], v[38:39], v[10:11]
	;; [unrolled: 4-line block ×4, first 2 shown]
	global_load_dwordx4 v[26:29], v[22:23], off offset:240
	global_load_dwordx4 v[30:33], v[22:23], off offset:224
	;; [unrolled: 1-line block ×4, first 2 shown]
	v_add_co_u32_e32 v54, vcc, s19, v22
	v_addc_co_u32_e32 v55, vcc, 0, v23, vcc
	s_waitcnt vmcnt(0)
	v_fmac_f64_e32 v[52:53], v[42:43], v[12:13]
	v_fmac_f64_e32 v[66:67], v[44:45], v[12:13]
	v_fma_f64 v[48:49], -v[44:45], v[14:15], v[52:53]
	v_fmac_f64_e32 v[66:67], v[42:43], v[14:15]
	v_fmac_f64_e32 v[48:49], v[38:39], v[8:9]
	v_fmac_f64_e32 v[66:67], v[40:41], v[8:9]
	v_fma_f64 v[12:13], -v[40:41], v[10:11], v[48:49]
	v_fmac_f64_e32 v[66:67], v[38:39], v[10:11]
	;; [unrolled: 4-line block ×3, first 2 shown]
	v_fmac_f64_e32 v[8:9], v[26:27], v[0:1]
	v_fmac_f64_e32 v[66:67], v[28:29], v[0:1]
	global_load_dword v0, v[16:17], off offset:64
	v_fmac_f64_e32 v[66:67], v[26:27], v[2:3]
	v_fma_f64 v[48:49], -v[28:29], v[2:3], v[8:9]
	s_waitcnt vmcnt(0)
	v_subrev_u32_e32 v0, s20, v0
	v_lshlrev_b32_e32 v26, 2, v0
	v_ashrrev_i32_e32 v27, 31, v26
	v_lshlrev_b64 v[26:27], 4, v[26:27]
	v_add_co_u32_e32 v52, vcc, s4, v26
	v_addc_co_u32_e32 v53, vcc, v36, v27, vcc
	global_load_dwordx4 v[0:3], v[54:55], off offset:-4096
	global_load_dwordx4 v[4:7], v[50:51], off offset:48
	global_load_dwordx4 v[8:11], v[50:51], off offset:32
	global_load_dwordx4 v[12:15], v[50:51], off offset:16
	global_load_dwordx4 v[26:29], v[52:53], off offset:48
	global_load_dwordx4 v[30:33], v[52:53], off offset:32
	global_load_dwordx4 v[38:41], v[52:53], off offset:16
	global_load_dwordx4 v[42:45], v[52:53], off
	s_waitcnt vmcnt(0)
	v_fmac_f64_e32 v[18:19], v[0:1], v[42:43]
	v_fmac_f64_e32 v[72:73], v[2:3], v[42:43]
	v_fma_f64 v[18:19], -v[2:3], v[44:45], v[18:19]
	v_fmac_f64_e32 v[72:73], v[0:1], v[44:45]
	v_fmac_f64_e32 v[18:19], v[12:13], v[38:39]
	v_fmac_f64_e32 v[72:73], v[14:15], v[38:39]
	v_fma_f64 v[0:1], -v[14:15], v[40:41], v[18:19]
	v_fmac_f64_e32 v[72:73], v[12:13], v[40:41]
	v_fmac_f64_e32 v[0:1], v[8:9], v[30:31]
	v_fmac_f64_e32 v[72:73], v[10:11], v[30:31]
	v_fma_f64 v[0:1], -v[10:11], v[32:33], v[0:1]
	v_fmac_f64_e32 v[72:73], v[8:9], v[32:33]
	v_fmac_f64_e32 v[0:1], v[4:5], v[26:27]
	v_fmac_f64_e32 v[72:73], v[6:7], v[26:27]
	v_fma_f64 v[18:19], -v[6:7], v[28:29], v[0:1]
	v_fmac_f64_e32 v[72:73], v[4:5], v[28:29]
	global_load_dwordx4 v[0:3], v[50:51], off offset:112
	global_load_dwordx4 v[4:7], v[50:51], off offset:96
	global_load_dwordx4 v[8:11], v[50:51], off offset:80
	global_load_dwordx4 v[12:15], v[50:51], off offset:64
	s_waitcnt vmcnt(0)
	v_fmac_f64_e32 v[24:25], v[12:13], v[42:43]
	v_fmac_f64_e32 v[70:71], v[14:15], v[42:43]
	v_fma_f64 v[24:25], -v[14:15], v[44:45], v[24:25]
	v_fmac_f64_e32 v[70:71], v[12:13], v[44:45]
	v_fmac_f64_e32 v[24:25], v[8:9], v[38:39]
	v_fmac_f64_e32 v[70:71], v[10:11], v[38:39]
	v_fma_f64 v[12:13], -v[10:11], v[40:41], v[24:25]
	v_fmac_f64_e32 v[70:71], v[8:9], v[40:41]
	v_fmac_f64_e32 v[12:13], v[4:5], v[30:31]
	v_fmac_f64_e32 v[70:71], v[6:7], v[30:31]
	v_fma_f64 v[8:9], -v[6:7], v[32:33], v[12:13]
	v_fmac_f64_e32 v[70:71], v[4:5], v[32:33]
	v_fmac_f64_e32 v[8:9], v[0:1], v[26:27]
	v_fmac_f64_e32 v[70:71], v[2:3], v[26:27]
	v_fma_f64 v[24:25], -v[2:3], v[28:29], v[8:9]
	v_fmac_f64_e32 v[70:71], v[0:1], v[28:29]
	global_load_dwordx4 v[0:3], v[50:51], off offset:176
	global_load_dwordx4 v[4:7], v[50:51], off offset:160
	global_load_dwordx4 v[8:11], v[50:51], off offset:144
	global_load_dwordx4 v[12:15], v[50:51], off offset:128
	;; [unrolled: 21-line block ×3, first 2 shown]
	s_waitcnt vmcnt(0)
	v_fmac_f64_e32 v[66:67], v[14:15], v[42:43]
	v_fmac_f64_e32 v[48:49], v[12:13], v[42:43]
	v_fmac_f64_e32 v[66:67], v[12:13], v[44:45]
	v_fma_f64 v[46:47], -v[14:15], v[44:45], v[48:49]
	v_fmac_f64_e32 v[66:67], v[10:11], v[38:39]
	v_fmac_f64_e32 v[46:47], v[8:9], v[38:39]
	v_fmac_f64_e32 v[66:67], v[8:9], v[40:41]
	v_fma_f64 v[12:13], -v[10:11], v[40:41], v[46:47]
	;; [unrolled: 4-line block ×3, first 2 shown]
	v_fmac_f64_e32 v[66:67], v[2:3], v[26:27]
	v_fmac_f64_e32 v[8:9], v[0:1], v[26:27]
	;; [unrolled: 1-line block ×3, first 2 shown]
	global_load_dword v0, v[16:17], off offset:128
	v_fma_f64 v[32:33], -v[2:3], v[28:29], v[8:9]
	s_waitcnt vmcnt(0)
	v_subrev_u32_e32 v0, s20, v0
	v_lshlrev_b32_e32 v26, 2, v0
	v_ashrrev_i32_e32 v27, 31, v26
	v_lshlrev_b64 v[26:27], 4, v[26:27]
	v_add_co_u32_e32 v26, vcc, s4, v26
	v_addc_co_u32_e32 v27, vcc, v36, v27, vcc
	global_load_dwordx4 v[0:3], v[54:55], off
	global_load_dwordx4 v[4:7], v[54:55], off offset:48
	global_load_dwordx4 v[8:11], v[54:55], off offset:32
	;; [unrolled: 1-line block ×6, first 2 shown]
	global_load_dwordx4 v[50:53], v[26:27], off
	s_waitcnt vmcnt(0)
	v_fmac_f64_e32 v[18:19], v[0:1], v[50:51]
	v_fmac_f64_e32 v[72:73], v[2:3], v[50:51]
	v_fma_f64 v[18:19], -v[2:3], v[52:53], v[18:19]
	v_fmac_f64_e32 v[72:73], v[0:1], v[52:53]
	v_fmac_f64_e32 v[18:19], v[12:13], v[46:47]
	v_fmac_f64_e32 v[72:73], v[14:15], v[46:47]
	v_fma_f64 v[0:1], -v[14:15], v[48:49], v[18:19]
	v_fmac_f64_e32 v[72:73], v[12:13], v[48:49]
	v_fmac_f64_e32 v[0:1], v[8:9], v[42:43]
	v_fmac_f64_e32 v[72:73], v[10:11], v[42:43]
	v_fma_f64 v[0:1], -v[10:11], v[44:45], v[0:1]
	v_fmac_f64_e32 v[72:73], v[8:9], v[44:45]
	v_fmac_f64_e32 v[0:1], v[4:5], v[38:39]
	v_fmac_f64_e32 v[72:73], v[6:7], v[38:39]
	v_fma_f64 v[30:31], -v[6:7], v[40:41], v[0:1]
	v_fmac_f64_e32 v[72:73], v[4:5], v[40:41]
	global_load_dwordx4 v[0:3], v[54:55], off offset:112
	global_load_dwordx4 v[4:7], v[54:55], off offset:96
	global_load_dwordx4 v[8:11], v[54:55], off offset:80
	global_load_dwordx4 v[12:15], v[54:55], off offset:64
	s_waitcnt vmcnt(0)
	v_fmac_f64_e32 v[24:25], v[12:13], v[50:51]
	v_fmac_f64_e32 v[70:71], v[14:15], v[50:51]
	v_fma_f64 v[18:19], -v[14:15], v[52:53], v[24:25]
	v_fmac_f64_e32 v[70:71], v[12:13], v[52:53]
	v_fmac_f64_e32 v[18:19], v[8:9], v[46:47]
	v_fmac_f64_e32 v[70:71], v[10:11], v[46:47]
	v_fma_f64 v[12:13], -v[10:11], v[48:49], v[18:19]
	v_fmac_f64_e32 v[70:71], v[8:9], v[48:49]
	v_fmac_f64_e32 v[12:13], v[4:5], v[42:43]
	v_fmac_f64_e32 v[70:71], v[6:7], v[42:43]
	v_fma_f64 v[8:9], -v[6:7], v[44:45], v[12:13]
	v_fmac_f64_e32 v[70:71], v[4:5], v[44:45]
	v_fmac_f64_e32 v[8:9], v[0:1], v[38:39]
	v_fmac_f64_e32 v[70:71], v[2:3], v[38:39]
	v_fma_f64 v[28:29], -v[2:3], v[40:41], v[8:9]
	v_fmac_f64_e32 v[70:71], v[0:1], v[40:41]
	global_load_dwordx4 v[0:3], v[54:55], off offset:176
	global_load_dwordx4 v[4:7], v[54:55], off offset:160
	global_load_dwordx4 v[8:11], v[54:55], off offset:144
	global_load_dwordx4 v[12:15], v[54:55], off offset:128
	s_waitcnt vmcnt(0)
	v_fmac_f64_e32 v[78:79], v[12:13], v[50:51]
	v_fmac_f64_e32 v[68:69], v[14:15], v[50:51]
	v_fma_f64 v[18:19], -v[14:15], v[52:53], v[78:79]
	v_fmac_f64_e32 v[68:69], v[12:13], v[52:53]
	v_fmac_f64_e32 v[18:19], v[8:9], v[46:47]
	v_fmac_f64_e32 v[68:69], v[10:11], v[46:47]
	v_fma_f64 v[12:13], -v[10:11], v[48:49], v[18:19]
	v_fmac_f64_e32 v[68:69], v[8:9], v[48:49]
	v_fmac_f64_e32 v[12:13], v[4:5], v[42:43]
	v_fmac_f64_e32 v[68:69], v[6:7], v[42:43]
	v_fma_f64 v[8:9], -v[6:7], v[44:45], v[12:13]
	v_fmac_f64_e32 v[68:69], v[4:5], v[44:45]
	v_fmac_f64_e32 v[8:9], v[0:1], v[38:39]
	v_fmac_f64_e32 v[68:69], v[2:3], v[38:39]
	v_fma_f64 v[26:27], -v[2:3], v[40:41], v[8:9]
	v_fmac_f64_e32 v[68:69], v[0:1], v[40:41]
	global_load_dwordx4 v[0:3], v[54:55], off offset:240
	global_load_dwordx4 v[4:7], v[54:55], off offset:224
	global_load_dwordx4 v[8:11], v[54:55], off offset:208
	global_load_dwordx4 v[12:15], v[54:55], off offset:192
	s_waitcnt vmcnt(0)
	v_fmac_f64_e32 v[66:67], v[14:15], v[50:51]
	v_fmac_f64_e32 v[32:33], v[12:13], v[50:51]
	v_fmac_f64_e32 v[66:67], v[12:13], v[52:53]
	v_fma_f64 v[18:19], -v[14:15], v[52:53], v[32:33]
	v_fmac_f64_e32 v[66:67], v[10:11], v[46:47]
	v_fmac_f64_e32 v[18:19], v[8:9], v[46:47]
	v_fmac_f64_e32 v[66:67], v[8:9], v[48:49]
	v_fma_f64 v[12:13], -v[10:11], v[48:49], v[18:19]
	;; [unrolled: 4-line block ×3, first 2 shown]
	v_fmac_f64_e32 v[66:67], v[2:3], v[38:39]
	v_fmac_f64_e32 v[8:9], v[0:1], v[38:39]
	v_fmac_f64_e32 v[66:67], v[0:1], v[40:41]
	global_load_dword v0, v[16:17], off offset:192
	v_add_co_u32_e32 v32, vcc, s21, v22
	v_addc_co_u32_e32 v33, vcc, 0, v23, vcc
	v_fma_f64 v[24:25], -v[2:3], v[40:41], v[8:9]
	global_load_dwordx4 v[16:19], v[32:33], off
	global_load_dwordx4 v[38:41], v[32:33], off offset:48
	global_load_dwordx4 v[42:45], v[32:33], off offset:32
	global_load_dwordx4 v[46:49], v[32:33], off offset:16
	s_waitcnt vmcnt(4)
	v_subrev_u32_e32 v0, s20, v0
	v_lshlrev_b32_e32 v0, 2, v0
	v_ashrrev_i32_e32 v1, 31, v0
	v_lshlrev_b64 v[0:1], 4, v[0:1]
	v_add_co_u32_e32 v50, vcc, s4, v0
	v_addc_co_u32_e32 v51, vcc, v36, v1, vcc
	global_load_dwordx4 v[0:3], v[50:51], off offset:48
	global_load_dwordx4 v[4:7], v[50:51], off offset:32
	;; [unrolled: 1-line block ×3, first 2 shown]
	global_load_dwordx4 v[12:15], v[50:51], off
	v_add_co_u32_e32 v22, vcc, 0x4000, v22
	v_addc_co_u32_e32 v23, vcc, 0, v23, vcc
	s_waitcnt vmcnt(0)
	v_fmac_f64_e32 v[30:31], v[16:17], v[12:13]
	v_fmac_f64_e32 v[72:73], v[18:19], v[12:13]
	v_fma_f64 v[30:31], -v[18:19], v[14:15], v[30:31]
	v_fmac_f64_e32 v[72:73], v[16:17], v[14:15]
	v_fmac_f64_e32 v[30:31], v[46:47], v[8:9]
	v_fmac_f64_e32 v[72:73], v[48:49], v[8:9]
	v_fma_f64 v[16:17], -v[48:49], v[10:11], v[30:31]
	v_fmac_f64_e32 v[72:73], v[46:47], v[10:11]
	v_fmac_f64_e32 v[16:17], v[42:43], v[4:5]
	v_fmac_f64_e32 v[72:73], v[44:45], v[4:5]
	v_fma_f64 v[16:17], -v[44:45], v[6:7], v[16:17]
	v_fmac_f64_e32 v[72:73], v[42:43], v[6:7]
	v_fmac_f64_e32 v[16:17], v[38:39], v[0:1]
	v_fmac_f64_e32 v[72:73], v[40:41], v[0:1]
	v_fma_f64 v[80:81], -v[40:41], v[2:3], v[16:17]
	v_fmac_f64_e32 v[72:73], v[38:39], v[2:3]
	global_load_dwordx4 v[16:19], v[32:33], off offset:112
	global_load_dwordx4 v[38:41], v[32:33], off offset:96
	global_load_dwordx4 v[42:45], v[32:33], off offset:80
	global_load_dwordx4 v[46:49], v[32:33], off offset:64
	s_waitcnt vmcnt(0)
	v_fmac_f64_e32 v[28:29], v[46:47], v[12:13]
	v_fmac_f64_e32 v[70:71], v[48:49], v[12:13]
	v_fma_f64 v[28:29], -v[48:49], v[14:15], v[28:29]
	v_fmac_f64_e32 v[70:71], v[46:47], v[14:15]
	v_fmac_f64_e32 v[28:29], v[42:43], v[8:9]
	v_fmac_f64_e32 v[70:71], v[44:45], v[8:9]
	v_fma_f64 v[28:29], -v[44:45], v[10:11], v[28:29]
	v_fmac_f64_e32 v[70:71], v[42:43], v[10:11]
	v_fmac_f64_e32 v[28:29], v[38:39], v[4:5]
	v_fmac_f64_e32 v[70:71], v[40:41], v[4:5]
	v_fma_f64 v[28:29], -v[40:41], v[6:7], v[28:29]
	v_fmac_f64_e32 v[70:71], v[38:39], v[6:7]
	v_fmac_f64_e32 v[28:29], v[16:17], v[0:1]
	v_fmac_f64_e32 v[70:71], v[18:19], v[0:1]
	v_fma_f64 v[78:79], -v[18:19], v[2:3], v[28:29]
	v_fmac_f64_e32 v[70:71], v[16:17], v[2:3]
	global_load_dwordx4 v[16:19], v[32:33], off offset:176
	global_load_dwordx4 v[28:31], v[32:33], off offset:160
	global_load_dwordx4 v[38:41], v[32:33], off offset:144
	global_load_dwordx4 v[42:45], v[32:33], off offset:128
	;; [unrolled: 21-line block ×3, first 2 shown]
	s_waitcnt vmcnt(0)
	v_fmac_f64_e32 v[24:25], v[42:43], v[12:13]
	v_fmac_f64_e32 v[66:67], v[44:45], v[12:13]
	v_fma_f64 v[24:25], -v[44:45], v[14:15], v[24:25]
	v_fmac_f64_e32 v[66:67], v[42:43], v[14:15]
	v_fmac_f64_e32 v[24:25], v[38:39], v[8:9]
	v_fmac_f64_e32 v[66:67], v[40:41], v[8:9]
	v_fma_f64 v[12:13], -v[40:41], v[10:11], v[24:25]
	v_fmac_f64_e32 v[66:67], v[38:39], v[10:11]
	v_fmac_f64_e32 v[12:13], v[26:27], v[4:5]
	v_fmac_f64_e32 v[66:67], v[28:29], v[4:5]
	v_fma_f64 v[8:9], -v[28:29], v[6:7], v[12:13]
	v_fmac_f64_e32 v[66:67], v[26:27], v[6:7]
	v_fmac_f64_e32 v[8:9], v[16:17], v[0:1]
	v_fmac_f64_e32 v[66:67], v[18:19], v[0:1]
	v_fma_f64 v[52:53], -v[18:19], v[2:3], v[8:9]
	v_fmac_f64_e32 v[66:67], v[16:17], v[2:3]
	s_andn2_b64 exec, exec, s[16:17]
	s_cbranch_execnz .LBB17_23
; %bb.24:
	s_or_b64 exec, exec, s[16:17]
.LBB17_25:
	s_or_b64 exec, exec, s[14:15]
.LBB17_26:
	s_or_b64 exec, exec, s[10:11]
	s_andn2_b64 vcc, exec, s[8:9]
	s_cbranch_vccz .LBB17_28
	s_branch .LBB17_39
.LBB17_27:
                                        ; implicit-def: $vgpr72_vgpr73
                                        ; implicit-def: $vgpr80_vgpr81
                                        ; implicit-def: $vgpr52_vgpr53
                                        ; implicit-def: $vgpr66_vgpr67
                                        ; implicit-def: $vgpr54_vgpr55
                                        ; implicit-def: $vgpr68_vgpr69
                                        ; implicit-def: $vgpr78_vgpr79
                                        ; implicit-def: $vgpr70_vgpr71
.LBB17_28:
	v_pk_mov_b32 v[72:73], 0, 0
	v_pk_mov_b32 v[80:81], v[72:73], v[72:73] op_sel:[0,1]
	v_pk_mov_b32 v[52:53], v[72:73], v[72:73] op_sel:[0,1]
	;; [unrolled: 1-line block ×7, first 2 shown]
	s_and_saveexec_b64 s[8:9], s[0:1]
	s_cbranch_execz .LBB17_38
; %bb.29:
	v_add_u32_e32 v0, v34, v65
	v_subrev_u32_e32 v0, s20, v0
	v_add_u32_e32 v0, 16, v0
	v_max_i32_e32 v0, v0, v90
	v_not_b32_e32 v1, v34
	v_add3_u32 v0, v0, s20, v1
	v_sub_u32_e32 v0, v0, v65
	v_lshrrev_b32_e32 v1, 4, v0
	v_add_u32_e32 v1, 1, v1
	v_and_b32_e32 v1, 3, v1
	v_pk_mov_b32 v[70:71], 0, 0
	v_cmp_ne_u32_e32 vcc, 0, v1
	v_pk_mov_b32 v[78:79], v[70:71], v[70:71] op_sel:[0,1]
	v_pk_mov_b32 v[68:69], v[70:71], v[70:71] op_sel:[0,1]
	;; [unrolled: 1-line block ×7, first 2 shown]
	s_and_saveexec_b64 s[0:1], vcc
	s_cbranch_execz .LBB17_33
; %bb.30:
	v_pk_mov_b32 v[72:73], 0, 0
	v_lshlrev_b32_e32 v1, 8, v1
	s_mov_b64 s[2:3], 0
	v_mov_b32_e32 v2, s13
	v_mov_b32_e32 v3, s5
	v_pk_mov_b32 v[80:81], v[72:73], v[72:73] op_sel:[0,1]
	v_pk_mov_b32 v[52:53], v[72:73], v[72:73] op_sel:[0,1]
	;; [unrolled: 1-line block ×7, first 2 shown]
.LBB17_31:                              ; =>This Inner Loop Header: Depth=1
	v_ashrrev_i32_e32 v75, 31, v74
	v_lshlrev_b64 v[4:5], 2, v[74:75]
	v_add_co_u32_e32 v92, vcc, s12, v4
	v_addc_co_u32_e32 v93, vcc, v2, v5, vcc
	global_load_dword v75, v[92:93], off
	global_load_dwordx4 v[4:7], v[76:77], off offset:48
	global_load_dwordx4 v[8:11], v[76:77], off offset:32
	;; [unrolled: 1-line block ×3, first 2 shown]
	global_load_dwordx4 v[16:19], v[76:77], off
	global_load_dwordx4 v[20:23], v[76:77], off offset:112
	global_load_dwordx4 v[24:27], v[76:77], off offset:96
	;; [unrolled: 1-line block ×10, first 2 shown]
                                        ; kill: killed $vgpr92 killed $vgpr93
	global_load_dwordx4 v[92:95], v[76:77], off offset:224
	global_load_dwordx4 v[96:99], v[76:77], off offset:240
	v_add_u32_e32 v1, 0xffffff00, v1
	v_add_u32_e32 v74, 16, v74
	s_waitcnt vmcnt(16)
	v_subrev_u32_e32 v75, s20, v75
	v_lshlrev_b32_e32 v100, 2, v75
	v_ashrrev_i32_e32 v101, 31, v100
	v_lshlrev_b64 v[100:101], 4, v[100:101]
	v_add_co_u32_e32 v116, vcc, s4, v100
	v_addc_co_u32_e32 v117, vcc, v3, v101, vcc
	global_load_dwordx4 v[100:103], v[116:117], off
	global_load_dwordx4 v[104:107], v[116:117], off offset:16
	global_load_dwordx4 v[108:111], v[116:117], off offset:32
	;; [unrolled: 1-line block ×3, first 2 shown]
	v_add_co_u32_e32 v76, vcc, 0x1000, v76
	v_addc_co_u32_e32 v77, vcc, 0, v77, vcc
	v_cmp_eq_u32_e32 vcc, 0, v1
	s_or_b64 s[2:3], vcc, s[2:3]
	s_waitcnt vmcnt(3)
	v_fmac_f64_e32 v[80:81], v[16:17], v[100:101]
	v_fmac_f64_e32 v[72:73], v[18:19], v[100:101]
	v_fmac_f64_e32 v[78:79], v[12:13], v[100:101]
	v_fmac_f64_e32 v[70:71], v[14:15], v[100:101]
	v_fmac_f64_e32 v[54:55], v[8:9], v[100:101]
	v_fmac_f64_e32 v[68:69], v[10:11], v[100:101]
	v_fmac_f64_e32 v[52:53], v[4:5], v[100:101]
	v_fmac_f64_e32 v[66:67], v[6:7], v[100:101]
	v_fma_f64 v[18:19], -v[18:19], v[102:103], v[80:81]
	v_fmac_f64_e32 v[72:73], v[16:17], v[102:103]
	v_fma_f64 v[14:15], -v[14:15], v[102:103], v[78:79]
	v_fmac_f64_e32 v[70:71], v[12:13], v[102:103]
	v_fma_f64 v[10:11], -v[10:11], v[102:103], v[54:55]
	v_fmac_f64_e32 v[68:69], v[8:9], v[102:103]
	v_fma_f64 v[6:7], -v[6:7], v[102:103], v[52:53]
	v_fmac_f64_e32 v[66:67], v[4:5], v[102:103]
	s_waitcnt vmcnt(2)
	v_fmac_f64_e32 v[18:19], v[32:33], v[104:105]
	v_fmac_f64_e32 v[72:73], v[34:35], v[104:105]
	v_fmac_f64_e32 v[14:15], v[28:29], v[104:105]
	v_fmac_f64_e32 v[70:71], v[30:31], v[104:105]
	v_fmac_f64_e32 v[10:11], v[24:25], v[104:105]
	v_fmac_f64_e32 v[68:69], v[26:27], v[104:105]
	v_fmac_f64_e32 v[6:7], v[20:21], v[104:105]
	v_fmac_f64_e32 v[66:67], v[22:23], v[104:105]
	v_fma_f64 v[4:5], -v[34:35], v[106:107], v[18:19]
	v_fmac_f64_e32 v[72:73], v[32:33], v[106:107]
	v_fma_f64 v[8:9], -v[30:31], v[106:107], v[14:15]
	v_fmac_f64_e32 v[70:71], v[28:29], v[106:107]
	v_fma_f64 v[10:11], -v[26:27], v[106:107], v[10:11]
	v_fmac_f64_e32 v[68:69], v[24:25], v[106:107]
	v_fma_f64 v[6:7], -v[22:23], v[106:107], v[6:7]
	v_fmac_f64_e32 v[66:67], v[20:21], v[106:107]
	;; [unrolled: 17-line block ×4, first 2 shown]
	s_andn2_b64 exec, exec, s[2:3]
	s_cbranch_execnz .LBB17_31
; %bb.32:
	s_or_b64 exec, exec, s[2:3]
.LBB17_33:
	s_or_b64 exec, exec, s[0:1]
	v_cmp_lt_u32_e32 vcc, 47, v0
	s_and_saveexec_b64 s[10:11], vcc
	s_cbranch_execz .LBB17_37
; %bb.34:
	s_mov_b64 s[14:15], 0
	v_mov_b32_e32 v91, s13
	v_mov_b32_e32 v92, s5
	s_movk_i32 s5, 0x1000
	s_movk_i32 s13, 0x2000
	;; [unrolled: 1-line block ×3, first 2 shown]
.LBB17_35:                              ; =>This Inner Loop Header: Depth=1
	v_ashrrev_i32_e32 v75, 31, v74
	v_lshlrev_b64 v[48:49], 2, v[74:75]
	v_add_co_u32_e64 v82, s[0:1], s12, v48
	v_addc_co_u32_e64 v83, s[0:1], v91, v49, s[0:1]
	global_load_dwordx4 v[0:3], v[76:77], off offset:32
	global_load_dwordx4 v[4:7], v[76:77], off offset:16
	;; [unrolled: 1-line block ×12, first 2 shown]
	global_load_dword v48, v[82:83], off
	global_load_dwordx4 v[94:97], v[76:77], off
	v_add_co_u32_e32 v84, vcc, s13, v76
	v_addc_co_u32_e32 v85, vcc, 0, v77, vcc
	v_add_u32_e32 v74, 64, v74
	s_waitcnt vmcnt(1)
	v_subrev_u32_e32 v48, s20, v48
	v_lshlrev_b32_e32 v48, 2, v48
	v_ashrrev_i32_e32 v49, 31, v48
	v_lshlrev_b64 v[48:49], 4, v[48:49]
	v_add_co_u32_e64 v86, s[0:1], s4, v48
	v_addc_co_u32_e64 v87, s[0:1], v92, v49, s[0:1]
	global_load_dwordx4 v[48:51], v[86:87], off
	v_add_co_u32_e64 v98, s[0:1], s5, v76
	v_addc_co_u32_e64 v99, vcc, 0, v77, s[0:1]
	v_cmp_ge_i32_e64 s[0:1], v74, v90
	s_or_b64 s[14:15], s[0:1], s[14:15]
	s_waitcnt vmcnt(0)
	v_fmac_f64_e32 v[52:53], v[28:29], v[48:49]
	v_fmac_f64_e32 v[66:67], v[30:31], v[48:49]
	v_fma_f64 v[52:53], -v[30:31], v[50:51], v[52:53]
	v_fmac_f64_e32 v[66:67], v[28:29], v[50:51]
	global_load_dwordx4 v[28:31], v[86:87], off offset:16
	v_fmac_f64_e32 v[78:79], v[4:5], v[48:49]
	v_fmac_f64_e32 v[70:71], v[6:7], v[48:49]
	v_fma_f64 v[88:89], -v[6:7], v[50:51], v[78:79]
	v_fmac_f64_e32 v[70:71], v[4:5], v[50:51]
	global_load_dwordx4 v[4:7], v[76:77], off offset:176
	v_fmac_f64_e32 v[80:81], v[94:95], v[48:49]
	v_fmac_f64_e32 v[72:73], v[96:97], v[48:49]
	;; [unrolled: 1-line block ×4, first 2 shown]
	v_fma_f64 v[80:81], -v[96:97], v[50:51], v[80:81]
	v_fmac_f64_e32 v[72:73], v[94:95], v[50:51]
	v_fma_f64 v[54:55], -v[2:3], v[50:51], v[54:55]
	v_fmac_f64_e32 v[68:69], v[0:1], v[50:51]
	global_load_dwordx4 v[94:97], v[76:77], off offset:208
	global_load_dwordx4 v[0:3], v[76:77], off offset:192
	;; [unrolled: 1-line block ×3, first 2 shown]
	v_add_co_u32_e64 v78, s[2:3], s16, v76
	v_addc_co_u32_e64 v79, vcc, 0, v77, s[2:3]
	s_waitcnt vmcnt(4)
	v_fmac_f64_e32 v[80:81], v[16:17], v[28:29]
	v_fmac_f64_e32 v[72:73], v[18:19], v[28:29]
	v_fmac_f64_e32 v[88:89], v[12:13], v[28:29]
	v_fmac_f64_e32 v[70:71], v[14:15], v[28:29]
	v_fmac_f64_e32 v[54:55], v[8:9], v[28:29]
	v_fmac_f64_e32 v[68:69], v[10:11], v[28:29]
	v_fmac_f64_e32 v[52:53], v[36:37], v[28:29]
	v_fmac_f64_e32 v[66:67], v[38:39], v[28:29]
	v_fma_f64 v[80:81], -v[18:19], v[30:31], v[80:81]
	v_fmac_f64_e32 v[72:73], v[16:17], v[30:31]
	v_fma_f64 v[88:89], -v[14:15], v[30:31], v[88:89]
	v_fmac_f64_e32 v[70:71], v[12:13], v[30:31]
	global_load_dwordx4 v[12:15], v[98:99], off offset:32
	v_fma_f64 v[54:55], -v[10:11], v[30:31], v[54:55]
	v_fmac_f64_e32 v[68:69], v[8:9], v[30:31]
	global_load_dwordx4 v[8:11], v[98:99], off offset:16
	;; [unrolled: 3-line block ×3, first 2 shown]
	global_load_dwordx4 v[28:31], v[86:87], off offset:32
	s_waitcnt vmcnt(0)
	v_fmac_f64_e32 v[80:81], v[32:33], v[28:29]
	v_fmac_f64_e32 v[72:73], v[34:35], v[28:29]
	;; [unrolled: 1-line block ×8, first 2 shown]
	v_fma_f64 v[36:37], -v[34:35], v[30:31], v[80:81]
	v_fmac_f64_e32 v[72:73], v[32:33], v[30:31]
	global_load_dwordx4 v[32:35], v[98:99], off offset:80
	v_fma_f64 v[52:53], -v[26:27], v[30:31], v[88:89]
	v_fmac_f64_e32 v[70:71], v[24:25], v[30:31]
	global_load_dwordx4 v[24:27], v[98:99], off offset:48
	;; [unrolled: 3-line block ×4, first 2 shown]
	global_load_dwordx4 v[28:31], v[86:87], off offset:48
	s_waitcnt vmcnt(0)
	v_fmac_f64_e32 v[36:37], v[0:1], v[28:29]
	v_fmac_f64_e32 v[72:73], v[2:3], v[28:29]
	;; [unrolled: 1-line block ×8, first 2 shown]
	v_fma_f64 v[86:87], -v[2:3], v[30:31], v[36:37]
	v_fmac_f64_e32 v[72:73], v[0:1], v[30:31]
	global_load_dwordx4 v[0:3], v[98:99], off offset:144
	v_fma_f64 v[52:53], -v[96:97], v[30:31], v[52:53]
	v_fmac_f64_e32 v[70:71], v[94:95], v[30:31]
	global_load_dwordx4 v[36:39], v[98:99], off offset:112
	;; [unrolled: 3-line block ×3, first 2 shown]
	v_fma_f64 v[80:81], -v[42:43], v[30:31], v[80:81]
	v_fmac_f64_e32 v[66:67], v[40:41], v[30:31]
	global_load_dwordx4 v[28:31], v[84:85], off offset:-4096
	global_load_dword v40, v[82:83], off offset:64
	s_waitcnt vmcnt(0)
	v_subrev_u32_e32 v40, s20, v40
	v_lshlrev_b32_e32 v40, 2, v40
	v_ashrrev_i32_e32 v41, 31, v40
	v_lshlrev_b64 v[40:41], 4, v[40:41]
	v_add_co_u32_e32 v94, vcc, s4, v40
	v_addc_co_u32_e32 v95, vcc, v92, v41, vcc
	global_load_dwordx4 v[40:43], v[94:95], off
	s_waitcnt vmcnt(0)
	v_fmac_f64_e32 v[86:87], v[28:29], v[40:41]
	v_fmac_f64_e32 v[72:73], v[30:31], v[40:41]
	;; [unrolled: 1-line block ×8, first 2 shown]
	v_fma_f64 v[86:87], -v[30:31], v[42:43], v[86:87]
	v_fmac_f64_e32 v[72:73], v[28:29], v[42:43]
	global_load_dwordx4 v[28:31], v[84:85], off
	v_fma_f64 v[52:53], -v[10:11], v[42:43], v[52:53]
	v_fmac_f64_e32 v[70:71], v[8:9], v[42:43]
	global_load_dwordx4 v[8:11], v[98:99], off offset:240
	v_fma_f64 v[54:55], -v[14:15], v[42:43], v[54:55]
	v_fmac_f64_e32 v[68:69], v[12:13], v[42:43]
	global_load_dwordx4 v[12:15], v[98:99], off offset:224
	;; [unrolled: 3-line block ×3, first 2 shown]
	global_load_dwordx4 v[40:43], v[94:95], off offset:16
	s_waitcnt vmcnt(0)
	v_fmac_f64_e32 v[86:87], v[20:21], v[40:41]
	v_fmac_f64_e32 v[72:73], v[22:23], v[40:41]
	;; [unrolled: 1-line block ×8, first 2 shown]
	v_fma_f64 v[86:87], -v[22:23], v[42:43], v[86:87]
	v_fmac_f64_e32 v[72:73], v[20:21], v[42:43]
	global_load_dwordx4 v[20:23], v[98:99], off offset:176
	v_fma_f64 v[52:53], -v[34:35], v[42:43], v[52:53]
	v_fmac_f64_e32 v[70:71], v[32:33], v[42:43]
	global_load_dwordx4 v[32:35], v[98:99], off offset:192
	v_fma_f64 v[54:55], -v[18:19], v[42:43], v[54:55]
	v_fmac_f64_e32 v[68:69], v[16:17], v[42:43]
	global_load_dwordx4 v[16:19], v[84:85], off offset:32
	v_fma_f64 v[80:81], -v[38:39], v[42:43], v[80:81]
	v_fmac_f64_e32 v[66:67], v[36:37], v[42:43]
	global_load_dwordx4 v[36:39], v[84:85], off offset:16
	global_load_dwordx4 v[40:43], v[94:95], off offset:32
	s_waitcnt vmcnt(0)
	v_fmac_f64_e32 v[86:87], v[44:45], v[40:41]
	v_fmac_f64_e32 v[72:73], v[46:47], v[40:41]
	;; [unrolled: 1-line block ×8, first 2 shown]
	v_fma_f64 v[96:97], -v[46:47], v[42:43], v[86:87]
	v_fmac_f64_e32 v[72:73], v[44:45], v[42:43]
	global_load_dwordx4 v[44:47], v[84:85], off offset:96
	v_fma_f64 v[52:53], -v[2:3], v[42:43], v[52:53]
	v_fmac_f64_e32 v[70:71], v[0:1], v[42:43]
	global_load_dwordx4 v[0:3], v[84:85], off offset:80
	;; [unrolled: 3-line block ×4, first 2 shown]
	global_load_dwordx4 v[86:89], v[84:85], off offset:160
	global_load_dwordx4 v[40:43], v[94:95], off offset:48
	;; [unrolled: 1-line block ×3, first 2 shown]
	s_waitcnt vmcnt(1)
	v_fmac_f64_e32 v[66:67], v[10:11], v[40:41]
	v_fmac_f64_e32 v[80:81], v[8:9], v[40:41]
	;; [unrolled: 1-line block ×3, first 2 shown]
	global_load_dword v8, v[82:83], off offset:128
	v_fmac_f64_e32 v[96:97], v[32:33], v[40:41]
	v_fmac_f64_e32 v[72:73], v[34:35], v[40:41]
	;; [unrolled: 1-line block ×6, first 2 shown]
	v_fma_f64 v[40:41], -v[10:11], v[42:43], v[80:81]
	v_fma_f64 v[94:95], -v[34:35], v[42:43], v[96:97]
	v_fmac_f64_e32 v[72:73], v[32:33], v[42:43]
	v_fma_f64 v[52:53], -v[26:27], v[42:43], v[52:53]
	v_fmac_f64_e32 v[70:71], v[24:25], v[42:43]
	;; [unrolled: 2-line block ×3, first 2 shown]
	global_load_dwordx4 v[32:35], v[84:85], off offset:144
	global_load_dwordx4 v[24:27], v[84:85], off offset:112
	;; [unrolled: 1-line block ×3, first 2 shown]
	s_waitcnt vmcnt(3)
	v_subrev_u32_e32 v8, s20, v8
	v_lshlrev_b32_e32 v8, 2, v8
	v_ashrrev_i32_e32 v9, 31, v8
	v_lshlrev_b64 v[8:9], 4, v[8:9]
	v_add_co_u32_e32 v80, vcc, s4, v8
	v_addc_co_u32_e32 v81, vcc, v92, v9, vcc
	global_load_dwordx4 v[8:11], v[80:81], off
	s_waitcnt vmcnt(0)
	v_fmac_f64_e32 v[94:95], v[28:29], v[8:9]
	v_fmac_f64_e32 v[72:73], v[30:31], v[8:9]
	;; [unrolled: 1-line block ×8, first 2 shown]
	v_fma_f64 v[30:31], -v[30:31], v[10:11], v[94:95]
	v_fmac_f64_e32 v[72:73], v[28:29], v[10:11]
	global_load_dwordx4 v[94:97], v[84:85], off offset:224
	v_fma_f64 v[28:29], -v[38:39], v[10:11], v[52:53]
	v_fmac_f64_e32 v[70:71], v[36:37], v[10:11]
	v_fma_f64 v[106:107], -v[18:19], v[10:11], v[54:55]
	v_fmac_f64_e32 v[68:69], v[16:17], v[10:11]
	global_load_dwordx4 v[16:19], v[84:85], off offset:176
	global_load_dwordx4 v[102:105], v[84:85], off offset:192
	v_fma_f64 v[8:9], -v[6:7], v[10:11], v[40:41]
	v_fmac_f64_e32 v[66:67], v[4:5], v[10:11]
	global_load_dwordx4 v[36:39], v[78:79], off offset:48
	global_load_dwordx4 v[4:7], v[80:81], off offset:16
	global_load_dwordx4 v[40:43], v[78:79], off offset:32
	global_load_dwordx4 v[52:55], v[78:79], off
	s_waitcnt vmcnt(2)
	v_fmac_f64_e32 v[30:31], v[20:21], v[4:5]
	v_fmac_f64_e32 v[72:73], v[22:23], v[4:5]
	v_fmac_f64_e32 v[28:29], v[0:1], v[4:5]
	v_fmac_f64_e32 v[70:71], v[2:3], v[4:5]
	v_fmac_f64_e32 v[106:107], v[44:45], v[4:5]
	v_fmac_f64_e32 v[68:69], v[46:47], v[4:5]
	v_fmac_f64_e32 v[8:9], v[24:25], v[4:5]
	v_fmac_f64_e32 v[66:67], v[26:27], v[4:5]
	v_fma_f64 v[10:11], -v[22:23], v[6:7], v[30:31]
	v_fmac_f64_e32 v[72:73], v[20:21], v[6:7]
	v_fma_f64 v[20:21], -v[2:3], v[6:7], v[28:29]
	v_fmac_f64_e32 v[70:71], v[0:1], v[6:7]
	;; [unrolled: 2-line block ×3, first 2 shown]
	global_load_dwordx4 v[44:47], v[78:79], off offset:16
	v_fma_f64 v[26:27], -v[26:27], v[6:7], v[8:9]
	v_fmac_f64_e32 v[66:67], v[24:25], v[6:7]
	global_load_dwordx4 v[0:3], v[78:79], off offset:112
	global_load_dwordx4 v[4:7], v[80:81], off offset:32
	s_waitcnt vmcnt(0)
	v_fmac_f64_e32 v[10:11], v[12:13], v[4:5]
	v_fmac_f64_e32 v[72:73], v[14:15], v[4:5]
	;; [unrolled: 1-line block ×8, first 2 shown]
	v_fma_f64 v[24:25], -v[14:15], v[6:7], v[10:11]
	v_fmac_f64_e32 v[72:73], v[12:13], v[6:7]
	global_load_dwordx4 v[8:11], v[78:79], off offset:96
	v_fma_f64 v[34:35], -v[34:35], v[6:7], v[20:21]
	v_fmac_f64_e32 v[70:71], v[32:33], v[6:7]
	global_load_dwordx4 v[20:23], v[78:79], off offset:80
	v_fma_f64 v[32:33], -v[88:89], v[6:7], v[28:29]
	global_load_dwordx4 v[28:31], v[78:79], off offset:64
	v_fmac_f64_e32 v[68:69], v[86:87], v[6:7]
	v_fma_f64 v[84:85], -v[18:19], v[6:7], v[26:27]
	v_fmac_f64_e32 v[66:67], v[16:17], v[6:7]
	global_load_dwordx4 v[4:7], v[78:79], off offset:176
	global_load_dwordx4 v[12:15], v[80:81], off offset:48
	;; [unrolled: 1-line block ×3, first 2 shown]
	s_waitcnt vmcnt(1)
	v_fmac_f64_e32 v[24:25], v[102:103], v[12:13]
	v_fmac_f64_e32 v[72:73], v[104:105], v[12:13]
	;; [unrolled: 1-line block ×8, first 2 shown]
	v_fma_f64 v[88:89], -v[104:105], v[14:15], v[24:25]
	v_fmac_f64_e32 v[72:73], v[102:103], v[14:15]
	v_fma_f64 v[86:87], -v[100:101], v[14:15], v[34:35]
	v_fmac_f64_e32 v[70:71], v[98:99], v[14:15]
	global_load_dwordx4 v[24:27], v[78:79], off offset:144
	v_fma_f64 v[80:81], -v[96:97], v[14:15], v[32:33]
	global_load_dwordx4 v[32:35], v[78:79], off offset:128
	v_fmac_f64_e32 v[68:69], v[94:95], v[14:15]
	v_fma_f64 v[84:85], -v[50:51], v[14:15], v[84:85]
	v_fmac_f64_e32 v[66:67], v[48:49], v[14:15]
	global_load_dwordx4 v[12:15], v[78:79], off offset:224
	global_load_dword v48, v[82:83], off offset:192
	global_load_dwordx4 v[94:97], v[78:79], off offset:208
	s_waitcnt vmcnt(1)
	v_subrev_u32_e32 v48, s20, v48
	v_lshlrev_b32_e32 v48, 2, v48
	v_ashrrev_i32_e32 v49, 31, v48
	v_lshlrev_b64 v[48:49], 4, v[48:49]
	v_add_co_u32_e32 v82, vcc, s4, v48
	v_addc_co_u32_e32 v83, vcc, v92, v49, vcc
	global_load_dwordx4 v[48:51], v[82:83], off
	v_add_co_u32_e32 v76, vcc, 0x4000, v76
	v_addc_co_u32_e32 v77, vcc, 0, v77, vcc
	s_waitcnt vmcnt(0)
	v_fmac_f64_e32 v[88:89], v[52:53], v[48:49]
	v_fmac_f64_e32 v[72:73], v[54:55], v[48:49]
	;; [unrolled: 1-line block ×6, first 2 shown]
	v_fma_f64 v[54:55], -v[54:55], v[50:51], v[88:89]
	v_fmac_f64_e32 v[72:73], v[52:53], v[50:51]
	v_fma_f64 v[52:53], -v[46:47], v[50:51], v[86:87]
	v_fmac_f64_e32 v[70:71], v[44:45], v[50:51]
	global_load_dwordx4 v[44:47], v[78:79], off offset:192
	global_load_dwordx4 v[86:89], v[78:79], off offset:240
	v_fma_f64 v[78:79], -v[42:43], v[50:51], v[80:81]
	v_fmac_f64_e32 v[68:69], v[40:41], v[50:51]
	global_load_dwordx4 v[40:43], v[82:83], off offset:16
	v_fmac_f64_e32 v[84:85], v[36:37], v[48:49]
	v_fmac_f64_e32 v[66:67], v[38:39], v[48:49]
	v_fma_f64 v[80:81], -v[38:39], v[50:51], v[84:85]
	v_fmac_f64_e32 v[66:67], v[36:37], v[50:51]
	global_load_dwordx4 v[36:39], v[82:83], off offset:32
	global_load_dwordx4 v[48:51], v[82:83], off offset:48
	s_waitcnt vmcnt(2)
	v_fmac_f64_e32 v[54:55], v[28:29], v[40:41]
	v_fmac_f64_e32 v[72:73], v[30:31], v[40:41]
	v_fmac_f64_e32 v[52:53], v[20:21], v[40:41]
	v_fmac_f64_e32 v[70:71], v[22:23], v[40:41]
	v_fmac_f64_e32 v[78:79], v[8:9], v[40:41]
	v_fmac_f64_e32 v[68:69], v[10:11], v[40:41]
	v_fmac_f64_e32 v[80:81], v[0:1], v[40:41]
	v_fmac_f64_e32 v[66:67], v[2:3], v[40:41]
	v_fma_f64 v[30:31], -v[30:31], v[42:43], v[54:55]
	v_fmac_f64_e32 v[72:73], v[28:29], v[42:43]
	v_fma_f64 v[22:23], -v[22:23], v[42:43], v[52:53]
	v_fmac_f64_e32 v[70:71], v[20:21], v[42:43]
	v_fma_f64 v[10:11], -v[10:11], v[42:43], v[78:79]
	v_fmac_f64_e32 v[68:69], v[8:9], v[42:43]
	v_fma_f64 v[2:3], -v[2:3], v[42:43], v[80:81]
	v_fmac_f64_e32 v[66:67], v[0:1], v[42:43]
	s_waitcnt vmcnt(1)
	v_fmac_f64_e32 v[30:31], v[32:33], v[36:37]
	v_fmac_f64_e32 v[72:73], v[34:35], v[36:37]
	v_fmac_f64_e32 v[22:23], v[24:25], v[36:37]
	v_fmac_f64_e32 v[70:71], v[26:27], v[36:37]
	v_fmac_f64_e32 v[10:11], v[16:17], v[36:37]
	v_fmac_f64_e32 v[68:69], v[18:19], v[36:37]
	v_fmac_f64_e32 v[2:3], v[4:5], v[36:37]
	v_fmac_f64_e32 v[66:67], v[6:7], v[36:37]
	v_fma_f64 v[0:1], -v[34:35], v[38:39], v[30:31]
	v_fmac_f64_e32 v[72:73], v[32:33], v[38:39]
	v_fma_f64 v[8:9], -v[26:27], v[38:39], v[22:23]
	v_fmac_f64_e32 v[70:71], v[24:25], v[38:39]
	v_fma_f64 v[10:11], -v[18:19], v[38:39], v[10:11]
	v_fmac_f64_e32 v[68:69], v[16:17], v[38:39]
	v_fma_f64 v[2:3], -v[6:7], v[38:39], v[2:3]
	v_fmac_f64_e32 v[66:67], v[4:5], v[38:39]
	;; [unrolled: 17-line block ×3, first 2 shown]
	s_andn2_b64 exec, exec, s[14:15]
	s_cbranch_execnz .LBB17_35
; %bb.36:
	s_or_b64 exec, exec, s[14:15]
.LBB17_37:
	s_or_b64 exec, exec, s[10:11]
.LBB17_38:
	s_or_b64 exec, exec, s[8:9]
.LBB17_39:
	v_mov_b32_dpp v0, v80 row_shr:1 row_mask:0xf bank_mask:0xf
	v_mov_b32_dpp v1, v81 row_shr:1 row_mask:0xf bank_mask:0xf
	v_mov_b32_dpp v4, v72 row_shr:1 row_mask:0xf bank_mask:0xf
	v_mov_b32_dpp v5, v73 row_shr:1 row_mask:0xf bank_mask:0xf
	v_mov_b32_dpp v8, v78 row_shr:1 row_mask:0xf bank_mask:0xf
	v_mov_b32_dpp v9, v79 row_shr:1 row_mask:0xf bank_mask:0xf
	v_mov_b32_dpp v12, v70 row_shr:1 row_mask:0xf bank_mask:0xf
	v_mov_b32_dpp v13, v71 row_shr:1 row_mask:0xf bank_mask:0xf
	v_mov_b32_dpp v16, v54 row_shr:1 row_mask:0xf bank_mask:0xf
	v_mov_b32_dpp v17, v55 row_shr:1 row_mask:0xf bank_mask:0xf
	v_mov_b32_dpp v20, v68 row_shr:1 row_mask:0xf bank_mask:0xf
	v_mov_b32_dpp v21, v69 row_shr:1 row_mask:0xf bank_mask:0xf
	v_mov_b32_dpp v24, v52 row_shr:1 row_mask:0xf bank_mask:0xf
	v_mov_b32_dpp v25, v53 row_shr:1 row_mask:0xf bank_mask:0xf
	v_mov_b32_dpp v28, v66 row_shr:1 row_mask:0xf bank_mask:0xf
	v_mov_b32_dpp v29, v67 row_shr:1 row_mask:0xf bank_mask:0xf
	v_add_f64 v[0:1], v[80:81], v[0:1]
	v_add_f64 v[4:5], v[72:73], v[4:5]
	v_add_f64 v[8:9], v[78:79], v[8:9]
	v_add_f64 v[12:13], v[70:71], v[12:13]
	v_add_f64 v[16:17], v[54:55], v[16:17]
	v_add_f64 v[20:21], v[68:69], v[20:21]
	v_add_f64 v[24:25], v[52:53], v[24:25]
	v_add_f64 v[28:29], v[66:67], v[28:29]
	v_mov_b32_dpp v2, v0 row_shr:2 row_mask:0xf bank_mask:0xf
	v_mov_b32_dpp v3, v1 row_shr:2 row_mask:0xf bank_mask:0xf
	v_mov_b32_dpp v6, v4 row_shr:2 row_mask:0xf bank_mask:0xf
	v_mov_b32_dpp v7, v5 row_shr:2 row_mask:0xf bank_mask:0xf
	v_mov_b32_dpp v10, v8 row_shr:2 row_mask:0xf bank_mask:0xf
	v_mov_b32_dpp v11, v9 row_shr:2 row_mask:0xf bank_mask:0xf
	v_mov_b32_dpp v14, v12 row_shr:2 row_mask:0xf bank_mask:0xf
	v_mov_b32_dpp v15, v13 row_shr:2 row_mask:0xf bank_mask:0xf
	v_mov_b32_dpp v18, v16 row_shr:2 row_mask:0xf bank_mask:0xf
	v_mov_b32_dpp v19, v17 row_shr:2 row_mask:0xf bank_mask:0xf
	v_mov_b32_dpp v22, v20 row_shr:2 row_mask:0xf bank_mask:0xf
	v_mov_b32_dpp v23, v21 row_shr:2 row_mask:0xf bank_mask:0xf
	v_mov_b32_dpp v26, v24 row_shr:2 row_mask:0xf bank_mask:0xf
	v_mov_b32_dpp v27, v25 row_shr:2 row_mask:0xf bank_mask:0xf
	v_mov_b32_dpp v30, v28 row_shr:2 row_mask:0xf bank_mask:0xf
	v_mov_b32_dpp v31, v29 row_shr:2 row_mask:0xf bank_mask:0xf
	v_add_f64 v[0:1], v[0:1], v[2:3]
	v_add_f64 v[4:5], v[4:5], v[6:7]
	v_add_f64 v[8:9], v[8:9], v[10:11]
	v_add_f64 v[12:13], v[12:13], v[14:15]
	v_add_f64 v[16:17], v[16:17], v[18:19]
	v_add_f64 v[20:21], v[20:21], v[22:23]
	v_add_f64 v[24:25], v[24:25], v[26:27]
	v_add_f64 v[28:29], v[28:29], v[30:31]
	;; [unrolled: 24-line block ×3, first 2 shown]
	v_mov_b32_dpp v2, v0 row_shr:8 row_mask:0xf bank_mask:0xc
	v_mov_b32_dpp v3, v1 row_shr:8 row_mask:0xf bank_mask:0xc
	;; [unrolled: 1-line block ×16, first 2 shown]
	v_cmp_eq_u32_e32 vcc, 15, v65
	s_and_b64 exec, exec, vcc
	s_cbranch_execz .LBB17_12
; %bb.40:
	s_load_dwordx2 s[2:3], s[6:7], 0x60
	v_add_f64 v[32:33], v[0:1], v[2:3]
	v_add_f64 v[0:1], v[4:5], v[6:7]
	;; [unrolled: 1-line block ×8, first 2 shown]
	v_cmp_eq_f64_e32 vcc, 0, v[56:57]
	v_cmp_eq_f64_e64 s[0:1], 0, v[58:59]
	v_mul_f64 v[12:13], v[0:1], -v[62:63]
	v_mul_f64 v[14:15], v[60:61], v[0:1]
	v_mul_f64 v[8:9], v[2:3], -v[62:63]
	v_mul_f64 v[10:11], v[60:61], v[2:3]
	;; [unrolled: 2-line block ×4, first 2 shown]
	s_and_b64 s[0:1], vcc, s[0:1]
	v_fmac_f64_e32 v[12:13], v[60:61], v[32:33]
	v_fmac_f64_e32 v[14:15], v[62:63], v[32:33]
	v_lshlrev_b32_e32 v16, 2, v64
	v_fmac_f64_e32 v[8:9], v[60:61], v[34:35]
	v_fmac_f64_e32 v[10:11], v[62:63], v[34:35]
	;; [unrolled: 1-line block ×6, first 2 shown]
	s_and_saveexec_b64 s[4:5], s[0:1]
	s_xor_b64 s[0:1], exec, s[4:5]
	s_cbranch_execz .LBB17_42
; %bb.41:
	v_ashrrev_i32_e32 v17, 31, v16
	v_lshlrev_b64 v[16:17], 4, v[16:17]
	s_waitcnt lgkmcnt(0)
	v_mov_b32_e32 v18, s3
	v_add_co_u32_e32 v16, vcc, s2, v16
	v_addc_co_u32_e32 v17, vcc, v18, v17, vcc
	global_store_dwordx4 v[16:17], v[12:15], off
	global_store_dwordx4 v[16:17], v[8:11], off offset:16
	global_store_dwordx4 v[16:17], v[4:7], off offset:32
	global_store_dwordx4 v[16:17], v[0:3], off offset:48
                                        ; implicit-def: $vgpr56_vgpr57
                                        ; implicit-def: $vgpr58_vgpr59
                                        ; implicit-def: $vgpr12_vgpr13
                                        ; implicit-def: $vgpr16
                                        ; implicit-def: $vgpr8_vgpr9
                                        ; implicit-def: $vgpr4_vgpr5
                                        ; implicit-def: $vgpr0_vgpr1
.LBB17_42:
	s_andn2_saveexec_b64 s[0:1], s[0:1]
	s_cbranch_execz .LBB17_12
; %bb.43:
	v_ashrrev_i32_e32 v17, 31, v16
	v_lshlrev_b64 v[16:17], 4, v[16:17]
	s_waitcnt lgkmcnt(0)
	v_mov_b32_e32 v18, s3
	v_add_co_u32_e32 v32, vcc, s2, v16
	v_addc_co_u32_e32 v33, vcc, v18, v17, vcc
	global_load_dwordx4 v[16:19], v[32:33], off
	global_load_dwordx4 v[20:23], v[32:33], off offset:16
	global_load_dwordx4 v[24:27], v[32:33], off offset:32
	;; [unrolled: 1-line block ×3, first 2 shown]
	s_waitcnt vmcnt(3)
	v_fmac_f64_e32 v[12:13], v[56:57], v[16:17]
	v_fmac_f64_e32 v[14:15], v[58:59], v[16:17]
	s_waitcnt vmcnt(2)
	v_fmac_f64_e32 v[8:9], v[56:57], v[20:21]
	v_fmac_f64_e32 v[10:11], v[58:59], v[20:21]
	;; [unrolled: 3-line block ×4, first 2 shown]
	v_fma_f64 v[12:13], -v[58:59], v[18:19], v[12:13]
	v_fmac_f64_e32 v[14:15], v[56:57], v[18:19]
	v_fma_f64 v[8:9], -v[58:59], v[22:23], v[8:9]
	v_fmac_f64_e32 v[10:11], v[56:57], v[22:23]
	;; [unrolled: 2-line block ×4, first 2 shown]
	global_store_dwordx4 v[32:33], v[12:15], off
	global_store_dwordx4 v[32:33], v[8:11], off offset:16
	global_store_dwordx4 v[32:33], v[4:7], off offset:32
	;; [unrolled: 1-line block ×3, first 2 shown]
	s_endpgm
	.section	.rodata,"a",@progbits
	.p2align	6, 0x0
	.amdhsa_kernel _ZN9rocsparseL18bsrxmvn_4x4_kernelILj128ELj16E21rocsparse_complex_numIdEiiS2_S2_S2_EEvT3_20rocsparse_direction_NS_24const_host_device_scalarIT1_EES3_PKS3_PKT2_SC_S9_PKT4_PKT5_S7_PT6_21rocsparse_index_base_b
		.amdhsa_group_segment_fixed_size 2048
		.amdhsa_private_segment_fixed_size 0
		.amdhsa_kernarg_size 112
		.amdhsa_user_sgpr_count 8
		.amdhsa_user_sgpr_private_segment_buffer 1
		.amdhsa_user_sgpr_dispatch_ptr 1
		.amdhsa_user_sgpr_queue_ptr 0
		.amdhsa_user_sgpr_kernarg_segment_ptr 1
		.amdhsa_user_sgpr_dispatch_id 0
		.amdhsa_user_sgpr_flat_scratch_init 0
		.amdhsa_user_sgpr_kernarg_preload_length 0
		.amdhsa_user_sgpr_kernarg_preload_offset 0
		.amdhsa_user_sgpr_private_segment_size 0
		.amdhsa_uses_dynamic_stack 0
		.amdhsa_system_sgpr_private_segment_wavefront_offset 0
		.amdhsa_system_sgpr_workgroup_id_x 1
		.amdhsa_system_sgpr_workgroup_id_y 0
		.amdhsa_system_sgpr_workgroup_id_z 0
		.amdhsa_system_sgpr_workgroup_info 0
		.amdhsa_system_vgpr_workitem_id 2
		.amdhsa_next_free_vgpr 118
		.amdhsa_next_free_sgpr 22
		.amdhsa_accum_offset 120
		.amdhsa_reserve_vcc 1
		.amdhsa_reserve_flat_scratch 0
		.amdhsa_float_round_mode_32 0
		.amdhsa_float_round_mode_16_64 0
		.amdhsa_float_denorm_mode_32 3
		.amdhsa_float_denorm_mode_16_64 3
		.amdhsa_dx10_clamp 1
		.amdhsa_ieee_mode 1
		.amdhsa_fp16_overflow 0
		.amdhsa_tg_split 0
		.amdhsa_exception_fp_ieee_invalid_op 0
		.amdhsa_exception_fp_denorm_src 0
		.amdhsa_exception_fp_ieee_div_zero 0
		.amdhsa_exception_fp_ieee_overflow 0
		.amdhsa_exception_fp_ieee_underflow 0
		.amdhsa_exception_fp_ieee_inexact 0
		.amdhsa_exception_int_div_zero 0
	.end_amdhsa_kernel
	.section	.text._ZN9rocsparseL18bsrxmvn_4x4_kernelILj128ELj16E21rocsparse_complex_numIdEiiS2_S2_S2_EEvT3_20rocsparse_direction_NS_24const_host_device_scalarIT1_EES3_PKS3_PKT2_SC_S9_PKT4_PKT5_S7_PT6_21rocsparse_index_base_b,"axG",@progbits,_ZN9rocsparseL18bsrxmvn_4x4_kernelILj128ELj16E21rocsparse_complex_numIdEiiS2_S2_S2_EEvT3_20rocsparse_direction_NS_24const_host_device_scalarIT1_EES3_PKS3_PKT2_SC_S9_PKT4_PKT5_S7_PT6_21rocsparse_index_base_b,comdat
.Lfunc_end17:
	.size	_ZN9rocsparseL18bsrxmvn_4x4_kernelILj128ELj16E21rocsparse_complex_numIdEiiS2_S2_S2_EEvT3_20rocsparse_direction_NS_24const_host_device_scalarIT1_EES3_PKS3_PKT2_SC_S9_PKT4_PKT5_S7_PT6_21rocsparse_index_base_b, .Lfunc_end17-_ZN9rocsparseL18bsrxmvn_4x4_kernelILj128ELj16E21rocsparse_complex_numIdEiiS2_S2_S2_EEvT3_20rocsparse_direction_NS_24const_host_device_scalarIT1_EES3_PKS3_PKT2_SC_S9_PKT4_PKT5_S7_PT6_21rocsparse_index_base_b
                                        ; -- End function
	.section	.AMDGPU.csdata,"",@progbits
; Kernel info:
; codeLenInByte = 8192
; NumSgprs: 26
; NumVgprs: 118
; NumAgprs: 0
; TotalNumVgprs: 118
; ScratchSize: 0
; MemoryBound: 1
; FloatMode: 240
; IeeeMode: 1
; LDSByteSize: 2048 bytes/workgroup (compile time only)
; SGPRBlocks: 3
; VGPRBlocks: 14
; NumSGPRsForWavesPerEU: 26
; NumVGPRsForWavesPerEU: 118
; AccumOffset: 120
; Occupancy: 4
; WaveLimiterHint : 1
; COMPUTE_PGM_RSRC2:SCRATCH_EN: 0
; COMPUTE_PGM_RSRC2:USER_SGPR: 8
; COMPUTE_PGM_RSRC2:TRAP_HANDLER: 0
; COMPUTE_PGM_RSRC2:TGID_X_EN: 1
; COMPUTE_PGM_RSRC2:TGID_Y_EN: 0
; COMPUTE_PGM_RSRC2:TGID_Z_EN: 0
; COMPUTE_PGM_RSRC2:TIDIG_COMP_CNT: 2
; COMPUTE_PGM_RSRC3_GFX90A:ACCUM_OFFSET: 29
; COMPUTE_PGM_RSRC3_GFX90A:TG_SPLIT: 0
	.section	.text._ZN9rocsparseL18bsrxmvn_4x4_kernelILj128ELj32E21rocsparse_complex_numIdEiiS2_S2_S2_EEvT3_20rocsparse_direction_NS_24const_host_device_scalarIT1_EES3_PKS3_PKT2_SC_S9_PKT4_PKT5_S7_PT6_21rocsparse_index_base_b,"axG",@progbits,_ZN9rocsparseL18bsrxmvn_4x4_kernelILj128ELj32E21rocsparse_complex_numIdEiiS2_S2_S2_EEvT3_20rocsparse_direction_NS_24const_host_device_scalarIT1_EES3_PKS3_PKT2_SC_S9_PKT4_PKT5_S7_PT6_21rocsparse_index_base_b,comdat
	.globl	_ZN9rocsparseL18bsrxmvn_4x4_kernelILj128ELj32E21rocsparse_complex_numIdEiiS2_S2_S2_EEvT3_20rocsparse_direction_NS_24const_host_device_scalarIT1_EES3_PKS3_PKT2_SC_S9_PKT4_PKT5_S7_PT6_21rocsparse_index_base_b ; -- Begin function _ZN9rocsparseL18bsrxmvn_4x4_kernelILj128ELj32E21rocsparse_complex_numIdEiiS2_S2_S2_EEvT3_20rocsparse_direction_NS_24const_host_device_scalarIT1_EES3_PKS3_PKT2_SC_S9_PKT4_PKT5_S7_PT6_21rocsparse_index_base_b
	.p2align	8
	.type	_ZN9rocsparseL18bsrxmvn_4x4_kernelILj128ELj32E21rocsparse_complex_numIdEiiS2_S2_S2_EEvT3_20rocsparse_direction_NS_24const_host_device_scalarIT1_EES3_PKS3_PKT2_SC_S9_PKT4_PKT5_S7_PT6_21rocsparse_index_base_b,@function
_ZN9rocsparseL18bsrxmvn_4x4_kernelILj128ELj32E21rocsparse_complex_numIdEiiS2_S2_S2_EEvT3_20rocsparse_direction_NS_24const_host_device_scalarIT1_EES3_PKS3_PKT2_SC_S9_PKT4_PKT5_S7_PT6_21rocsparse_index_base_b: ; @_ZN9rocsparseL18bsrxmvn_4x4_kernelILj128ELj32E21rocsparse_complex_numIdEiiS2_S2_S2_EEvT3_20rocsparse_direction_NS_24const_host_device_scalarIT1_EES3_PKS3_PKT2_SC_S9_PKT4_PKT5_S7_PT6_21rocsparse_index_base_b
; %bb.0:
	s_load_dwordx2 s[20:21], s[6:7], 0x68
	s_load_dwordx4 s[12:15], s[6:7], 0x8
	s_load_dwordx2 s[10:11], s[4:5], 0x4
	s_load_dwordx4 s[16:19], s[6:7], 0x50
	s_mov_b64 s[2:3], src_shared_base
	v_bfe_u32 v2, v0, 10, 10
	s_waitcnt lgkmcnt(0)
	s_bitcmp1_b32 s21, 0
	s_cselect_b64 s[0:1], -1, 0
	s_and_b64 vcc, s[0:1], exec
	s_cselect_b32 s2, s3, s13
	s_lshr_b32 s4, s10, 16
	v_and_b32_e32 v1, 0x3ff, v0
	s_mul_i32 s4, s4, s11
	v_mul_u32_u24_e32 v2, s11, v2
	v_mad_u32_u24 v2, s4, v1, v2
	v_bfe_u32 v0, v0, 20, 10
	v_add_lshl_u32 v0, v2, v0, 3
	v_mov_b32_e32 v6, s12
	v_add_u32_e32 v7, 0x400, v0
	v_pk_mov_b32 v[2:3], s[12:13], s[12:13] op_sel:[0,1]
	v_pk_mov_b32 v[4:5], s[16:17], s[16:17] op_sel:[0,1]
	ds_write2st64_b64 v0, v[4:5], v[2:3] offset1:2
	v_cndmask_b32_e64 v2, v6, v7, s[0:1]
	v_mov_b32_e32 v3, s2
	flat_load_dwordx2 v[64:65], v[2:3]
	s_xor_b64 s[4:5], s[0:1], -1
	v_pk_mov_b32 v[66:67], s[14:15], s[14:15] op_sel:[0,1]
	s_cbranch_vccnz .LBB18_2
; %bb.1:
	v_pk_mov_b32 v[2:3], s[12:13], s[12:13] op_sel:[0,1]
	flat_load_dwordx2 v[66:67], v[2:3] offset:8
.LBB18_2:
	s_and_b64 s[10:11], s[0:1], exec
	s_cselect_b32 s2, s3, s17
	v_mov_b32_e32 v2, s16
	v_cndmask_b32_e64 v2, v2, v0, s[0:1]
	v_mov_b32_e32 v3, s2
	flat_load_dwordx2 v[60:61], v[2:3]
	s_andn2_b64 vcc, exec, s[4:5]
	v_pk_mov_b32 v[62:63], s[18:19], s[18:19] op_sel:[0,1]
	s_cbranch_vccnz .LBB18_4
; %bb.3:
	v_pk_mov_b32 v[2:3], s[16:17], s[16:17] op_sel:[0,1]
	flat_load_dwordx2 v[62:63], v[2:3] offset:8
.LBB18_4:
	s_waitcnt vmcnt(0) lgkmcnt(0)
	v_cmp_eq_f64_e32 vcc, 0, v[64:65]
	v_cmp_eq_f64_e64 s[0:1], 0, v[66:67]
	s_and_b64 s[4:5], vcc, s[0:1]
	s_mov_b64 s[0:1], -1
	s_and_saveexec_b64 s[2:3], s[4:5]
; %bb.5:
	v_cmp_neq_f64_e32 vcc, 1.0, v[60:61]
	v_cmp_neq_f64_e64 s[0:1], 0, v[62:63]
	s_or_b64 s[0:1], vcc, s[0:1]
	s_orn2_b64 s[0:1], s[0:1], exec
; %bb.6:
	s_or_b64 exec, exec, s[2:3]
	s_and_saveexec_b64 s[2:3], s[0:1]
	s_cbranch_execz .LBB18_12
; %bb.7:
	s_load_dwordx2 s[4:5], s[6:7], 0x20
	s_load_dwordx2 s[0:1], s[6:7], 0x0
	v_lshrrev_b32_e32 v0, 5, v1
	v_lshl_or_b32 v68, s8, 2, v0
	s_mov_b64 s[2:3], 0
	s_waitcnt lgkmcnt(0)
	s_cmp_lg_u64 s[4:5], 0
	s_cbranch_scc0 .LBB18_13
; %bb.8:
	s_load_dword s8, s[6:7], 0x18
                                        ; implicit-def: $vgpr0
	s_waitcnt lgkmcnt(0)
	v_cmp_gt_i32_e32 vcc, s8, v68
	s_and_saveexec_b64 s[8:9], vcc
	s_xor_b64 s[8:9], exec, s[8:9]
	s_cbranch_execz .LBB18_10
; %bb.9:
	v_ashrrev_i32_e32 v69, 31, v68
	v_lshlrev_b64 v[2:3], 2, v[68:69]
	v_mov_b32_e32 v0, s5
	v_add_co_u32_e32 v2, vcc, s4, v2
	v_addc_co_u32_e32 v3, vcc, v0, v3, vcc
	global_load_dword v0, v[2:3], off
	s_mov_b64 s[2:3], exec
	s_waitcnt vmcnt(0)
	v_subrev_u32_e32 v0, s20, v0
.LBB18_10:
	s_or_b64 exec, exec, s[8:9]
	s_branch .LBB18_14
.LBB18_11:
	v_cmp_gt_i32_e32 vcc, s0, v68
	s_andn2_b64 s[2:3], s[2:3], exec
	s_and_b64 s[4:5], vcc, exec
	s_or_b64 s[2:3], s[2:3], s[4:5]
	s_and_b64 exec, exec, s[2:3]
	s_cbranch_execnz .LBB18_15
.LBB18_12:
	s_endpgm
.LBB18_13:
                                        ; implicit-def: $vgpr0
	s_cbranch_execnz .LBB18_11
.LBB18_14:
	v_mov_b32_e32 v68, v0
	s_and_b64 exec, exec, s[2:3]
	s_cbranch_execz .LBB18_12
.LBB18_15:
	s_load_dwordx8 s[8:15], s[6:7], 0x28
	v_ashrrev_i32_e32 v69, 31, v68
	v_lshlrev_b64 v[2:3], 2, v[68:69]
	v_and_b32_e32 v69, 31, v1
	s_load_dwordx2 s[4:5], s[6:7], 0x48
	s_waitcnt lgkmcnt(0)
	v_mov_b32_e32 v0, s9
	v_add_co_u32_e32 v4, vcc, s8, v2
	v_addc_co_u32_e32 v5, vcc, v0, v3, vcc
	v_add_co_u32_e32 v0, vcc, 4, v4
	global_load_dword v26, v[4:5], off
	v_addc_co_u32_e32 v4, vcc, 0, v5, vcc
	v_mov_b32_e32 v5, s11
	v_add_co_u32_e32 v2, vcc, s10, v2
	s_cmp_eq_u64 s[10:11], 0
	v_addc_co_u32_e32 v3, vcc, v5, v3, vcc
	s_cselect_b64 vcc, -1, 0
	v_cndmask_b32_e32 v3, v3, v4, vcc
	v_cndmask_b32_e32 v2, v2, v0, vcc
	global_load_dword v0, v[2:3], off
	v_mov_b32_e32 v2, s15
	s_cmp_eq_u32 s1, 1
	s_waitcnt vmcnt(1)
	v_subrev_u32_e32 v1, s20, v26
	v_add_u32_e32 v78, v1, v69
	v_ashrrev_i32_e32 v79, 31, v78
	s_waitcnt vmcnt(0)
	v_subrev_u32_e32 v90, s20, v0
	v_lshlrev_b64 v[0:1], 8, v[78:79]
	v_add_co_u32_e32 v80, vcc, s14, v0
	v_addc_co_u32_e32 v81, vcc, v2, v1, vcc
	v_cmp_lt_i32_e64 s[0:1], v78, v90
	s_cbranch_scc1 .LBB18_27
; %bb.16:
	v_pk_mov_b32 v[76:77], 0, 0
	s_mov_b64 s[8:9], 0
	v_pk_mov_b32 v[58:59], v[76:77], v[76:77] op_sel:[0,1]
	v_pk_mov_b32 v[52:53], v[76:77], v[76:77] op_sel:[0,1]
	;; [unrolled: 1-line block ×7, first 2 shown]
	s_and_saveexec_b64 s[10:11], s[0:1]
	s_cbranch_execz .LBB18_26
; %bb.17:
	v_add_u32_e32 v0, v26, v69
	v_subrev_u32_e32 v0, s20, v0
	v_add_u32_e32 v0, 32, v0
	v_max_i32_e32 v0, v0, v90
	v_not_b32_e32 v1, v26
	v_add3_u32 v0, v0, s20, v1
	v_sub_u32_e32 v12, v0, v69
	v_lshrrev_b32_e32 v0, 5, v12
	v_add_u32_e32 v0, 1, v0
	v_and_b32_e32 v0, 3, v0
	v_pk_mov_b32 v[74:75], 0, 0
	v_cmp_ne_u32_e32 vcc, 0, v0
	v_pk_mov_b32 v[56:57], v[74:75], v[74:75] op_sel:[0,1]
	v_pk_mov_b32 v[72:73], v[74:75], v[74:75] op_sel:[0,1]
	;; [unrolled: 1-line block ×8, first 2 shown]
	v_mov_b32_e32 v16, v78
	s_and_saveexec_b64 s[2:3], vcc
	s_cbranch_execz .LBB18_21
; %bb.18:
	v_pk_mov_b32 v[76:77], 0, 0
	v_lshlrev_b32_e32 v13, 8, v0
	s_mov_b64 s[14:15], 0
	v_mov_b32_e32 v14, s13
	v_mov_b32_e32 v15, s5
	v_mov_b32_e32 v16, v78
	v_pk_mov_b32 v[18:19], v[80:81], v[80:81] op_sel:[0,1]
	v_pk_mov_b32 v[58:59], v[76:77], v[76:77] op_sel:[0,1]
	;; [unrolled: 1-line block ×8, first 2 shown]
.LBB18_19:                              ; =>This Inner Loop Header: Depth=1
	v_ashrrev_i32_e32 v17, 31, v16
	v_lshlrev_b64 v[24:25], 2, v[16:17]
	v_add_co_u32_e32 v24, vcc, s12, v24
	v_addc_co_u32_e32 v25, vcc, v14, v25, vcc
	global_load_dwordx4 v[0:3], v[18:19], off offset:16
	global_load_dwordx4 v[4:7], v[18:19], off
	global_load_dwordx4 v[8:11], v[18:19], off offset:80
	global_load_dwordx4 v[20:23], v[18:19], off offset:64
	;; [unrolled: 1-line block ×12, first 2 shown]
	global_load_dword v17, v[24:25], off
	v_add_u32_e32 v13, 0xffffff00, v13
	v_add_u32_e32 v16, 32, v16
	s_waitcnt vmcnt(0)
	v_subrev_u32_e32 v17, s20, v17
	v_lshlrev_b32_e32 v24, 2, v17
	v_ashrrev_i32_e32 v25, 31, v24
	v_lshlrev_b64 v[24:25], 4, v[24:25]
	v_add_co_u32_e32 v24, vcc, s4, v24
	v_addc_co_u32_e32 v25, vcc, v15, v25, vcc
	global_load_dwordx4 v[100:103], v[24:25], off
	global_load_dwordx4 v[104:107], v[24:25], off offset:16
	s_waitcnt vmcnt(1)
	v_fmac_f64_e32 v[58:59], v[4:5], v[100:101]
	v_fmac_f64_e32 v[76:77], v[6:7], v[100:101]
	v_fma_f64 v[58:59], -v[6:7], v[102:103], v[58:59]
	v_fmac_f64_e32 v[76:77], v[4:5], v[102:103]
	global_load_dwordx4 v[4:7], v[18:19], off offset:224
	v_fmac_f64_e32 v[56:57], v[20:21], v[100:101]
	v_fmac_f64_e32 v[74:75], v[22:23], v[100:101]
	;; [unrolled: 1-line block ×4, first 2 shown]
	v_fma_f64 v[56:57], -v[22:23], v[102:103], v[56:57]
	v_fmac_f64_e32 v[74:75], v[20:21], v[102:103]
	global_load_dwordx4 v[20:23], v[18:19], off offset:240
	v_fma_f64 v[54:55], -v[34:35], v[102:103], v[54:55]
	v_fmac_f64_e32 v[72:73], v[32:33], v[102:103]
	global_load_dwordx4 v[32:35], v[24:25], off offset:32
	global_load_dwordx4 v[108:111], v[24:25], off offset:48
	v_fmac_f64_e32 v[52:53], v[36:37], v[100:101]
	v_fmac_f64_e32 v[70:71], v[38:39], v[100:101]
	v_fma_f64 v[24:25], -v[38:39], v[102:103], v[52:53]
	v_fmac_f64_e32 v[70:71], v[36:37], v[102:103]
	s_waitcnt vmcnt(4)
	v_fmac_f64_e32 v[58:59], v[0:1], v[104:105]
	v_fmac_f64_e32 v[76:77], v[2:3], v[104:105]
	;; [unrolled: 1-line block ×8, first 2 shown]
	v_fma_f64 v[2:3], -v[2:3], v[106:107], v[58:59]
	v_fmac_f64_e32 v[76:77], v[0:1], v[106:107]
	v_fma_f64 v[0:1], -v[10:11], v[106:107], v[56:57]
	v_fmac_f64_e32 v[74:75], v[8:9], v[106:107]
	;; [unrolled: 2-line block ×4, first 2 shown]
	v_add_co_u32_e32 v18, vcc, 0x2000, v18
	v_addc_co_u32_e32 v19, vcc, 0, v19, vcc
	v_cmp_eq_u32_e32 vcc, 0, v13
	s_or_b64 s[14:15], vcc, s[14:15]
	s_waitcnt vmcnt(1)
	v_fmac_f64_e32 v[2:3], v[48:49], v[32:33]
	v_fmac_f64_e32 v[76:77], v[50:51], v[32:33]
	;; [unrolled: 1-line block ×8, first 2 shown]
	v_fma_f64 v[2:3], -v[50:51], v[34:35], v[2:3]
	v_fmac_f64_e32 v[76:77], v[48:49], v[34:35]
	v_fma_f64 v[0:1], -v[88:89], v[34:35], v[0:1]
	v_fmac_f64_e32 v[74:75], v[86:87], v[34:35]
	;; [unrolled: 2-line block ×4, first 2 shown]
	s_waitcnt vmcnt(0)
	v_fmac_f64_e32 v[2:3], v[44:45], v[108:109]
	v_fmac_f64_e32 v[76:77], v[46:47], v[108:109]
	;; [unrolled: 1-line block ×8, first 2 shown]
	v_fma_f64 v[58:59], -v[46:47], v[110:111], v[2:3]
	v_fmac_f64_e32 v[76:77], v[44:45], v[110:111]
	v_fma_f64 v[56:57], -v[84:85], v[110:111], v[0:1]
	v_fmac_f64_e32 v[74:75], v[82:83], v[110:111]
	;; [unrolled: 2-line block ×4, first 2 shown]
	s_andn2_b64 exec, exec, s[14:15]
	s_cbranch_execnz .LBB18_19
; %bb.20:
	s_or_b64 exec, exec, s[14:15]
.LBB18_21:
	s_or_b64 exec, exec, s[2:3]
	s_movk_i32 s2, 0x5f
	v_cmp_lt_u32_e32 vcc, s2, v12
	s_and_saveexec_b64 s[14:15], vcc
	s_cbranch_execz .LBB18_25
; %bb.22:
	s_mov_b64 s[16:17], 0
	v_mov_b32_e32 v27, s13
	v_mov_b32_e32 v28, s5
	s_movk_i32 s18, 0x2000
	s_movk_i32 s19, 0x4000
	;; [unrolled: 1-line block ×3, first 2 shown]
.LBB18_23:                              ; =>This Inner Loop Header: Depth=1
	v_ashrrev_i32_e32 v17, 31, v16
	v_lshlrev_b64 v[0:1], 2, v[16:17]
	v_add_co_u32_e32 v20, vcc, s12, v0
	v_addc_co_u32_e32 v21, vcc, v27, v1, vcc
	global_load_dword v0, v[20:21], off
	global_load_dwordx4 v[30:33], v[18:19], off offset:48
	global_load_dwordx4 v[22:25], v[18:19], off offset:32
	;; [unrolled: 1-line block ×3, first 2 shown]
	global_load_dwordx4 v[38:41], v[18:19], off
	v_add_u32_e32 v16, 0x80, v16
	v_cmp_ge_i32_e64 s[2:3], v16, v90
	s_or_b64 s[16:17], s[2:3], s[16:17]
	s_waitcnt vmcnt(4)
	v_subrev_u32_e32 v0, s20, v0
	v_lshlrev_b32_e32 v0, 2, v0
	v_ashrrev_i32_e32 v1, 31, v0
	v_lshlrev_b64 v[0:1], 4, v[0:1]
	v_add_co_u32_e32 v42, vcc, s4, v0
	v_addc_co_u32_e32 v43, vcc, v28, v1, vcc
	global_load_dwordx4 v[0:3], v[42:43], off offset:48
	global_load_dwordx4 v[4:7], v[42:43], off offset:32
	;; [unrolled: 1-line block ×3, first 2 shown]
	global_load_dwordx4 v[12:15], v[42:43], off
	s_waitcnt vmcnt(0)
	v_fmac_f64_e32 v[58:59], v[38:39], v[12:13]
	v_fmac_f64_e32 v[76:77], v[40:41], v[12:13]
	v_fma_f64 v[42:43], -v[40:41], v[14:15], v[58:59]
	v_fmac_f64_e32 v[76:77], v[38:39], v[14:15]
	v_fmac_f64_e32 v[42:43], v[34:35], v[8:9]
	v_fmac_f64_e32 v[76:77], v[36:37], v[8:9]
	v_fma_f64 v[38:39], -v[36:37], v[10:11], v[42:43]
	v_fmac_f64_e32 v[76:77], v[34:35], v[10:11]
	v_fmac_f64_e32 v[38:39], v[22:23], v[4:5]
	v_fmac_f64_e32 v[76:77], v[24:25], v[4:5]
	v_fma_f64 v[34:35], -v[24:25], v[6:7], v[38:39]
	v_fmac_f64_e32 v[76:77], v[22:23], v[6:7]
	v_fmac_f64_e32 v[34:35], v[30:31], v[0:1]
	v_fmac_f64_e32 v[76:77], v[32:33], v[0:1]
	v_fma_f64 v[22:23], -v[32:33], v[2:3], v[34:35]
	v_fmac_f64_e32 v[76:77], v[30:31], v[2:3]
	global_load_dwordx4 v[30:33], v[18:19], off offset:112
	global_load_dwordx4 v[34:37], v[18:19], off offset:96
	global_load_dwordx4 v[38:41], v[18:19], off offset:80
	global_load_dwordx4 v[42:45], v[18:19], off offset:64
	s_waitcnt vmcnt(0)
	v_fmac_f64_e32 v[56:57], v[42:43], v[12:13]
	v_fmac_f64_e32 v[74:75], v[44:45], v[12:13]
	v_fma_f64 v[24:25], -v[44:45], v[14:15], v[56:57]
	v_fmac_f64_e32 v[74:75], v[42:43], v[14:15]
	v_fmac_f64_e32 v[24:25], v[38:39], v[8:9]
	v_fmac_f64_e32 v[74:75], v[40:41], v[8:9]
	v_fma_f64 v[24:25], -v[40:41], v[10:11], v[24:25]
	v_fmac_f64_e32 v[74:75], v[38:39], v[10:11]
	v_fmac_f64_e32 v[24:25], v[34:35], v[4:5]
	v_fmac_f64_e32 v[74:75], v[36:37], v[4:5]
	v_fma_f64 v[24:25], -v[36:37], v[6:7], v[24:25]
	v_fmac_f64_e32 v[74:75], v[34:35], v[6:7]
	v_fmac_f64_e32 v[24:25], v[30:31], v[0:1]
	v_fmac_f64_e32 v[74:75], v[32:33], v[0:1]
	v_fma_f64 v[24:25], -v[32:33], v[2:3], v[24:25]
	v_fmac_f64_e32 v[74:75], v[30:31], v[2:3]
	global_load_dwordx4 v[30:33], v[18:19], off offset:176
	global_load_dwordx4 v[34:37], v[18:19], off offset:160
	global_load_dwordx4 v[38:41], v[18:19], off offset:144
	global_load_dwordx4 v[42:45], v[18:19], off offset:128
	;; [unrolled: 21-line block ×3, first 2 shown]
	v_add_co_u32_e32 v54, vcc, s18, v18
	v_addc_co_u32_e32 v55, vcc, 0, v19, vcc
	s_waitcnt vmcnt(0)
	v_fmac_f64_e32 v[52:53], v[42:43], v[12:13]
	v_fmac_f64_e32 v[70:71], v[44:45], v[12:13]
	v_fma_f64 v[46:47], -v[44:45], v[14:15], v[52:53]
	v_fmac_f64_e32 v[70:71], v[42:43], v[14:15]
	v_fmac_f64_e32 v[46:47], v[38:39], v[8:9]
	v_fmac_f64_e32 v[70:71], v[40:41], v[8:9]
	v_fma_f64 v[12:13], -v[40:41], v[10:11], v[46:47]
	v_fmac_f64_e32 v[70:71], v[38:39], v[10:11]
	;; [unrolled: 4-line block ×3, first 2 shown]
	v_fmac_f64_e32 v[8:9], v[30:31], v[0:1]
	v_fmac_f64_e32 v[70:71], v[32:33], v[0:1]
	global_load_dword v0, v[20:21], off offset:128
	v_fmac_f64_e32 v[70:71], v[30:31], v[2:3]
	v_fma_f64 v[52:53], -v[32:33], v[2:3], v[8:9]
	s_waitcnt vmcnt(0)
	v_subrev_u32_e32 v0, s20, v0
	v_lshlrev_b32_e32 v30, 2, v0
	v_ashrrev_i32_e32 v31, 31, v30
	v_lshlrev_b64 v[30:31], 4, v[30:31]
	v_add_co_u32_e32 v46, vcc, s4, v30
	v_addc_co_u32_e32 v47, vcc, v28, v31, vcc
	global_load_dwordx4 v[0:3], v[54:55], off
	global_load_dwordx4 v[4:7], v[54:55], off offset:48
	global_load_dwordx4 v[8:11], v[54:55], off offset:32
	;; [unrolled: 1-line block ×6, first 2 shown]
	global_load_dwordx4 v[42:45], v[46:47], off
	s_waitcnt vmcnt(0)
	v_fmac_f64_e32 v[22:23], v[0:1], v[42:43]
	v_fmac_f64_e32 v[76:77], v[2:3], v[42:43]
	v_fma_f64 v[22:23], -v[2:3], v[44:45], v[22:23]
	v_fmac_f64_e32 v[76:77], v[0:1], v[44:45]
	v_fmac_f64_e32 v[22:23], v[12:13], v[38:39]
	v_fmac_f64_e32 v[76:77], v[14:15], v[38:39]
	v_fma_f64 v[0:1], -v[14:15], v[40:41], v[22:23]
	v_fmac_f64_e32 v[76:77], v[12:13], v[40:41]
	;; [unrolled: 4-line block ×4, first 2 shown]
	global_load_dwordx4 v[4:7], v[54:55], off offset:112
	global_load_dwordx4 v[8:11], v[54:55], off offset:96
	;; [unrolled: 1-line block ×4, first 2 shown]
	s_waitcnt vmcnt(0)
	v_fmac_f64_e32 v[24:25], v[46:47], v[42:43]
	v_fma_f64 v[2:3], -v[48:49], v[44:45], v[24:25]
	v_fmac_f64_e32 v[74:75], v[48:49], v[42:43]
	v_fmac_f64_e32 v[74:75], v[46:47], v[44:45]
	v_fmac_f64_e32 v[2:3], v[12:13], v[38:39]
	v_fma_f64 v[2:3], -v[14:15], v[40:41], v[2:3]
	v_fmac_f64_e32 v[74:75], v[14:15], v[38:39]
	v_fmac_f64_e32 v[74:75], v[12:13], v[40:41]
	;; [unrolled: 4-line block ×3, first 2 shown]
	v_fmac_f64_e32 v[2:3], v[4:5], v[30:31]
	v_fma_f64 v[2:3], -v[6:7], v[32:33], v[2:3]
	v_fmac_f64_e32 v[74:75], v[6:7], v[30:31]
	global_load_dwordx4 v[6:9], v[54:55], off offset:176
	global_load_dwordx4 v[10:13], v[54:55], off offset:160
	;; [unrolled: 1-line block ×4, first 2 shown]
	v_fmac_f64_e32 v[74:75], v[4:5], v[32:33]
	s_waitcnt vmcnt(0)
	v_fmac_f64_e32 v[50:51], v[46:47], v[42:43]
	v_fma_f64 v[4:5], -v[48:49], v[44:45], v[50:51]
	v_fmac_f64_e32 v[72:73], v[48:49], v[42:43]
	v_fmac_f64_e32 v[72:73], v[46:47], v[44:45]
	v_fmac_f64_e32 v[4:5], v[22:23], v[38:39]
	v_fma_f64 v[4:5], -v[24:25], v[40:41], v[4:5]
	v_fmac_f64_e32 v[72:73], v[24:25], v[38:39]
	v_fmac_f64_e32 v[72:73], v[22:23], v[40:41]
	;; [unrolled: 4-line block ×3, first 2 shown]
	v_fmac_f64_e32 v[4:5], v[6:7], v[30:31]
	v_fma_f64 v[4:5], -v[8:9], v[32:33], v[4:5]
	v_fmac_f64_e32 v[72:73], v[8:9], v[30:31]
	global_load_dwordx4 v[8:11], v[54:55], off offset:240
	global_load_dwordx4 v[12:15], v[54:55], off offset:224
	;; [unrolled: 1-line block ×4, first 2 shown]
	v_fmac_f64_e32 v[72:73], v[6:7], v[32:33]
	v_add_co_u32_e32 v54, vcc, s19, v18
	v_addc_co_u32_e32 v55, vcc, 0, v19, vcc
	s_waitcnt vmcnt(0)
	v_fmac_f64_e32 v[70:71], v[48:49], v[42:43]
	v_fmac_f64_e32 v[52:53], v[46:47], v[42:43]
	v_fmac_f64_e32 v[70:71], v[46:47], v[44:45]
	v_fma_f64 v[6:7], -v[48:49], v[44:45], v[52:53]
	v_fmac_f64_e32 v[70:71], v[24:25], v[38:39]
	v_fmac_f64_e32 v[6:7], v[22:23], v[38:39]
	v_fmac_f64_e32 v[70:71], v[22:23], v[40:41]
	v_fma_f64 v[6:7], -v[24:25], v[40:41], v[6:7]
	;; [unrolled: 4-line block ×3, first 2 shown]
	v_fmac_f64_e32 v[70:71], v[10:11], v[30:31]
	v_fmac_f64_e32 v[6:7], v[8:9], v[30:31]
	;; [unrolled: 1-line block ×3, first 2 shown]
	global_load_dword v8, v[20:21], off offset:256
	v_fma_f64 v[6:7], -v[10:11], v[32:33], v[6:7]
	global_load_dwordx4 v[10:13], v[54:55], off
	global_load_dwordx4 v[22:25], v[54:55], off offset:48
	global_load_dwordx4 v[30:33], v[54:55], off offset:32
	;; [unrolled: 1-line block ×3, first 2 shown]
	s_waitcnt vmcnt(4)
	v_subrev_u32_e32 v8, s20, v8
	v_lshlrev_b32_e32 v8, 2, v8
	v_ashrrev_i32_e32 v9, 31, v8
	v_lshlrev_b64 v[8:9], 4, v[8:9]
	v_add_co_u32_e32 v8, vcc, s4, v8
	v_addc_co_u32_e32 v9, vcc, v28, v9, vcc
	global_load_dwordx4 v[38:41], v[8:9], off offset:48
	global_load_dwordx4 v[42:45], v[8:9], off offset:32
	;; [unrolled: 1-line block ×3, first 2 shown]
	global_load_dwordx4 v[50:53], v[8:9], off
	s_waitcnt vmcnt(0)
	v_fmac_f64_e32 v[0:1], v[10:11], v[50:51]
	v_fmac_f64_e32 v[76:77], v[12:13], v[50:51]
	v_fma_f64 v[0:1], -v[12:13], v[52:53], v[0:1]
	v_fmac_f64_e32 v[76:77], v[10:11], v[52:53]
	v_fmac_f64_e32 v[0:1], v[34:35], v[46:47]
	v_fmac_f64_e32 v[76:77], v[36:37], v[46:47]
	v_fma_f64 v[0:1], -v[36:37], v[48:49], v[0:1]
	v_fmac_f64_e32 v[76:77], v[34:35], v[48:49]
	v_fmac_f64_e32 v[0:1], v[30:31], v[42:43]
	v_fmac_f64_e32 v[76:77], v[32:33], v[42:43]
	v_fma_f64 v[0:1], -v[32:33], v[44:45], v[0:1]
	v_fmac_f64_e32 v[76:77], v[30:31], v[44:45]
	v_fmac_f64_e32 v[0:1], v[22:23], v[38:39]
	v_fmac_f64_e32 v[76:77], v[24:25], v[38:39]
	v_fma_f64 v[0:1], -v[24:25], v[40:41], v[0:1]
	v_fmac_f64_e32 v[76:77], v[22:23], v[40:41]
	global_load_dwordx4 v[8:11], v[54:55], off offset:112
	global_load_dwordx4 v[12:15], v[54:55], off offset:96
	global_load_dwordx4 v[22:25], v[54:55], off offset:80
	global_load_dwordx4 v[30:33], v[54:55], off offset:64
	s_waitcnt vmcnt(0)
	v_fmac_f64_e32 v[2:3], v[30:31], v[50:51]
	v_fmac_f64_e32 v[74:75], v[32:33], v[50:51]
	v_fma_f64 v[2:3], -v[32:33], v[52:53], v[2:3]
	v_fmac_f64_e32 v[74:75], v[30:31], v[52:53]
	v_fmac_f64_e32 v[2:3], v[22:23], v[46:47]
	v_fmac_f64_e32 v[74:75], v[24:25], v[46:47]
	v_fma_f64 v[2:3], -v[24:25], v[48:49], v[2:3]
	v_fmac_f64_e32 v[74:75], v[22:23], v[48:49]
	v_fmac_f64_e32 v[2:3], v[12:13], v[42:43]
	v_fmac_f64_e32 v[74:75], v[14:15], v[42:43]
	v_fma_f64 v[2:3], -v[14:15], v[44:45], v[2:3]
	v_fmac_f64_e32 v[74:75], v[12:13], v[44:45]
	v_fmac_f64_e32 v[2:3], v[8:9], v[38:39]
	v_fmac_f64_e32 v[74:75], v[10:11], v[38:39]
	v_fma_f64 v[2:3], -v[10:11], v[40:41], v[2:3]
	v_fmac_f64_e32 v[74:75], v[8:9], v[40:41]
	global_load_dwordx4 v[8:11], v[54:55], off offset:176
	global_load_dwordx4 v[12:15], v[54:55], off offset:160
	global_load_dwordx4 v[22:25], v[54:55], off offset:144
	global_load_dwordx4 v[30:33], v[54:55], off offset:128
	;; [unrolled: 21-line block ×3, first 2 shown]
	s_waitcnt vmcnt(0)
	v_fmac_f64_e32 v[70:71], v[32:33], v[50:51]
	v_fmac_f64_e32 v[6:7], v[30:31], v[50:51]
	v_fmac_f64_e32 v[70:71], v[30:31], v[52:53]
	v_fma_f64 v[6:7], -v[32:33], v[52:53], v[6:7]
	v_fmac_f64_e32 v[70:71], v[24:25], v[46:47]
	v_fmac_f64_e32 v[6:7], v[22:23], v[46:47]
	v_fmac_f64_e32 v[70:71], v[22:23], v[48:49]
	v_fma_f64 v[6:7], -v[24:25], v[48:49], v[6:7]
	;; [unrolled: 4-line block ×3, first 2 shown]
	v_fmac_f64_e32 v[70:71], v[10:11], v[38:39]
	v_fmac_f64_e32 v[6:7], v[8:9], v[38:39]
	;; [unrolled: 1-line block ×3, first 2 shown]
	global_load_dword v8, v[20:21], off offset:384
	v_add_co_u32_e32 v24, vcc, s21, v18
	v_addc_co_u32_e32 v25, vcc, 0, v19, vcc
	v_fma_f64 v[6:7], -v[10:11], v[40:41], v[6:7]
	global_load_dwordx4 v[10:13], v[24:25], off
	global_load_dwordx4 v[20:23], v[24:25], off offset:48
	global_load_dwordx4 v[30:33], v[24:25], off offset:32
	;; [unrolled: 1-line block ×3, first 2 shown]
	s_waitcnt vmcnt(4)
	v_subrev_u32_e32 v8, s20, v8
	v_lshlrev_b32_e32 v8, 2, v8
	v_ashrrev_i32_e32 v9, 31, v8
	v_lshlrev_b64 v[8:9], 4, v[8:9]
	v_add_co_u32_e32 v8, vcc, s4, v8
	v_addc_co_u32_e32 v9, vcc, v28, v9, vcc
	global_load_dwordx4 v[38:41], v[8:9], off offset:48
	global_load_dwordx4 v[42:45], v[8:9], off offset:32
	;; [unrolled: 1-line block ×3, first 2 shown]
	global_load_dwordx4 v[50:53], v[8:9], off
	v_add_co_u32_e32 v18, vcc, 0x8000, v18
	v_addc_co_u32_e32 v19, vcc, 0, v19, vcc
	s_waitcnt vmcnt(0)
	v_fmac_f64_e32 v[0:1], v[10:11], v[50:51]
	v_fmac_f64_e32 v[76:77], v[12:13], v[50:51]
	v_fma_f64 v[0:1], -v[12:13], v[52:53], v[0:1]
	v_fmac_f64_e32 v[76:77], v[10:11], v[52:53]
	v_fmac_f64_e32 v[0:1], v[34:35], v[46:47]
	v_fmac_f64_e32 v[76:77], v[36:37], v[46:47]
	v_fma_f64 v[0:1], -v[36:37], v[48:49], v[0:1]
	v_fmac_f64_e32 v[76:77], v[34:35], v[48:49]
	v_fmac_f64_e32 v[0:1], v[30:31], v[42:43]
	v_fmac_f64_e32 v[76:77], v[32:33], v[42:43]
	v_fma_f64 v[0:1], -v[32:33], v[44:45], v[0:1]
	v_fmac_f64_e32 v[76:77], v[30:31], v[44:45]
	v_fmac_f64_e32 v[0:1], v[20:21], v[38:39]
	v_fmac_f64_e32 v[76:77], v[22:23], v[38:39]
	v_fma_f64 v[58:59], -v[22:23], v[40:41], v[0:1]
	v_fmac_f64_e32 v[76:77], v[20:21], v[40:41]
	global_load_dwordx4 v[8:11], v[24:25], off offset:112
	global_load_dwordx4 v[12:15], v[24:25], off offset:96
	global_load_dwordx4 v[20:23], v[24:25], off offset:80
	global_load_dwordx4 v[30:33], v[24:25], off offset:64
	s_waitcnt vmcnt(0)
	v_fmac_f64_e32 v[2:3], v[30:31], v[50:51]
	v_fmac_f64_e32 v[74:75], v[32:33], v[50:51]
	v_fma_f64 v[0:1], -v[32:33], v[52:53], v[2:3]
	v_fmac_f64_e32 v[74:75], v[30:31], v[52:53]
	v_fmac_f64_e32 v[0:1], v[20:21], v[46:47]
	v_fmac_f64_e32 v[74:75], v[22:23], v[46:47]
	v_fma_f64 v[0:1], -v[22:23], v[48:49], v[0:1]
	v_fmac_f64_e32 v[74:75], v[20:21], v[48:49]
	v_fmac_f64_e32 v[0:1], v[12:13], v[42:43]
	v_fmac_f64_e32 v[74:75], v[14:15], v[42:43]
	v_fma_f64 v[0:1], -v[14:15], v[44:45], v[0:1]
	v_fmac_f64_e32 v[74:75], v[12:13], v[44:45]
	v_fmac_f64_e32 v[0:1], v[8:9], v[38:39]
	v_fmac_f64_e32 v[74:75], v[10:11], v[38:39]
	v_fma_f64 v[56:57], -v[10:11], v[40:41], v[0:1]
	v_fmac_f64_e32 v[74:75], v[8:9], v[40:41]
	global_load_dwordx4 v[0:3], v[24:25], off offset:176
	global_load_dwordx4 v[8:11], v[24:25], off offset:160
	global_load_dwordx4 v[12:15], v[24:25], off offset:144
	global_load_dwordx4 v[20:23], v[24:25], off offset:128
	;; [unrolled: 21-line block ×3, first 2 shown]
	s_waitcnt vmcnt(0)
	v_fmac_f64_e32 v[6:7], v[20:21], v[50:51]
	v_fmac_f64_e32 v[70:71], v[22:23], v[50:51]
	v_fma_f64 v[4:5], -v[22:23], v[52:53], v[6:7]
	v_fmac_f64_e32 v[70:71], v[20:21], v[52:53]
	v_fmac_f64_e32 v[4:5], v[12:13], v[46:47]
	v_fmac_f64_e32 v[70:71], v[14:15], v[46:47]
	v_fma_f64 v[4:5], -v[14:15], v[48:49], v[4:5]
	v_fmac_f64_e32 v[70:71], v[12:13], v[48:49]
	;; [unrolled: 4-line block ×4, first 2 shown]
	s_andn2_b64 exec, exec, s[16:17]
	s_cbranch_execnz .LBB18_23
; %bb.24:
	s_or_b64 exec, exec, s[16:17]
.LBB18_25:
	s_or_b64 exec, exec, s[14:15]
.LBB18_26:
	s_or_b64 exec, exec, s[10:11]
	s_andn2_b64 vcc, exec, s[8:9]
	s_cbranch_vccz .LBB18_28
	s_branch .LBB18_39
.LBB18_27:
                                        ; implicit-def: $vgpr76_vgpr77
                                        ; implicit-def: $vgpr58_vgpr59
                                        ; implicit-def: $vgpr52_vgpr53
                                        ; implicit-def: $vgpr70_vgpr71
                                        ; implicit-def: $vgpr54_vgpr55
                                        ; implicit-def: $vgpr72_vgpr73
                                        ; implicit-def: $vgpr56_vgpr57
                                        ; implicit-def: $vgpr74_vgpr75
.LBB18_28:
	v_pk_mov_b32 v[76:77], 0, 0
	v_pk_mov_b32 v[58:59], v[76:77], v[76:77] op_sel:[0,1]
	v_pk_mov_b32 v[52:53], v[76:77], v[76:77] op_sel:[0,1]
	;; [unrolled: 1-line block ×7, first 2 shown]
	s_and_saveexec_b64 s[8:9], s[0:1]
	s_cbranch_execz .LBB18_38
; %bb.29:
	v_add_u32_e32 v0, v26, v69
	v_subrev_u32_e32 v0, s20, v0
	v_add_u32_e32 v0, 32, v0
	v_max_i32_e32 v0, v0, v90
	v_not_b32_e32 v1, v26
	v_add3_u32 v0, v0, s20, v1
	v_sub_u32_e32 v0, v0, v69
	v_lshrrev_b32_e32 v1, 5, v0
	v_add_u32_e32 v1, 1, v1
	v_and_b32_e32 v1, 3, v1
	v_pk_mov_b32 v[74:75], 0, 0
	v_cmp_ne_u32_e32 vcc, 0, v1
	v_pk_mov_b32 v[56:57], v[74:75], v[74:75] op_sel:[0,1]
	v_pk_mov_b32 v[72:73], v[74:75], v[74:75] op_sel:[0,1]
	;; [unrolled: 1-line block ×7, first 2 shown]
	s_and_saveexec_b64 s[0:1], vcc
	s_cbranch_execz .LBB18_33
; %bb.30:
	v_pk_mov_b32 v[76:77], 0, 0
	v_lshlrev_b32_e32 v1, 8, v1
	s_mov_b64 s[2:3], 0
	v_mov_b32_e32 v2, s13
	v_mov_b32_e32 v3, s5
	v_pk_mov_b32 v[58:59], v[76:77], v[76:77] op_sel:[0,1]
	v_pk_mov_b32 v[52:53], v[76:77], v[76:77] op_sel:[0,1]
	;; [unrolled: 1-line block ×7, first 2 shown]
.LBB18_31:                              ; =>This Inner Loop Header: Depth=1
	v_ashrrev_i32_e32 v79, 31, v78
	v_lshlrev_b64 v[4:5], 2, v[78:79]
	v_add_co_u32_e32 v92, vcc, s12, v4
	v_addc_co_u32_e32 v93, vcc, v2, v5, vcc
	global_load_dword v79, v[92:93], off
	global_load_dwordx4 v[4:7], v[80:81], off offset:48
	global_load_dwordx4 v[8:11], v[80:81], off offset:32
	global_load_dwordx4 v[12:15], v[80:81], off offset:16
	global_load_dwordx4 v[16:19], v[80:81], off
	global_load_dwordx4 v[20:23], v[80:81], off offset:112
	global_load_dwordx4 v[24:27], v[80:81], off offset:96
	;; [unrolled: 1-line block ×10, first 2 shown]
                                        ; kill: killed $vgpr92 killed $vgpr93
	global_load_dwordx4 v[92:95], v[80:81], off offset:224
	global_load_dwordx4 v[96:99], v[80:81], off offset:240
	v_add_u32_e32 v1, 0xffffff00, v1
	v_add_u32_e32 v78, 32, v78
	s_waitcnt vmcnt(16)
	v_subrev_u32_e32 v79, s20, v79
	v_lshlrev_b32_e32 v100, 2, v79
	v_ashrrev_i32_e32 v101, 31, v100
	v_lshlrev_b64 v[100:101], 4, v[100:101]
	v_add_co_u32_e32 v116, vcc, s4, v100
	v_addc_co_u32_e32 v117, vcc, v3, v101, vcc
	global_load_dwordx4 v[100:103], v[116:117], off
	global_load_dwordx4 v[104:107], v[116:117], off offset:16
	global_load_dwordx4 v[108:111], v[116:117], off offset:32
	;; [unrolled: 1-line block ×3, first 2 shown]
	v_add_co_u32_e32 v80, vcc, 0x2000, v80
	v_addc_co_u32_e32 v81, vcc, 0, v81, vcc
	v_cmp_eq_u32_e32 vcc, 0, v1
	s_or_b64 s[2:3], vcc, s[2:3]
	s_waitcnt vmcnt(3)
	v_fmac_f64_e32 v[58:59], v[16:17], v[100:101]
	v_fmac_f64_e32 v[76:77], v[18:19], v[100:101]
	v_fmac_f64_e32 v[56:57], v[12:13], v[100:101]
	v_fmac_f64_e32 v[74:75], v[14:15], v[100:101]
	v_fmac_f64_e32 v[54:55], v[8:9], v[100:101]
	v_fmac_f64_e32 v[72:73], v[10:11], v[100:101]
	v_fmac_f64_e32 v[52:53], v[4:5], v[100:101]
	v_fmac_f64_e32 v[70:71], v[6:7], v[100:101]
	v_fma_f64 v[18:19], -v[18:19], v[102:103], v[58:59]
	v_fmac_f64_e32 v[76:77], v[16:17], v[102:103]
	v_fma_f64 v[14:15], -v[14:15], v[102:103], v[56:57]
	v_fmac_f64_e32 v[74:75], v[12:13], v[102:103]
	v_fma_f64 v[10:11], -v[10:11], v[102:103], v[54:55]
	v_fmac_f64_e32 v[72:73], v[8:9], v[102:103]
	v_fma_f64 v[6:7], -v[6:7], v[102:103], v[52:53]
	v_fmac_f64_e32 v[70:71], v[4:5], v[102:103]
	s_waitcnt vmcnt(2)
	v_fmac_f64_e32 v[18:19], v[32:33], v[104:105]
	v_fmac_f64_e32 v[76:77], v[34:35], v[104:105]
	v_fmac_f64_e32 v[14:15], v[28:29], v[104:105]
	v_fmac_f64_e32 v[74:75], v[30:31], v[104:105]
	v_fmac_f64_e32 v[10:11], v[24:25], v[104:105]
	v_fmac_f64_e32 v[72:73], v[26:27], v[104:105]
	v_fmac_f64_e32 v[6:7], v[20:21], v[104:105]
	v_fmac_f64_e32 v[70:71], v[22:23], v[104:105]
	v_fma_f64 v[4:5], -v[34:35], v[106:107], v[18:19]
	v_fmac_f64_e32 v[76:77], v[32:33], v[106:107]
	v_fma_f64 v[8:9], -v[30:31], v[106:107], v[14:15]
	v_fmac_f64_e32 v[74:75], v[28:29], v[106:107]
	v_fma_f64 v[10:11], -v[26:27], v[106:107], v[10:11]
	v_fmac_f64_e32 v[72:73], v[24:25], v[106:107]
	v_fma_f64 v[6:7], -v[22:23], v[106:107], v[6:7]
	v_fmac_f64_e32 v[70:71], v[20:21], v[106:107]
	;; [unrolled: 17-line block ×4, first 2 shown]
	s_andn2_b64 exec, exec, s[2:3]
	s_cbranch_execnz .LBB18_31
; %bb.32:
	s_or_b64 exec, exec, s[2:3]
.LBB18_33:
	s_or_b64 exec, exec, s[0:1]
	s_movk_i32 s0, 0x5f
	v_cmp_lt_u32_e32 vcc, s0, v0
	s_and_saveexec_b64 s[10:11], vcc
	s_cbranch_execz .LBB18_37
; %bb.34:
	s_mov_b64 s[14:15], 0
	v_mov_b32_e32 v91, s13
	v_mov_b32_e32 v92, s5
	s_movk_i32 s5, 0x2000
	s_movk_i32 s13, 0x4000
	;; [unrolled: 1-line block ×3, first 2 shown]
.LBB18_35:                              ; =>This Inner Loop Header: Depth=1
	v_ashrrev_i32_e32 v79, 31, v78
	v_lshlrev_b64 v[48:49], 2, v[78:79]
	v_add_co_u32_e32 v82, vcc, s12, v48
	v_addc_co_u32_e32 v83, vcc, v91, v49, vcc
	global_load_dwordx4 v[0:3], v[80:81], off offset:48
	global_load_dwordx4 v[4:7], v[80:81], off offset:32
	;; [unrolled: 1-line block ×3, first 2 shown]
	global_load_dwordx4 v[86:89], v[80:81], off
	global_load_dwordx4 v[12:15], v[80:81], off offset:112
	global_load_dwordx4 v[16:19], v[80:81], off offset:96
	;; [unrolled: 1-line block ×9, first 2 shown]
	global_load_dword v48, v[82:83], off
	v_add_co_u32_e64 v96, s[0:1], s13, v80
	v_add_u32_e32 v78, 0x80, v78
	s_waitcnt vmcnt(0)
	v_subrev_u32_e32 v48, s20, v48
	v_lshlrev_b32_e32 v48, 2, v48
	v_ashrrev_i32_e32 v49, 31, v48
	v_lshlrev_b64 v[48:49], 4, v[48:49]
	v_add_co_u32_e32 v84, vcc, s4, v48
	v_addc_co_u32_e32 v85, vcc, v92, v49, vcc
	global_load_dwordx4 v[48:51], v[84:85], off
	v_add_co_u32_e32 v94, vcc, s5, v80
	v_addc_co_u32_e32 v95, vcc, 0, v81, vcc
	v_addc_co_u32_e64 v97, vcc, 0, v81, s[0:1]
	s_waitcnt vmcnt(0)
	v_fmac_f64_e32 v[52:53], v[0:1], v[48:49]
	v_fmac_f64_e32 v[70:71], v[2:3], v[48:49]
	v_fma_f64 v[52:53], -v[2:3], v[50:51], v[52:53]
	v_fmac_f64_e32 v[70:71], v[0:1], v[50:51]
	global_load_dwordx4 v[0:3], v[84:85], off offset:16
	v_fmac_f64_e32 v[58:59], v[86:87], v[48:49]
	v_fmac_f64_e32 v[76:77], v[88:89], v[48:49]
	;; [unrolled: 1-line block ×6, first 2 shown]
	v_fma_f64 v[58:59], -v[88:89], v[50:51], v[58:59]
	v_fmac_f64_e32 v[76:77], v[86:87], v[50:51]
	v_fma_f64 v[56:57], -v[10:11], v[50:51], v[56:57]
	v_fmac_f64_e32 v[74:75], v[8:9], v[50:51]
	;; [unrolled: 2-line block ×3, first 2 shown]
	global_load_dwordx4 v[86:89], v[80:81], off offset:224
	global_load_dwordx4 v[8:11], v[80:81], off offset:208
	;; [unrolled: 1-line block ×3, first 2 shown]
	v_add_co_u32_e64 v48, s[2:3], s16, v80
	v_addc_co_u32_e64 v49, vcc, 0, v81, s[2:3]
	s_waitcnt vmcnt(3)
	v_fmac_f64_e32 v[58:59], v[24:25], v[0:1]
	v_fmac_f64_e32 v[76:77], v[26:27], v[0:1]
	;; [unrolled: 1-line block ×8, first 2 shown]
	v_fma_f64 v[50:51], -v[26:27], v[2:3], v[58:59]
	v_fmac_f64_e32 v[76:77], v[24:25], v[2:3]
	global_load_dwordx4 v[24:27], v[94:95], off offset:48
	v_fma_f64 v[56:57], -v[22:23], v[2:3], v[56:57]
	v_fmac_f64_e32 v[74:75], v[20:21], v[2:3]
	global_load_dwordx4 v[20:23], v[94:95], off offset:32
	v_fma_f64 v[54:55], -v[18:19], v[2:3], v[54:55]
	v_fmac_f64_e32 v[72:73], v[16:17], v[2:3]
	global_load_dwordx4 v[16:19], v[94:95], off
	v_fma_f64 v[52:53], -v[14:15], v[2:3], v[52:53]
	v_fmac_f64_e32 v[70:71], v[12:13], v[2:3]
	global_load_dwordx4 v[0:3], v[94:95], off offset:16
	global_load_dwordx4 v[12:15], v[84:85], off offset:32
	s_waitcnt vmcnt(0)
	v_fmac_f64_e32 v[50:51], v[40:41], v[12:13]
	v_fmac_f64_e32 v[76:77], v[42:43], v[12:13]
	;; [unrolled: 1-line block ×8, first 2 shown]
	v_fma_f64 v[50:51], -v[42:43], v[14:15], v[50:51]
	v_fmac_f64_e32 v[76:77], v[40:41], v[14:15]
	global_load_dwordx4 v[40:43], v[94:95], off offset:112
	v_fma_f64 v[56:57], -v[38:39], v[14:15], v[56:57]
	v_fmac_f64_e32 v[74:75], v[36:37], v[14:15]
	global_load_dwordx4 v[36:39], v[94:95], off offset:96
	;; [unrolled: 3-line block ×4, first 2 shown]
	global_load_dwordx4 v[28:31], v[84:85], off offset:48
	s_waitcnt vmcnt(0)
	v_fmac_f64_e32 v[50:51], v[4:5], v[28:29]
	v_fmac_f64_e32 v[76:77], v[6:7], v[28:29]
	;; [unrolled: 1-line block ×8, first 2 shown]
	v_fma_f64 v[84:85], -v[6:7], v[30:31], v[50:51]
	v_fmac_f64_e32 v[76:77], v[4:5], v[30:31]
	global_load_dwordx4 v[4:7], v[94:95], off offset:176
	v_fma_f64 v[56:57], -v[10:11], v[30:31], v[56:57]
	v_fmac_f64_e32 v[74:75], v[8:9], v[30:31]
	global_load_dwordx4 v[8:11], v[94:95], off offset:160
	global_load_dwordx4 v[50:53], v[94:95], off offset:144
	v_fma_f64 v[54:55], -v[88:89], v[30:31], v[54:55]
	v_fmac_f64_e32 v[72:73], v[86:87], v[30:31]
	v_fma_f64 v[58:59], -v[46:47], v[30:31], v[58:59]
	v_fmac_f64_e32 v[70:71], v[44:45], v[30:31]
	global_load_dwordx4 v[28:31], v[94:95], off offset:128
	global_load_dword v44, v[82:83], off offset:128
	s_waitcnt vmcnt(0)
	v_subrev_u32_e32 v44, s20, v44
	v_lshlrev_b32_e32 v44, 2, v44
	v_ashrrev_i32_e32 v45, 31, v44
	v_lshlrev_b64 v[44:45], 4, v[44:45]
	v_add_co_u32_e32 v86, vcc, s4, v44
	v_addc_co_u32_e32 v87, vcc, v92, v45, vcc
	global_load_dwordx4 v[44:47], v[86:87], off
	s_waitcnt vmcnt(0)
	v_fmac_f64_e32 v[84:85], v[16:17], v[44:45]
	v_fmac_f64_e32 v[76:77], v[18:19], v[44:45]
	;; [unrolled: 1-line block ×8, first 2 shown]
	v_fma_f64 v[84:85], -v[18:19], v[46:47], v[84:85]
	v_fmac_f64_e32 v[76:77], v[16:17], v[46:47]
	global_load_dwordx4 v[16:19], v[94:95], off offset:240
	v_fma_f64 v[56:57], -v[2:3], v[46:47], v[56:57]
	v_fmac_f64_e32 v[74:75], v[0:1], v[46:47]
	global_load_dwordx4 v[0:3], v[94:95], off offset:224
	;; [unrolled: 3-line block ×4, first 2 shown]
	global_load_dwordx4 v[44:47], v[86:87], off offset:16
	s_waitcnt vmcnt(0)
	v_fmac_f64_e32 v[84:85], v[12:13], v[44:45]
	v_fmac_f64_e32 v[76:77], v[14:15], v[44:45]
	;; [unrolled: 1-line block ×8, first 2 shown]
	v_fma_f64 v[84:85], -v[14:15], v[46:47], v[84:85]
	v_fmac_f64_e32 v[76:77], v[12:13], v[46:47]
	global_load_dwordx4 v[12:15], v[96:97], off offset:48
	v_fma_f64 v[56:57], -v[34:35], v[46:47], v[56:57]
	v_fmac_f64_e32 v[74:75], v[32:33], v[46:47]
	global_load_dwordx4 v[32:35], v[96:97], off offset:32
	v_fma_f64 v[54:55], -v[38:39], v[46:47], v[54:55]
	v_fmac_f64_e32 v[72:73], v[36:37], v[46:47]
	global_load_dwordx4 v[36:39], v[96:97], off
	v_fma_f64 v[58:59], -v[42:43], v[46:47], v[58:59]
	v_fmac_f64_e32 v[70:71], v[40:41], v[46:47]
	global_load_dwordx4 v[40:43], v[96:97], off offset:16
	global_load_dwordx4 v[44:47], v[86:87], off offset:32
	s_waitcnt vmcnt(0)
	v_fmac_f64_e32 v[84:85], v[28:29], v[44:45]
	v_fmac_f64_e32 v[76:77], v[30:31], v[44:45]
	;; [unrolled: 1-line block ×8, first 2 shown]
	v_fma_f64 v[84:85], -v[30:31], v[46:47], v[84:85]
	v_fmac_f64_e32 v[76:77], v[28:29], v[46:47]
	global_load_dwordx4 v[28:31], v[96:97], off offset:112
	v_fma_f64 v[88:89], -v[52:53], v[46:47], v[56:57]
	v_fmac_f64_e32 v[74:75], v[50:51], v[46:47]
	global_load_dwordx4 v[50:53], v[96:97], off offset:96
	;; [unrolled: 3-line block ×4, first 2 shown]
	global_load_dwordx4 v[44:47], v[96:97], off offset:176
	global_load_dwordx4 v[54:57], v[86:87], off offset:48
	s_waitcnt vmcnt(0)
	v_fmac_f64_e32 v[72:73], v[2:3], v[54:55]
	v_fmac_f64_e32 v[94:95], v[0:1], v[54:55]
	;; [unrolled: 1-line block ×3, first 2 shown]
	global_load_dword v0, v[82:83], off offset:256
	v_fmac_f64_e32 v[58:59], v[16:17], v[54:55]
	v_fmac_f64_e32 v[84:85], v[24:25], v[54:55]
	;; [unrolled: 1-line block ×6, first 2 shown]
	v_fma_f64 v[54:55], -v[18:19], v[56:57], v[58:59]
	v_fma_f64 v[94:95], -v[2:3], v[56:57], v[94:95]
	v_fma_f64 v[98:99], -v[26:27], v[56:57], v[84:85]
	v_fmac_f64_e32 v[76:77], v[24:25], v[56:57]
	v_fma_f64 v[88:89], -v[22:23], v[56:57], v[88:89]
	v_fmac_f64_e32 v[74:75], v[20:21], v[56:57]
	v_fmac_f64_e32 v[70:71], v[16:17], v[56:57]
	global_load_dwordx4 v[24:27], v[96:97], off offset:160
	global_load_dwordx4 v[20:23], v[96:97], off offset:144
	global_load_dwordx4 v[84:87], v[96:97], off offset:128
	s_waitcnt vmcnt(3)
	v_subrev_u32_e32 v0, s20, v0
	v_lshlrev_b32_e32 v0, 2, v0
	v_ashrrev_i32_e32 v1, 31, v0
	v_lshlrev_b64 v[0:1], 4, v[0:1]
	v_add_co_u32_e32 v58, vcc, s4, v0
	v_addc_co_u32_e32 v59, vcc, v92, v1, vcc
	global_load_dwordx4 v[0:3], v[58:59], off
	s_waitcnt vmcnt(0)
	v_fmac_f64_e32 v[98:99], v[36:37], v[0:1]
	v_fmac_f64_e32 v[76:77], v[38:39], v[0:1]
	;; [unrolled: 1-line block ×8, first 2 shown]
	v_fma_f64 v[56:57], -v[38:39], v[2:3], v[98:99]
	v_fmac_f64_e32 v[76:77], v[36:37], v[2:3]
	global_load_dwordx4 v[36:39], v[96:97], off offset:240
	v_fma_f64 v[88:89], -v[42:43], v[2:3], v[88:89]
	v_fmac_f64_e32 v[74:75], v[40:41], v[2:3]
	global_load_dwordx4 v[40:43], v[96:97], off offset:224
	;; [unrolled: 3-line block ×3, first 2 shown]
	global_load_dwordx4 v[16:19], v[96:97], off offset:192
	v_fma_f64 v[14:15], -v[14:15], v[2:3], v[54:55]
	v_fmac_f64_e32 v[70:71], v[12:13], v[2:3]
	global_load_dwordx4 v[94:97], v[48:49], off offset:48
	global_load_dwordx4 v[0:3], v[58:59], off offset:16
	global_load_dwordx4 v[98:101], v[48:49], off
	s_waitcnt vmcnt(1)
	v_fmac_f64_e32 v[56:57], v[4:5], v[0:1]
	v_fmac_f64_e32 v[76:77], v[6:7], v[0:1]
	;; [unrolled: 1-line block ×8, first 2 shown]
	v_fma_f64 v[12:13], -v[6:7], v[2:3], v[56:57]
	v_fmac_f64_e32 v[76:77], v[4:5], v[2:3]
	global_load_dwordx4 v[54:57], v[48:49], off offset:32
	v_fma_f64 v[88:89], -v[10:11], v[2:3], v[88:89]
	v_fmac_f64_e32 v[74:75], v[8:9], v[2:3]
	v_fma_f64 v[102:103], -v[52:53], v[2:3], v[102:103]
	v_fmac_f64_e32 v[72:73], v[50:51], v[2:3]
	global_load_dwordx4 v[50:53], v[48:49], off offset:16
	v_fma_f64 v[14:15], -v[30:31], v[2:3], v[14:15]
	v_fmac_f64_e32 v[70:71], v[28:29], v[2:3]
	global_load_dwordx4 v[0:3], v[48:49], off offset:112
	global_load_dwordx4 v[4:7], v[58:59], off offset:32
	;; [unrolled: 1-line block ×4, first 2 shown]
	s_waitcnt vmcnt(2)
	v_fmac_f64_e32 v[12:13], v[84:85], v[4:5]
	v_fmac_f64_e32 v[76:77], v[86:87], v[4:5]
	;; [unrolled: 1-line block ×8, first 2 shown]
	v_fma_f64 v[86:87], -v[86:87], v[6:7], v[12:13]
	v_fmac_f64_e32 v[76:77], v[84:85], v[6:7]
	v_fma_f64 v[84:85], -v[22:23], v[6:7], v[88:89]
	v_fmac_f64_e32 v[74:75], v[20:21], v[6:7]
	global_load_dwordx4 v[20:23], v[48:49], off offset:80
	v_fma_f64 v[88:89], -v[26:27], v[6:7], v[102:103]
	v_fmac_f64_e32 v[72:73], v[24:25], v[6:7]
	v_fma_f64 v[46:47], -v[46:47], v[6:7], v[14:15]
	v_fmac_f64_e32 v[70:71], v[44:45], v[6:7]
	global_load_dwordx4 v[4:7], v[48:49], off offset:176
	global_load_dwordx4 v[12:15], v[58:59], off offset:48
	;; [unrolled: 1-line block ×3, first 2 shown]
	s_waitcnt vmcnt(1)
	v_fmac_f64_e32 v[86:87], v[16:17], v[12:13]
	v_fmac_f64_e32 v[76:77], v[18:19], v[12:13]
	v_fmac_f64_e32 v[84:85], v[32:33], v[12:13]
	v_fmac_f64_e32 v[74:75], v[34:35], v[12:13]
	v_fmac_f64_e32 v[88:89], v[40:41], v[12:13]
	v_fmac_f64_e32 v[72:73], v[42:43], v[12:13]
	v_fmac_f64_e32 v[46:47], v[36:37], v[12:13]
	v_fmac_f64_e32 v[70:71], v[38:39], v[12:13]
	v_fma_f64 v[44:45], -v[18:19], v[14:15], v[86:87]
	v_fmac_f64_e32 v[76:77], v[16:17], v[14:15]
	global_load_dwordx4 v[16:19], v[48:49], off offset:160
	v_fma_f64 v[58:59], -v[34:35], v[14:15], v[84:85]
	v_fmac_f64_e32 v[74:75], v[32:33], v[14:15]
	global_load_dwordx4 v[32:35], v[48:49], off offset:128
	v_fma_f64 v[86:87], -v[42:43], v[14:15], v[88:89]
	v_fmac_f64_e32 v[72:73], v[40:41], v[14:15]
	v_fma_f64 v[88:89], -v[38:39], v[14:15], v[46:47]
	v_fmac_f64_e32 v[70:71], v[36:37], v[14:15]
	global_load_dwordx4 v[12:15], v[48:49], off offset:224
	global_load_dword v36, v[82:83], off offset:384
	s_waitcnt vmcnt(0)
	v_subrev_u32_e32 v36, s20, v36
	v_lshlrev_b32_e32 v36, 2, v36
	v_ashrrev_i32_e32 v37, 31, v36
	v_lshlrev_b64 v[36:37], 4, v[36:37]
	v_add_co_u32_e32 v106, vcc, s4, v36
	v_addc_co_u32_e32 v107, vcc, v92, v37, vcc
	global_load_dwordx4 v[102:105], v[106:107], off
	global_load_dwordx4 v[36:39], v[48:49], off offset:208
	v_add_co_u32_e32 v80, vcc, 0x8000, v80
	v_addc_co_u32_e32 v81, vcc, 0, v81, vcc
	v_cmp_ge_i32_e32 vcc, v78, v90
	s_or_b64 s[14:15], vcc, s[14:15]
	s_waitcnt vmcnt(1)
	v_fmac_f64_e32 v[44:45], v[98:99], v[102:103]
	v_fmac_f64_e32 v[58:59], v[50:51], v[102:103]
	;; [unrolled: 1-line block ×3, first 2 shown]
	v_fma_f64 v[82:83], -v[100:101], v[104:105], v[44:45]
	v_fma_f64 v[84:85], -v[52:53], v[104:105], v[58:59]
	global_load_dwordx4 v[44:47], v[48:49], off offset:192
	global_load_dwordx4 v[40:43], v[48:49], off offset:240
	v_fmac_f64_e32 v[72:73], v[56:57], v[102:103]
	v_fma_f64 v[86:87], -v[56:57], v[104:105], v[86:87]
	global_load_dwordx4 v[56:59], v[106:107], off offset:16
	v_fmac_f64_e32 v[74:75], v[52:53], v[102:103]
	v_fmac_f64_e32 v[74:75], v[50:51], v[104:105]
	;; [unrolled: 1-line block ×3, first 2 shown]
	global_load_dwordx4 v[52:55], v[106:107], off offset:32
	global_load_dwordx4 v[48:51], v[106:107], off offset:48
	v_fmac_f64_e32 v[76:77], v[100:101], v[102:103]
	v_fmac_f64_e32 v[88:89], v[94:95], v[102:103]
	;; [unrolled: 1-line block ×4, first 2 shown]
	v_fma_f64 v[88:89], -v[96:97], v[104:105], v[88:89]
	v_fmac_f64_e32 v[70:71], v[94:95], v[104:105]
	s_waitcnt vmcnt(2)
	v_fmac_f64_e32 v[82:83], v[28:29], v[56:57]
	v_fmac_f64_e32 v[76:77], v[30:31], v[56:57]
	v_fmac_f64_e32 v[84:85], v[20:21], v[56:57]
	v_fmac_f64_e32 v[74:75], v[22:23], v[56:57]
	v_fmac_f64_e32 v[86:87], v[8:9], v[56:57]
	v_fmac_f64_e32 v[72:73], v[10:11], v[56:57]
	v_fmac_f64_e32 v[88:89], v[0:1], v[56:57]
	v_fmac_f64_e32 v[70:71], v[2:3], v[56:57]
	v_fma_f64 v[30:31], -v[30:31], v[58:59], v[82:83]
	v_fmac_f64_e32 v[76:77], v[28:29], v[58:59]
	v_fma_f64 v[22:23], -v[22:23], v[58:59], v[84:85]
	v_fmac_f64_e32 v[74:75], v[20:21], v[58:59]
	v_fma_f64 v[10:11], -v[10:11], v[58:59], v[86:87]
	v_fmac_f64_e32 v[72:73], v[8:9], v[58:59]
	v_fma_f64 v[2:3], -v[2:3], v[58:59], v[88:89]
	v_fmac_f64_e32 v[70:71], v[0:1], v[58:59]
	s_waitcnt vmcnt(1)
	v_fmac_f64_e32 v[30:31], v[32:33], v[52:53]
	v_fmac_f64_e32 v[76:77], v[34:35], v[52:53]
	v_fmac_f64_e32 v[22:23], v[24:25], v[52:53]
	v_fmac_f64_e32 v[74:75], v[26:27], v[52:53]
	v_fmac_f64_e32 v[10:11], v[16:17], v[52:53]
	v_fmac_f64_e32 v[72:73], v[18:19], v[52:53]
	v_fmac_f64_e32 v[2:3], v[4:5], v[52:53]
	v_fmac_f64_e32 v[70:71], v[6:7], v[52:53]
	v_fma_f64 v[0:1], -v[34:35], v[54:55], v[30:31]
	v_fmac_f64_e32 v[76:77], v[32:33], v[54:55]
	v_fma_f64 v[8:9], -v[26:27], v[54:55], v[22:23]
	v_fmac_f64_e32 v[74:75], v[24:25], v[54:55]
	v_fma_f64 v[10:11], -v[18:19], v[54:55], v[10:11]
	v_fmac_f64_e32 v[72:73], v[16:17], v[54:55]
	;; [unrolled: 17-line block ×3, first 2 shown]
	v_fma_f64 v[52:53], -v[42:43], v[50:51], v[2:3]
	v_fmac_f64_e32 v[70:71], v[40:41], v[50:51]
	s_andn2_b64 exec, exec, s[14:15]
	s_cbranch_execnz .LBB18_35
; %bb.36:
	s_or_b64 exec, exec, s[14:15]
.LBB18_37:
	s_or_b64 exec, exec, s[10:11]
.LBB18_38:
	s_or_b64 exec, exec, s[8:9]
.LBB18_39:
	v_mov_b32_dpp v0, v58 row_shr:1 row_mask:0xf bank_mask:0xf
	v_mov_b32_dpp v1, v59 row_shr:1 row_mask:0xf bank_mask:0xf
	v_mov_b32_dpp v4, v76 row_shr:1 row_mask:0xf bank_mask:0xf
	v_mov_b32_dpp v5, v77 row_shr:1 row_mask:0xf bank_mask:0xf
	v_mov_b32_dpp v8, v56 row_shr:1 row_mask:0xf bank_mask:0xf
	v_mov_b32_dpp v9, v57 row_shr:1 row_mask:0xf bank_mask:0xf
	v_mov_b32_dpp v12, v74 row_shr:1 row_mask:0xf bank_mask:0xf
	v_mov_b32_dpp v13, v75 row_shr:1 row_mask:0xf bank_mask:0xf
	v_mov_b32_dpp v16, v54 row_shr:1 row_mask:0xf bank_mask:0xf
	v_mov_b32_dpp v17, v55 row_shr:1 row_mask:0xf bank_mask:0xf
	v_mov_b32_dpp v20, v72 row_shr:1 row_mask:0xf bank_mask:0xf
	v_mov_b32_dpp v21, v73 row_shr:1 row_mask:0xf bank_mask:0xf
	v_mov_b32_dpp v24, v52 row_shr:1 row_mask:0xf bank_mask:0xf
	v_mov_b32_dpp v25, v53 row_shr:1 row_mask:0xf bank_mask:0xf
	v_mov_b32_dpp v28, v70 row_shr:1 row_mask:0xf bank_mask:0xf
	v_mov_b32_dpp v29, v71 row_shr:1 row_mask:0xf bank_mask:0xf
	v_add_f64 v[0:1], v[58:59], v[0:1]
	v_add_f64 v[4:5], v[76:77], v[4:5]
	v_add_f64 v[8:9], v[56:57], v[8:9]
	v_add_f64 v[12:13], v[74:75], v[12:13]
	v_add_f64 v[16:17], v[54:55], v[16:17]
	v_add_f64 v[20:21], v[72:73], v[20:21]
	v_add_f64 v[24:25], v[52:53], v[24:25]
	v_add_f64 v[28:29], v[70:71], v[28:29]
	v_mov_b32_dpp v2, v0 row_shr:2 row_mask:0xf bank_mask:0xf
	v_mov_b32_dpp v3, v1 row_shr:2 row_mask:0xf bank_mask:0xf
	v_mov_b32_dpp v6, v4 row_shr:2 row_mask:0xf bank_mask:0xf
	v_mov_b32_dpp v7, v5 row_shr:2 row_mask:0xf bank_mask:0xf
	v_mov_b32_dpp v10, v8 row_shr:2 row_mask:0xf bank_mask:0xf
	v_mov_b32_dpp v11, v9 row_shr:2 row_mask:0xf bank_mask:0xf
	v_mov_b32_dpp v14, v12 row_shr:2 row_mask:0xf bank_mask:0xf
	v_mov_b32_dpp v15, v13 row_shr:2 row_mask:0xf bank_mask:0xf
	v_mov_b32_dpp v18, v16 row_shr:2 row_mask:0xf bank_mask:0xf
	v_mov_b32_dpp v19, v17 row_shr:2 row_mask:0xf bank_mask:0xf
	v_mov_b32_dpp v22, v20 row_shr:2 row_mask:0xf bank_mask:0xf
	v_mov_b32_dpp v23, v21 row_shr:2 row_mask:0xf bank_mask:0xf
	v_mov_b32_dpp v26, v24 row_shr:2 row_mask:0xf bank_mask:0xf
	v_mov_b32_dpp v27, v25 row_shr:2 row_mask:0xf bank_mask:0xf
	v_mov_b32_dpp v30, v28 row_shr:2 row_mask:0xf bank_mask:0xf
	v_mov_b32_dpp v31, v29 row_shr:2 row_mask:0xf bank_mask:0xf
	v_add_f64 v[0:1], v[0:1], v[2:3]
	v_add_f64 v[4:5], v[4:5], v[6:7]
	v_add_f64 v[8:9], v[8:9], v[10:11]
	v_add_f64 v[12:13], v[12:13], v[14:15]
	v_add_f64 v[16:17], v[16:17], v[18:19]
	v_add_f64 v[20:21], v[20:21], v[22:23]
	v_add_f64 v[24:25], v[24:25], v[26:27]
	v_add_f64 v[28:29], v[28:29], v[30:31]
	;; [unrolled: 24-line block ×4, first 2 shown]
	v_mov_b32_dpp v2, v0 row_bcast:15 row_mask:0xa bank_mask:0xf
	v_mov_b32_dpp v3, v1 row_bcast:15 row_mask:0xa bank_mask:0xf
	;; [unrolled: 1-line block ×16, first 2 shown]
	v_cmp_eq_u32_e32 vcc, 31, v69
	s_and_b64 exec, exec, vcc
	s_cbranch_execz .LBB18_12
; %bb.40:
	s_load_dwordx2 s[2:3], s[6:7], 0x60
	v_add_f64 v[32:33], v[0:1], v[2:3]
	v_add_f64 v[0:1], v[4:5], v[6:7]
	v_add_f64 v[2:3], v[12:13], v[14:15]
	v_add_f64 v[18:19], v[16:17], v[18:19]
	v_add_f64 v[6:7], v[20:21], v[22:23]
	v_add_f64 v[16:17], v[28:29], v[30:31]
	v_add_f64 v[34:35], v[8:9], v[10:11]
	v_add_f64 v[20:21], v[24:25], v[26:27]
	v_cmp_eq_f64_e32 vcc, 0, v[60:61]
	v_cmp_eq_f64_e64 s[0:1], 0, v[62:63]
	v_mul_f64 v[12:13], v[0:1], -v[66:67]
	v_mul_f64 v[14:15], v[64:65], v[0:1]
	v_mul_f64 v[8:9], v[2:3], -v[66:67]
	v_mul_f64 v[10:11], v[64:65], v[2:3]
	;; [unrolled: 2-line block ×4, first 2 shown]
	s_and_b64 s[0:1], vcc, s[0:1]
	v_fmac_f64_e32 v[12:13], v[64:65], v[32:33]
	v_fmac_f64_e32 v[14:15], v[66:67], v[32:33]
	v_lshlrev_b32_e32 v16, 2, v68
	v_fmac_f64_e32 v[8:9], v[64:65], v[34:35]
	v_fmac_f64_e32 v[10:11], v[66:67], v[34:35]
	;; [unrolled: 1-line block ×6, first 2 shown]
	s_and_saveexec_b64 s[4:5], s[0:1]
	s_xor_b64 s[0:1], exec, s[4:5]
	s_cbranch_execz .LBB18_42
; %bb.41:
	v_ashrrev_i32_e32 v17, 31, v16
	v_lshlrev_b64 v[16:17], 4, v[16:17]
	s_waitcnt lgkmcnt(0)
	v_mov_b32_e32 v18, s3
	v_add_co_u32_e32 v16, vcc, s2, v16
	v_addc_co_u32_e32 v17, vcc, v18, v17, vcc
	global_store_dwordx4 v[16:17], v[12:15], off
	global_store_dwordx4 v[16:17], v[8:11], off offset:16
	global_store_dwordx4 v[16:17], v[4:7], off offset:32
	;; [unrolled: 1-line block ×3, first 2 shown]
                                        ; implicit-def: $vgpr60_vgpr61
                                        ; implicit-def: $vgpr62_vgpr63
                                        ; implicit-def: $vgpr12_vgpr13
                                        ; implicit-def: $vgpr16
                                        ; implicit-def: $vgpr8_vgpr9
                                        ; implicit-def: $vgpr4_vgpr5
                                        ; implicit-def: $vgpr0_vgpr1
.LBB18_42:
	s_andn2_saveexec_b64 s[0:1], s[0:1]
	s_cbranch_execz .LBB18_12
; %bb.43:
	v_ashrrev_i32_e32 v17, 31, v16
	v_lshlrev_b64 v[16:17], 4, v[16:17]
	s_waitcnt lgkmcnt(0)
	v_mov_b32_e32 v18, s3
	v_add_co_u32_e32 v32, vcc, s2, v16
	v_addc_co_u32_e32 v33, vcc, v18, v17, vcc
	global_load_dwordx4 v[16:19], v[32:33], off
	global_load_dwordx4 v[20:23], v[32:33], off offset:16
	global_load_dwordx4 v[24:27], v[32:33], off offset:32
	;; [unrolled: 1-line block ×3, first 2 shown]
	s_waitcnt vmcnt(3)
	v_fmac_f64_e32 v[12:13], v[60:61], v[16:17]
	v_fmac_f64_e32 v[14:15], v[62:63], v[16:17]
	s_waitcnt vmcnt(2)
	v_fmac_f64_e32 v[8:9], v[60:61], v[20:21]
	v_fmac_f64_e32 v[10:11], v[62:63], v[20:21]
	;; [unrolled: 3-line block ×4, first 2 shown]
	v_fma_f64 v[12:13], -v[62:63], v[18:19], v[12:13]
	v_fmac_f64_e32 v[14:15], v[60:61], v[18:19]
	v_fma_f64 v[8:9], -v[62:63], v[22:23], v[8:9]
	v_fmac_f64_e32 v[10:11], v[60:61], v[22:23]
	;; [unrolled: 2-line block ×4, first 2 shown]
	global_store_dwordx4 v[32:33], v[12:15], off
	global_store_dwordx4 v[32:33], v[8:11], off offset:16
	global_store_dwordx4 v[32:33], v[4:7], off offset:32
	;; [unrolled: 1-line block ×3, first 2 shown]
	s_endpgm
	.section	.rodata,"a",@progbits
	.p2align	6, 0x0
	.amdhsa_kernel _ZN9rocsparseL18bsrxmvn_4x4_kernelILj128ELj32E21rocsparse_complex_numIdEiiS2_S2_S2_EEvT3_20rocsparse_direction_NS_24const_host_device_scalarIT1_EES3_PKS3_PKT2_SC_S9_PKT4_PKT5_S7_PT6_21rocsparse_index_base_b
		.amdhsa_group_segment_fixed_size 2048
		.amdhsa_private_segment_fixed_size 0
		.amdhsa_kernarg_size 112
		.amdhsa_user_sgpr_count 8
		.amdhsa_user_sgpr_private_segment_buffer 1
		.amdhsa_user_sgpr_dispatch_ptr 1
		.amdhsa_user_sgpr_queue_ptr 0
		.amdhsa_user_sgpr_kernarg_segment_ptr 1
		.amdhsa_user_sgpr_dispatch_id 0
		.amdhsa_user_sgpr_flat_scratch_init 0
		.amdhsa_user_sgpr_kernarg_preload_length 0
		.amdhsa_user_sgpr_kernarg_preload_offset 0
		.amdhsa_user_sgpr_private_segment_size 0
		.amdhsa_uses_dynamic_stack 0
		.amdhsa_system_sgpr_private_segment_wavefront_offset 0
		.amdhsa_system_sgpr_workgroup_id_x 1
		.amdhsa_system_sgpr_workgroup_id_y 0
		.amdhsa_system_sgpr_workgroup_id_z 0
		.amdhsa_system_sgpr_workgroup_info 0
		.amdhsa_system_vgpr_workitem_id 2
		.amdhsa_next_free_vgpr 118
		.amdhsa_next_free_sgpr 22
		.amdhsa_accum_offset 120
		.amdhsa_reserve_vcc 1
		.amdhsa_reserve_flat_scratch 0
		.amdhsa_float_round_mode_32 0
		.amdhsa_float_round_mode_16_64 0
		.amdhsa_float_denorm_mode_32 3
		.amdhsa_float_denorm_mode_16_64 3
		.amdhsa_dx10_clamp 1
		.amdhsa_ieee_mode 1
		.amdhsa_fp16_overflow 0
		.amdhsa_tg_split 0
		.amdhsa_exception_fp_ieee_invalid_op 0
		.amdhsa_exception_fp_denorm_src 0
		.amdhsa_exception_fp_ieee_div_zero 0
		.amdhsa_exception_fp_ieee_overflow 0
		.amdhsa_exception_fp_ieee_underflow 0
		.amdhsa_exception_fp_ieee_inexact 0
		.amdhsa_exception_int_div_zero 0
	.end_amdhsa_kernel
	.section	.text._ZN9rocsparseL18bsrxmvn_4x4_kernelILj128ELj32E21rocsparse_complex_numIdEiiS2_S2_S2_EEvT3_20rocsparse_direction_NS_24const_host_device_scalarIT1_EES3_PKS3_PKT2_SC_S9_PKT4_PKT5_S7_PT6_21rocsparse_index_base_b,"axG",@progbits,_ZN9rocsparseL18bsrxmvn_4x4_kernelILj128ELj32E21rocsparse_complex_numIdEiiS2_S2_S2_EEvT3_20rocsparse_direction_NS_24const_host_device_scalarIT1_EES3_PKS3_PKT2_SC_S9_PKT4_PKT5_S7_PT6_21rocsparse_index_base_b,comdat
.Lfunc_end18:
	.size	_ZN9rocsparseL18bsrxmvn_4x4_kernelILj128ELj32E21rocsparse_complex_numIdEiiS2_S2_S2_EEvT3_20rocsparse_direction_NS_24const_host_device_scalarIT1_EES3_PKS3_PKT2_SC_S9_PKT4_PKT5_S7_PT6_21rocsparse_index_base_b, .Lfunc_end18-_ZN9rocsparseL18bsrxmvn_4x4_kernelILj128ELj32E21rocsparse_complex_numIdEiiS2_S2_S2_EEvT3_20rocsparse_direction_NS_24const_host_device_scalarIT1_EES3_PKS3_PKT2_SC_S9_PKT4_PKT5_S7_PT6_21rocsparse_index_base_b
                                        ; -- End function
	.section	.AMDGPU.csdata,"",@progbits
; Kernel info:
; codeLenInByte = 8380
; NumSgprs: 26
; NumVgprs: 118
; NumAgprs: 0
; TotalNumVgprs: 118
; ScratchSize: 0
; MemoryBound: 1
; FloatMode: 240
; IeeeMode: 1
; LDSByteSize: 2048 bytes/workgroup (compile time only)
; SGPRBlocks: 3
; VGPRBlocks: 14
; NumSGPRsForWavesPerEU: 26
; NumVGPRsForWavesPerEU: 118
; AccumOffset: 120
; Occupancy: 4
; WaveLimiterHint : 1
; COMPUTE_PGM_RSRC2:SCRATCH_EN: 0
; COMPUTE_PGM_RSRC2:USER_SGPR: 8
; COMPUTE_PGM_RSRC2:TRAP_HANDLER: 0
; COMPUTE_PGM_RSRC2:TGID_X_EN: 1
; COMPUTE_PGM_RSRC2:TGID_Y_EN: 0
; COMPUTE_PGM_RSRC2:TGID_Z_EN: 0
; COMPUTE_PGM_RSRC2:TIDIG_COMP_CNT: 2
; COMPUTE_PGM_RSRC3_GFX90A:ACCUM_OFFSET: 29
; COMPUTE_PGM_RSRC3_GFX90A:TG_SPLIT: 0
	.section	.text._ZN9rocsparseL18bsrxmvn_4x4_kernelILj128ELj64E21rocsparse_complex_numIdEiiS2_S2_S2_EEvT3_20rocsparse_direction_NS_24const_host_device_scalarIT1_EES3_PKS3_PKT2_SC_S9_PKT4_PKT5_S7_PT6_21rocsparse_index_base_b,"axG",@progbits,_ZN9rocsparseL18bsrxmvn_4x4_kernelILj128ELj64E21rocsparse_complex_numIdEiiS2_S2_S2_EEvT3_20rocsparse_direction_NS_24const_host_device_scalarIT1_EES3_PKS3_PKT2_SC_S9_PKT4_PKT5_S7_PT6_21rocsparse_index_base_b,comdat
	.globl	_ZN9rocsparseL18bsrxmvn_4x4_kernelILj128ELj64E21rocsparse_complex_numIdEiiS2_S2_S2_EEvT3_20rocsparse_direction_NS_24const_host_device_scalarIT1_EES3_PKS3_PKT2_SC_S9_PKT4_PKT5_S7_PT6_21rocsparse_index_base_b ; -- Begin function _ZN9rocsparseL18bsrxmvn_4x4_kernelILj128ELj64E21rocsparse_complex_numIdEiiS2_S2_S2_EEvT3_20rocsparse_direction_NS_24const_host_device_scalarIT1_EES3_PKS3_PKT2_SC_S9_PKT4_PKT5_S7_PT6_21rocsparse_index_base_b
	.p2align	8
	.type	_ZN9rocsparseL18bsrxmvn_4x4_kernelILj128ELj64E21rocsparse_complex_numIdEiiS2_S2_S2_EEvT3_20rocsparse_direction_NS_24const_host_device_scalarIT1_EES3_PKS3_PKT2_SC_S9_PKT4_PKT5_S7_PT6_21rocsparse_index_base_b,@function
_ZN9rocsparseL18bsrxmvn_4x4_kernelILj128ELj64E21rocsparse_complex_numIdEiiS2_S2_S2_EEvT3_20rocsparse_direction_NS_24const_host_device_scalarIT1_EES3_PKS3_PKT2_SC_S9_PKT4_PKT5_S7_PT6_21rocsparse_index_base_b: ; @_ZN9rocsparseL18bsrxmvn_4x4_kernelILj128ELj64E21rocsparse_complex_numIdEiiS2_S2_S2_EEvT3_20rocsparse_direction_NS_24const_host_device_scalarIT1_EES3_PKS3_PKT2_SC_S9_PKT4_PKT5_S7_PT6_21rocsparse_index_base_b
; %bb.0:
	s_load_dwordx2 s[20:21], s[6:7], 0x68
	s_load_dwordx4 s[12:15], s[6:7], 0x8
	s_load_dwordx2 s[10:11], s[4:5], 0x4
	s_load_dwordx4 s[16:19], s[6:7], 0x50
	s_mov_b64 s[2:3], src_shared_base
	v_bfe_u32 v2, v0, 10, 10
	s_waitcnt lgkmcnt(0)
	s_bitcmp1_b32 s21, 0
	s_cselect_b64 s[0:1], -1, 0
	s_and_b64 vcc, s[0:1], exec
	s_cselect_b32 s2, s3, s13
	s_lshr_b32 s4, s10, 16
	v_and_b32_e32 v1, 0x3ff, v0
	s_mul_i32 s4, s4, s11
	v_mul_u32_u24_e32 v2, s11, v2
	v_mad_u32_u24 v2, s4, v1, v2
	v_bfe_u32 v0, v0, 20, 10
	v_add_lshl_u32 v0, v2, v0, 3
	v_mov_b32_e32 v6, s12
	v_add_u32_e32 v7, 0x400, v0
	v_pk_mov_b32 v[2:3], s[12:13], s[12:13] op_sel:[0,1]
	v_pk_mov_b32 v[4:5], s[16:17], s[16:17] op_sel:[0,1]
	ds_write2st64_b64 v0, v[4:5], v[2:3] offset1:2
	v_cndmask_b32_e64 v2, v6, v7, s[0:1]
	v_mov_b32_e32 v3, s2
	flat_load_dwordx2 v[64:65], v[2:3]
	s_xor_b64 s[4:5], s[0:1], -1
	v_pk_mov_b32 v[66:67], s[14:15], s[14:15] op_sel:[0,1]
	s_cbranch_vccnz .LBB19_2
; %bb.1:
	v_pk_mov_b32 v[2:3], s[12:13], s[12:13] op_sel:[0,1]
	flat_load_dwordx2 v[66:67], v[2:3] offset:8
.LBB19_2:
	s_and_b64 s[10:11], s[0:1], exec
	s_cselect_b32 s2, s3, s17
	v_mov_b32_e32 v2, s16
	v_cndmask_b32_e64 v2, v2, v0, s[0:1]
	v_mov_b32_e32 v3, s2
	flat_load_dwordx2 v[60:61], v[2:3]
	s_andn2_b64 vcc, exec, s[4:5]
	v_pk_mov_b32 v[62:63], s[18:19], s[18:19] op_sel:[0,1]
	s_cbranch_vccnz .LBB19_4
; %bb.3:
	v_pk_mov_b32 v[2:3], s[16:17], s[16:17] op_sel:[0,1]
	flat_load_dwordx2 v[62:63], v[2:3] offset:8
.LBB19_4:
	s_waitcnt vmcnt(0) lgkmcnt(0)
	v_cmp_eq_f64_e32 vcc, 0, v[64:65]
	v_cmp_eq_f64_e64 s[0:1], 0, v[66:67]
	s_and_b64 s[4:5], vcc, s[0:1]
	s_mov_b64 s[0:1], -1
	s_and_saveexec_b64 s[2:3], s[4:5]
; %bb.5:
	v_cmp_neq_f64_e32 vcc, 1.0, v[60:61]
	v_cmp_neq_f64_e64 s[0:1], 0, v[62:63]
	s_or_b64 s[0:1], vcc, s[0:1]
	s_orn2_b64 s[0:1], s[0:1], exec
; %bb.6:
	s_or_b64 exec, exec, s[2:3]
	s_and_saveexec_b64 s[2:3], s[0:1]
	s_cbranch_execz .LBB19_12
; %bb.7:
	s_load_dwordx2 s[4:5], s[6:7], 0x20
	s_load_dwordx2 s[0:1], s[6:7], 0x0
	v_lshrrev_b32_e32 v0, 6, v1
	v_lshl_or_b32 v68, s8, 1, v0
	s_mov_b64 s[2:3], 0
	s_waitcnt lgkmcnt(0)
	s_cmp_lg_u64 s[4:5], 0
	s_cbranch_scc0 .LBB19_13
; %bb.8:
	s_load_dword s8, s[6:7], 0x18
                                        ; implicit-def: $vgpr0
	s_waitcnt lgkmcnt(0)
	v_cmp_gt_i32_e32 vcc, s8, v68
	s_and_saveexec_b64 s[8:9], vcc
	s_xor_b64 s[8:9], exec, s[8:9]
	s_cbranch_execz .LBB19_10
; %bb.9:
	v_ashrrev_i32_e32 v69, 31, v68
	v_lshlrev_b64 v[2:3], 2, v[68:69]
	v_mov_b32_e32 v0, s5
	v_add_co_u32_e32 v2, vcc, s4, v2
	v_addc_co_u32_e32 v3, vcc, v0, v3, vcc
	global_load_dword v0, v[2:3], off
	s_mov_b64 s[2:3], exec
	s_waitcnt vmcnt(0)
	v_subrev_u32_e32 v0, s20, v0
.LBB19_10:
	s_or_b64 exec, exec, s[8:9]
	s_branch .LBB19_14
.LBB19_11:
	v_cmp_gt_i32_e32 vcc, s0, v68
	s_andn2_b64 s[2:3], s[2:3], exec
	s_and_b64 s[4:5], vcc, exec
	s_or_b64 s[2:3], s[2:3], s[4:5]
	s_and_b64 exec, exec, s[2:3]
	s_cbranch_execnz .LBB19_15
.LBB19_12:
	s_endpgm
.LBB19_13:
                                        ; implicit-def: $vgpr0
	s_cbranch_execnz .LBB19_11
.LBB19_14:
	v_mov_b32_e32 v68, v0
	s_and_b64 exec, exec, s[2:3]
	s_cbranch_execz .LBB19_12
.LBB19_15:
	s_load_dwordx8 s[8:15], s[6:7], 0x28
	v_ashrrev_i32_e32 v69, 31, v68
	v_lshlrev_b64 v[2:3], 2, v[68:69]
	v_and_b32_e32 v69, 63, v1
	s_load_dwordx2 s[4:5], s[6:7], 0x48
	s_waitcnt lgkmcnt(0)
	v_mov_b32_e32 v0, s9
	v_add_co_u32_e32 v4, vcc, s8, v2
	v_addc_co_u32_e32 v5, vcc, v0, v3, vcc
	v_add_co_u32_e32 v0, vcc, 4, v4
	global_load_dword v26, v[4:5], off
	v_addc_co_u32_e32 v4, vcc, 0, v5, vcc
	v_mov_b32_e32 v5, s11
	v_add_co_u32_e32 v2, vcc, s10, v2
	s_cmp_eq_u64 s[10:11], 0
	v_addc_co_u32_e32 v3, vcc, v5, v3, vcc
	s_cselect_b64 vcc, -1, 0
	v_cndmask_b32_e32 v3, v3, v4, vcc
	v_cndmask_b32_e32 v2, v2, v0, vcc
	global_load_dword v0, v[2:3], off
	v_mov_b32_e32 v2, s15
	s_cmp_eq_u32 s1, 1
	s_waitcnt vmcnt(1)
	v_subrev_u32_e32 v1, s20, v26
	v_add_u32_e32 v78, v1, v69
	v_ashrrev_i32_e32 v79, 31, v78
	s_waitcnt vmcnt(0)
	v_subrev_u32_e32 v90, s20, v0
	v_lshlrev_b64 v[0:1], 8, v[78:79]
	v_add_co_u32_e32 v80, vcc, s14, v0
	v_addc_co_u32_e32 v81, vcc, v2, v1, vcc
	v_cmp_lt_i32_e64 s[0:1], v78, v90
	s_cbranch_scc1 .LBB19_27
; %bb.16:
	v_pk_mov_b32 v[76:77], 0, 0
	s_mov_b64 s[8:9], 0
	v_pk_mov_b32 v[58:59], v[76:77], v[76:77] op_sel:[0,1]
	v_pk_mov_b32 v[52:53], v[76:77], v[76:77] op_sel:[0,1]
	;; [unrolled: 1-line block ×7, first 2 shown]
	s_and_saveexec_b64 s[10:11], s[0:1]
	s_cbranch_execz .LBB19_26
; %bb.17:
	v_add_u32_e32 v0, v26, v69
	v_subrev_u32_e32 v0, s20, v0
	v_add_u32_e32 v0, 64, v0
	v_max_i32_e32 v0, v0, v90
	v_not_b32_e32 v1, v26
	v_add3_u32 v0, v0, s20, v1
	v_sub_u32_e32 v12, v0, v69
	v_lshrrev_b32_e32 v0, 6, v12
	v_add_u32_e32 v0, 1, v0
	v_and_b32_e32 v0, 3, v0
	v_pk_mov_b32 v[74:75], 0, 0
	v_cmp_ne_u32_e32 vcc, 0, v0
	v_pk_mov_b32 v[56:57], v[74:75], v[74:75] op_sel:[0,1]
	v_pk_mov_b32 v[72:73], v[74:75], v[74:75] op_sel:[0,1]
	;; [unrolled: 1-line block ×8, first 2 shown]
	v_mov_b32_e32 v16, v78
	s_and_saveexec_b64 s[2:3], vcc
	s_cbranch_execz .LBB19_21
; %bb.18:
	v_pk_mov_b32 v[76:77], 0, 0
	v_lshlrev_b32_e32 v13, 8, v0
	s_mov_b64 s[14:15], 0
	v_mov_b32_e32 v14, s13
	v_mov_b32_e32 v15, s5
	;; [unrolled: 1-line block ×3, first 2 shown]
	v_pk_mov_b32 v[18:19], v[80:81], v[80:81] op_sel:[0,1]
	v_pk_mov_b32 v[58:59], v[76:77], v[76:77] op_sel:[0,1]
	;; [unrolled: 1-line block ×8, first 2 shown]
.LBB19_19:                              ; =>This Inner Loop Header: Depth=1
	v_ashrrev_i32_e32 v17, 31, v16
	v_lshlrev_b64 v[24:25], 2, v[16:17]
	v_add_co_u32_e32 v24, vcc, s12, v24
	v_addc_co_u32_e32 v25, vcc, v14, v25, vcc
	global_load_dwordx4 v[0:3], v[18:19], off offset:16
	global_load_dwordx4 v[4:7], v[18:19], off
	global_load_dwordx4 v[8:11], v[18:19], off offset:80
	global_load_dwordx4 v[20:23], v[18:19], off offset:64
	;; [unrolled: 1-line block ×12, first 2 shown]
	global_load_dword v17, v[24:25], off
	v_add_u32_e32 v13, 0xffffff00, v13
	v_add_u32_e32 v16, 64, v16
	s_waitcnt vmcnt(0)
	v_subrev_u32_e32 v17, s20, v17
	v_lshlrev_b32_e32 v24, 2, v17
	v_ashrrev_i32_e32 v25, 31, v24
	v_lshlrev_b64 v[24:25], 4, v[24:25]
	v_add_co_u32_e32 v24, vcc, s4, v24
	v_addc_co_u32_e32 v25, vcc, v15, v25, vcc
	global_load_dwordx4 v[100:103], v[24:25], off
	global_load_dwordx4 v[104:107], v[24:25], off offset:16
	s_waitcnt vmcnt(1)
	v_fmac_f64_e32 v[58:59], v[4:5], v[100:101]
	v_fmac_f64_e32 v[76:77], v[6:7], v[100:101]
	v_fma_f64 v[58:59], -v[6:7], v[102:103], v[58:59]
	v_fmac_f64_e32 v[76:77], v[4:5], v[102:103]
	global_load_dwordx4 v[4:7], v[18:19], off offset:224
	v_fmac_f64_e32 v[56:57], v[20:21], v[100:101]
	v_fmac_f64_e32 v[74:75], v[22:23], v[100:101]
	;; [unrolled: 1-line block ×4, first 2 shown]
	v_fma_f64 v[56:57], -v[22:23], v[102:103], v[56:57]
	v_fmac_f64_e32 v[74:75], v[20:21], v[102:103]
	global_load_dwordx4 v[20:23], v[18:19], off offset:240
	v_fma_f64 v[54:55], -v[34:35], v[102:103], v[54:55]
	v_fmac_f64_e32 v[72:73], v[32:33], v[102:103]
	global_load_dwordx4 v[32:35], v[24:25], off offset:32
	global_load_dwordx4 v[108:111], v[24:25], off offset:48
	v_fmac_f64_e32 v[52:53], v[36:37], v[100:101]
	v_fmac_f64_e32 v[70:71], v[38:39], v[100:101]
	v_fma_f64 v[24:25], -v[38:39], v[102:103], v[52:53]
	v_fmac_f64_e32 v[70:71], v[36:37], v[102:103]
	s_waitcnt vmcnt(4)
	v_fmac_f64_e32 v[58:59], v[0:1], v[104:105]
	v_fmac_f64_e32 v[76:77], v[2:3], v[104:105]
	;; [unrolled: 1-line block ×8, first 2 shown]
	v_fma_f64 v[2:3], -v[2:3], v[106:107], v[58:59]
	v_fmac_f64_e32 v[76:77], v[0:1], v[106:107]
	v_fma_f64 v[0:1], -v[10:11], v[106:107], v[56:57]
	v_fmac_f64_e32 v[74:75], v[8:9], v[106:107]
	;; [unrolled: 2-line block ×4, first 2 shown]
	v_add_co_u32_e32 v18, vcc, 0x4000, v18
	v_addc_co_u32_e32 v19, vcc, 0, v19, vcc
	v_cmp_eq_u32_e32 vcc, 0, v13
	s_or_b64 s[14:15], vcc, s[14:15]
	s_waitcnt vmcnt(1)
	v_fmac_f64_e32 v[2:3], v[48:49], v[32:33]
	v_fmac_f64_e32 v[76:77], v[50:51], v[32:33]
	;; [unrolled: 1-line block ×8, first 2 shown]
	v_fma_f64 v[2:3], -v[50:51], v[34:35], v[2:3]
	v_fmac_f64_e32 v[76:77], v[48:49], v[34:35]
	v_fma_f64 v[0:1], -v[88:89], v[34:35], v[0:1]
	v_fmac_f64_e32 v[74:75], v[86:87], v[34:35]
	;; [unrolled: 2-line block ×4, first 2 shown]
	s_waitcnt vmcnt(0)
	v_fmac_f64_e32 v[2:3], v[44:45], v[108:109]
	v_fmac_f64_e32 v[76:77], v[46:47], v[108:109]
	;; [unrolled: 1-line block ×8, first 2 shown]
	v_fma_f64 v[58:59], -v[46:47], v[110:111], v[2:3]
	v_fmac_f64_e32 v[76:77], v[44:45], v[110:111]
	v_fma_f64 v[56:57], -v[84:85], v[110:111], v[0:1]
	v_fmac_f64_e32 v[74:75], v[82:83], v[110:111]
	;; [unrolled: 2-line block ×4, first 2 shown]
	s_andn2_b64 exec, exec, s[14:15]
	s_cbranch_execnz .LBB19_19
; %bb.20:
	s_or_b64 exec, exec, s[14:15]
.LBB19_21:
	s_or_b64 exec, exec, s[2:3]
	s_movk_i32 s2, 0xbf
	v_cmp_lt_u32_e32 vcc, s2, v12
	s_and_saveexec_b64 s[14:15], vcc
	s_cbranch_execz .LBB19_25
; %bb.22:
	s_mov_b64 s[16:17], 0
	v_mov_b32_e32 v27, s13
	v_mov_b32_e32 v28, s5
	s_movk_i32 s18, 0x4000
	s_mov_b32 s19, 0x8000
	s_mov_b32 s21, 0xc000
.LBB19_23:                              ; =>This Inner Loop Header: Depth=1
	v_ashrrev_i32_e32 v17, 31, v16
	v_lshlrev_b64 v[0:1], 2, v[16:17]
	v_add_co_u32_e32 v20, vcc, s12, v0
	v_addc_co_u32_e32 v21, vcc, v27, v1, vcc
	global_load_dword v0, v[20:21], off
	global_load_dwordx4 v[30:33], v[18:19], off offset:48
	global_load_dwordx4 v[22:25], v[18:19], off offset:32
	;; [unrolled: 1-line block ×3, first 2 shown]
	global_load_dwordx4 v[38:41], v[18:19], off
	v_add_u32_e32 v16, 0x100, v16
	v_cmp_ge_i32_e64 s[2:3], v16, v90
	s_or_b64 s[16:17], s[2:3], s[16:17]
	s_waitcnt vmcnt(4)
	v_subrev_u32_e32 v0, s20, v0
	v_lshlrev_b32_e32 v0, 2, v0
	v_ashrrev_i32_e32 v1, 31, v0
	v_lshlrev_b64 v[0:1], 4, v[0:1]
	v_add_co_u32_e32 v42, vcc, s4, v0
	v_addc_co_u32_e32 v43, vcc, v28, v1, vcc
	global_load_dwordx4 v[0:3], v[42:43], off offset:48
	global_load_dwordx4 v[4:7], v[42:43], off offset:32
	;; [unrolled: 1-line block ×3, first 2 shown]
	global_load_dwordx4 v[12:15], v[42:43], off
	s_waitcnt vmcnt(0)
	v_fmac_f64_e32 v[58:59], v[38:39], v[12:13]
	v_fmac_f64_e32 v[76:77], v[40:41], v[12:13]
	v_fma_f64 v[42:43], -v[40:41], v[14:15], v[58:59]
	v_fmac_f64_e32 v[76:77], v[38:39], v[14:15]
	v_fmac_f64_e32 v[42:43], v[34:35], v[8:9]
	v_fmac_f64_e32 v[76:77], v[36:37], v[8:9]
	v_fma_f64 v[38:39], -v[36:37], v[10:11], v[42:43]
	v_fmac_f64_e32 v[76:77], v[34:35], v[10:11]
	v_fmac_f64_e32 v[38:39], v[22:23], v[4:5]
	v_fmac_f64_e32 v[76:77], v[24:25], v[4:5]
	v_fma_f64 v[34:35], -v[24:25], v[6:7], v[38:39]
	v_fmac_f64_e32 v[76:77], v[22:23], v[6:7]
	v_fmac_f64_e32 v[34:35], v[30:31], v[0:1]
	v_fmac_f64_e32 v[76:77], v[32:33], v[0:1]
	v_fma_f64 v[22:23], -v[32:33], v[2:3], v[34:35]
	v_fmac_f64_e32 v[76:77], v[30:31], v[2:3]
	global_load_dwordx4 v[30:33], v[18:19], off offset:112
	global_load_dwordx4 v[34:37], v[18:19], off offset:96
	global_load_dwordx4 v[38:41], v[18:19], off offset:80
	global_load_dwordx4 v[42:45], v[18:19], off offset:64
	s_waitcnt vmcnt(0)
	v_fmac_f64_e32 v[56:57], v[42:43], v[12:13]
	v_fmac_f64_e32 v[74:75], v[44:45], v[12:13]
	v_fma_f64 v[24:25], -v[44:45], v[14:15], v[56:57]
	v_fmac_f64_e32 v[74:75], v[42:43], v[14:15]
	v_fmac_f64_e32 v[24:25], v[38:39], v[8:9]
	v_fmac_f64_e32 v[74:75], v[40:41], v[8:9]
	v_fma_f64 v[24:25], -v[40:41], v[10:11], v[24:25]
	v_fmac_f64_e32 v[74:75], v[38:39], v[10:11]
	v_fmac_f64_e32 v[24:25], v[34:35], v[4:5]
	v_fmac_f64_e32 v[74:75], v[36:37], v[4:5]
	v_fma_f64 v[24:25], -v[36:37], v[6:7], v[24:25]
	v_fmac_f64_e32 v[74:75], v[34:35], v[6:7]
	v_fmac_f64_e32 v[24:25], v[30:31], v[0:1]
	v_fmac_f64_e32 v[74:75], v[32:33], v[0:1]
	v_fma_f64 v[24:25], -v[32:33], v[2:3], v[24:25]
	v_fmac_f64_e32 v[74:75], v[30:31], v[2:3]
	global_load_dwordx4 v[30:33], v[18:19], off offset:176
	global_load_dwordx4 v[34:37], v[18:19], off offset:160
	global_load_dwordx4 v[38:41], v[18:19], off offset:144
	global_load_dwordx4 v[42:45], v[18:19], off offset:128
	;; [unrolled: 21-line block ×3, first 2 shown]
	v_add_co_u32_e32 v54, vcc, s18, v18
	v_addc_co_u32_e32 v55, vcc, 0, v19, vcc
	s_waitcnt vmcnt(0)
	v_fmac_f64_e32 v[52:53], v[42:43], v[12:13]
	v_fmac_f64_e32 v[70:71], v[44:45], v[12:13]
	v_fma_f64 v[46:47], -v[44:45], v[14:15], v[52:53]
	v_fmac_f64_e32 v[70:71], v[42:43], v[14:15]
	v_fmac_f64_e32 v[46:47], v[38:39], v[8:9]
	v_fmac_f64_e32 v[70:71], v[40:41], v[8:9]
	v_fma_f64 v[12:13], -v[40:41], v[10:11], v[46:47]
	v_fmac_f64_e32 v[70:71], v[38:39], v[10:11]
	;; [unrolled: 4-line block ×3, first 2 shown]
	v_fmac_f64_e32 v[8:9], v[30:31], v[0:1]
	v_fmac_f64_e32 v[70:71], v[32:33], v[0:1]
	global_load_dword v0, v[20:21], off offset:256
	v_fmac_f64_e32 v[70:71], v[30:31], v[2:3]
	v_fma_f64 v[52:53], -v[32:33], v[2:3], v[8:9]
	s_waitcnt vmcnt(0)
	v_subrev_u32_e32 v0, s20, v0
	v_lshlrev_b32_e32 v30, 2, v0
	v_ashrrev_i32_e32 v31, 31, v30
	v_lshlrev_b64 v[30:31], 4, v[30:31]
	v_add_co_u32_e32 v46, vcc, s4, v30
	v_addc_co_u32_e32 v47, vcc, v28, v31, vcc
	global_load_dwordx4 v[0:3], v[54:55], off
	global_load_dwordx4 v[4:7], v[54:55], off offset:48
	global_load_dwordx4 v[8:11], v[54:55], off offset:32
	;; [unrolled: 1-line block ×6, first 2 shown]
	global_load_dwordx4 v[42:45], v[46:47], off
	s_waitcnt vmcnt(0)
	v_fmac_f64_e32 v[22:23], v[0:1], v[42:43]
	v_fmac_f64_e32 v[76:77], v[2:3], v[42:43]
	v_fma_f64 v[22:23], -v[2:3], v[44:45], v[22:23]
	v_fmac_f64_e32 v[76:77], v[0:1], v[44:45]
	v_fmac_f64_e32 v[22:23], v[12:13], v[38:39]
	v_fmac_f64_e32 v[76:77], v[14:15], v[38:39]
	v_fma_f64 v[0:1], -v[14:15], v[40:41], v[22:23]
	v_fmac_f64_e32 v[76:77], v[12:13], v[40:41]
	;; [unrolled: 4-line block ×4, first 2 shown]
	global_load_dwordx4 v[4:7], v[54:55], off offset:112
	global_load_dwordx4 v[8:11], v[54:55], off offset:96
	;; [unrolled: 1-line block ×4, first 2 shown]
	s_waitcnt vmcnt(0)
	v_fmac_f64_e32 v[24:25], v[46:47], v[42:43]
	v_fma_f64 v[2:3], -v[48:49], v[44:45], v[24:25]
	v_fmac_f64_e32 v[74:75], v[48:49], v[42:43]
	v_fmac_f64_e32 v[74:75], v[46:47], v[44:45]
	v_fmac_f64_e32 v[2:3], v[12:13], v[38:39]
	v_fma_f64 v[2:3], -v[14:15], v[40:41], v[2:3]
	v_fmac_f64_e32 v[74:75], v[14:15], v[38:39]
	v_fmac_f64_e32 v[74:75], v[12:13], v[40:41]
	;; [unrolled: 4-line block ×3, first 2 shown]
	v_fmac_f64_e32 v[2:3], v[4:5], v[30:31]
	v_fma_f64 v[2:3], -v[6:7], v[32:33], v[2:3]
	v_fmac_f64_e32 v[74:75], v[6:7], v[30:31]
	global_load_dwordx4 v[6:9], v[54:55], off offset:176
	global_load_dwordx4 v[10:13], v[54:55], off offset:160
	;; [unrolled: 1-line block ×4, first 2 shown]
	v_fmac_f64_e32 v[74:75], v[4:5], v[32:33]
	s_waitcnt vmcnt(0)
	v_fmac_f64_e32 v[50:51], v[46:47], v[42:43]
	v_fma_f64 v[4:5], -v[48:49], v[44:45], v[50:51]
	v_fmac_f64_e32 v[72:73], v[48:49], v[42:43]
	v_fmac_f64_e32 v[72:73], v[46:47], v[44:45]
	v_fmac_f64_e32 v[4:5], v[22:23], v[38:39]
	v_fma_f64 v[4:5], -v[24:25], v[40:41], v[4:5]
	v_fmac_f64_e32 v[72:73], v[24:25], v[38:39]
	v_fmac_f64_e32 v[72:73], v[22:23], v[40:41]
	;; [unrolled: 4-line block ×3, first 2 shown]
	v_fmac_f64_e32 v[4:5], v[6:7], v[30:31]
	v_fma_f64 v[4:5], -v[8:9], v[32:33], v[4:5]
	v_fmac_f64_e32 v[72:73], v[8:9], v[30:31]
	global_load_dwordx4 v[8:11], v[54:55], off offset:240
	global_load_dwordx4 v[12:15], v[54:55], off offset:224
	;; [unrolled: 1-line block ×4, first 2 shown]
	v_fmac_f64_e32 v[72:73], v[6:7], v[32:33]
	v_add_co_u32_e32 v54, vcc, s19, v18
	v_addc_co_u32_e32 v55, vcc, 0, v19, vcc
	s_waitcnt vmcnt(0)
	v_fmac_f64_e32 v[70:71], v[48:49], v[42:43]
	v_fmac_f64_e32 v[52:53], v[46:47], v[42:43]
	v_fmac_f64_e32 v[70:71], v[46:47], v[44:45]
	v_fma_f64 v[6:7], -v[48:49], v[44:45], v[52:53]
	v_fmac_f64_e32 v[70:71], v[24:25], v[38:39]
	v_fmac_f64_e32 v[6:7], v[22:23], v[38:39]
	v_fmac_f64_e32 v[70:71], v[22:23], v[40:41]
	v_fma_f64 v[6:7], -v[24:25], v[40:41], v[6:7]
	;; [unrolled: 4-line block ×3, first 2 shown]
	v_fmac_f64_e32 v[70:71], v[10:11], v[30:31]
	v_fmac_f64_e32 v[6:7], v[8:9], v[30:31]
	;; [unrolled: 1-line block ×3, first 2 shown]
	global_load_dword v8, v[20:21], off offset:512
	v_fma_f64 v[6:7], -v[10:11], v[32:33], v[6:7]
	global_load_dwordx4 v[10:13], v[54:55], off
	global_load_dwordx4 v[22:25], v[54:55], off offset:48
	global_load_dwordx4 v[30:33], v[54:55], off offset:32
	;; [unrolled: 1-line block ×3, first 2 shown]
	s_waitcnt vmcnt(4)
	v_subrev_u32_e32 v8, s20, v8
	v_lshlrev_b32_e32 v8, 2, v8
	v_ashrrev_i32_e32 v9, 31, v8
	v_lshlrev_b64 v[8:9], 4, v[8:9]
	v_add_co_u32_e32 v8, vcc, s4, v8
	v_addc_co_u32_e32 v9, vcc, v28, v9, vcc
	global_load_dwordx4 v[38:41], v[8:9], off offset:48
	global_load_dwordx4 v[42:45], v[8:9], off offset:32
	global_load_dwordx4 v[46:49], v[8:9], off offset:16
	global_load_dwordx4 v[50:53], v[8:9], off
	s_waitcnt vmcnt(0)
	v_fmac_f64_e32 v[0:1], v[10:11], v[50:51]
	v_fmac_f64_e32 v[76:77], v[12:13], v[50:51]
	v_fma_f64 v[0:1], -v[12:13], v[52:53], v[0:1]
	v_fmac_f64_e32 v[76:77], v[10:11], v[52:53]
	v_fmac_f64_e32 v[0:1], v[34:35], v[46:47]
	v_fmac_f64_e32 v[76:77], v[36:37], v[46:47]
	v_fma_f64 v[0:1], -v[36:37], v[48:49], v[0:1]
	v_fmac_f64_e32 v[76:77], v[34:35], v[48:49]
	v_fmac_f64_e32 v[0:1], v[30:31], v[42:43]
	v_fmac_f64_e32 v[76:77], v[32:33], v[42:43]
	v_fma_f64 v[0:1], -v[32:33], v[44:45], v[0:1]
	v_fmac_f64_e32 v[76:77], v[30:31], v[44:45]
	v_fmac_f64_e32 v[0:1], v[22:23], v[38:39]
	v_fmac_f64_e32 v[76:77], v[24:25], v[38:39]
	v_fma_f64 v[0:1], -v[24:25], v[40:41], v[0:1]
	v_fmac_f64_e32 v[76:77], v[22:23], v[40:41]
	global_load_dwordx4 v[8:11], v[54:55], off offset:112
	global_load_dwordx4 v[12:15], v[54:55], off offset:96
	global_load_dwordx4 v[22:25], v[54:55], off offset:80
	global_load_dwordx4 v[30:33], v[54:55], off offset:64
	s_waitcnt vmcnt(0)
	v_fmac_f64_e32 v[2:3], v[30:31], v[50:51]
	v_fmac_f64_e32 v[74:75], v[32:33], v[50:51]
	v_fma_f64 v[2:3], -v[32:33], v[52:53], v[2:3]
	v_fmac_f64_e32 v[74:75], v[30:31], v[52:53]
	v_fmac_f64_e32 v[2:3], v[22:23], v[46:47]
	v_fmac_f64_e32 v[74:75], v[24:25], v[46:47]
	v_fma_f64 v[2:3], -v[24:25], v[48:49], v[2:3]
	v_fmac_f64_e32 v[74:75], v[22:23], v[48:49]
	v_fmac_f64_e32 v[2:3], v[12:13], v[42:43]
	v_fmac_f64_e32 v[74:75], v[14:15], v[42:43]
	v_fma_f64 v[2:3], -v[14:15], v[44:45], v[2:3]
	v_fmac_f64_e32 v[74:75], v[12:13], v[44:45]
	v_fmac_f64_e32 v[2:3], v[8:9], v[38:39]
	v_fmac_f64_e32 v[74:75], v[10:11], v[38:39]
	v_fma_f64 v[2:3], -v[10:11], v[40:41], v[2:3]
	v_fmac_f64_e32 v[74:75], v[8:9], v[40:41]
	global_load_dwordx4 v[8:11], v[54:55], off offset:176
	global_load_dwordx4 v[12:15], v[54:55], off offset:160
	global_load_dwordx4 v[22:25], v[54:55], off offset:144
	global_load_dwordx4 v[30:33], v[54:55], off offset:128
	s_waitcnt vmcnt(0)
	v_fmac_f64_e32 v[4:5], v[30:31], v[50:51]
	v_fmac_f64_e32 v[72:73], v[32:33], v[50:51]
	v_fma_f64 v[4:5], -v[32:33], v[52:53], v[4:5]
	v_fmac_f64_e32 v[72:73], v[30:31], v[52:53]
	v_fmac_f64_e32 v[4:5], v[22:23], v[46:47]
	v_fmac_f64_e32 v[72:73], v[24:25], v[46:47]
	v_fma_f64 v[4:5], -v[24:25], v[48:49], v[4:5]
	v_fmac_f64_e32 v[72:73], v[22:23], v[48:49]
	v_fmac_f64_e32 v[4:5], v[12:13], v[42:43]
	v_fmac_f64_e32 v[72:73], v[14:15], v[42:43]
	v_fma_f64 v[4:5], -v[14:15], v[44:45], v[4:5]
	v_fmac_f64_e32 v[72:73], v[12:13], v[44:45]
	v_fmac_f64_e32 v[4:5], v[8:9], v[38:39]
	v_fmac_f64_e32 v[72:73], v[10:11], v[38:39]
	v_fma_f64 v[4:5], -v[10:11], v[40:41], v[4:5]
	v_fmac_f64_e32 v[72:73], v[8:9], v[40:41]
	global_load_dwordx4 v[8:11], v[54:55], off offset:240
	global_load_dwordx4 v[12:15], v[54:55], off offset:224
	global_load_dwordx4 v[22:25], v[54:55], off offset:208
	global_load_dwordx4 v[30:33], v[54:55], off offset:192
	s_waitcnt vmcnt(0)
	v_fmac_f64_e32 v[70:71], v[32:33], v[50:51]
	v_fmac_f64_e32 v[6:7], v[30:31], v[50:51]
	v_fmac_f64_e32 v[70:71], v[30:31], v[52:53]
	v_fma_f64 v[6:7], -v[32:33], v[52:53], v[6:7]
	v_fmac_f64_e32 v[70:71], v[24:25], v[46:47]
	v_fmac_f64_e32 v[6:7], v[22:23], v[46:47]
	v_fmac_f64_e32 v[70:71], v[22:23], v[48:49]
	v_fma_f64 v[6:7], -v[24:25], v[48:49], v[6:7]
	;; [unrolled: 4-line block ×3, first 2 shown]
	v_fmac_f64_e32 v[70:71], v[10:11], v[38:39]
	v_fmac_f64_e32 v[6:7], v[8:9], v[38:39]
	;; [unrolled: 1-line block ×3, first 2 shown]
	global_load_dword v8, v[20:21], off offset:768
	v_add_co_u32_e32 v24, vcc, s21, v18
	v_addc_co_u32_e32 v25, vcc, 0, v19, vcc
	v_fma_f64 v[6:7], -v[10:11], v[40:41], v[6:7]
	global_load_dwordx4 v[10:13], v[24:25], off
	global_load_dwordx4 v[20:23], v[24:25], off offset:48
	global_load_dwordx4 v[30:33], v[24:25], off offset:32
	;; [unrolled: 1-line block ×3, first 2 shown]
	s_waitcnt vmcnt(4)
	v_subrev_u32_e32 v8, s20, v8
	v_lshlrev_b32_e32 v8, 2, v8
	v_ashrrev_i32_e32 v9, 31, v8
	v_lshlrev_b64 v[8:9], 4, v[8:9]
	v_add_co_u32_e32 v8, vcc, s4, v8
	v_addc_co_u32_e32 v9, vcc, v28, v9, vcc
	global_load_dwordx4 v[38:41], v[8:9], off offset:48
	global_load_dwordx4 v[42:45], v[8:9], off offset:32
	;; [unrolled: 1-line block ×3, first 2 shown]
	global_load_dwordx4 v[50:53], v[8:9], off
	v_add_co_u32_e32 v18, vcc, 0x10000, v18
	v_addc_co_u32_e32 v19, vcc, 0, v19, vcc
	s_waitcnt vmcnt(0)
	v_fmac_f64_e32 v[0:1], v[10:11], v[50:51]
	v_fmac_f64_e32 v[76:77], v[12:13], v[50:51]
	v_fma_f64 v[0:1], -v[12:13], v[52:53], v[0:1]
	v_fmac_f64_e32 v[76:77], v[10:11], v[52:53]
	v_fmac_f64_e32 v[0:1], v[34:35], v[46:47]
	v_fmac_f64_e32 v[76:77], v[36:37], v[46:47]
	v_fma_f64 v[0:1], -v[36:37], v[48:49], v[0:1]
	v_fmac_f64_e32 v[76:77], v[34:35], v[48:49]
	v_fmac_f64_e32 v[0:1], v[30:31], v[42:43]
	v_fmac_f64_e32 v[76:77], v[32:33], v[42:43]
	v_fma_f64 v[0:1], -v[32:33], v[44:45], v[0:1]
	v_fmac_f64_e32 v[76:77], v[30:31], v[44:45]
	v_fmac_f64_e32 v[0:1], v[20:21], v[38:39]
	v_fmac_f64_e32 v[76:77], v[22:23], v[38:39]
	v_fma_f64 v[58:59], -v[22:23], v[40:41], v[0:1]
	v_fmac_f64_e32 v[76:77], v[20:21], v[40:41]
	global_load_dwordx4 v[8:11], v[24:25], off offset:112
	global_load_dwordx4 v[12:15], v[24:25], off offset:96
	global_load_dwordx4 v[20:23], v[24:25], off offset:80
	global_load_dwordx4 v[30:33], v[24:25], off offset:64
	s_waitcnt vmcnt(0)
	v_fmac_f64_e32 v[2:3], v[30:31], v[50:51]
	v_fmac_f64_e32 v[74:75], v[32:33], v[50:51]
	v_fma_f64 v[0:1], -v[32:33], v[52:53], v[2:3]
	v_fmac_f64_e32 v[74:75], v[30:31], v[52:53]
	v_fmac_f64_e32 v[0:1], v[20:21], v[46:47]
	v_fmac_f64_e32 v[74:75], v[22:23], v[46:47]
	v_fma_f64 v[0:1], -v[22:23], v[48:49], v[0:1]
	v_fmac_f64_e32 v[74:75], v[20:21], v[48:49]
	v_fmac_f64_e32 v[0:1], v[12:13], v[42:43]
	v_fmac_f64_e32 v[74:75], v[14:15], v[42:43]
	v_fma_f64 v[0:1], -v[14:15], v[44:45], v[0:1]
	v_fmac_f64_e32 v[74:75], v[12:13], v[44:45]
	v_fmac_f64_e32 v[0:1], v[8:9], v[38:39]
	v_fmac_f64_e32 v[74:75], v[10:11], v[38:39]
	v_fma_f64 v[56:57], -v[10:11], v[40:41], v[0:1]
	v_fmac_f64_e32 v[74:75], v[8:9], v[40:41]
	global_load_dwordx4 v[0:3], v[24:25], off offset:176
	global_load_dwordx4 v[8:11], v[24:25], off offset:160
	global_load_dwordx4 v[12:15], v[24:25], off offset:144
	global_load_dwordx4 v[20:23], v[24:25], off offset:128
	s_waitcnt vmcnt(0)
	v_fmac_f64_e32 v[4:5], v[20:21], v[50:51]
	v_fmac_f64_e32 v[72:73], v[22:23], v[50:51]
	v_fma_f64 v[4:5], -v[22:23], v[52:53], v[4:5]
	v_fmac_f64_e32 v[72:73], v[20:21], v[52:53]
	v_fmac_f64_e32 v[4:5], v[12:13], v[46:47]
	v_fmac_f64_e32 v[72:73], v[14:15], v[46:47]
	v_fma_f64 v[4:5], -v[14:15], v[48:49], v[4:5]
	v_fmac_f64_e32 v[72:73], v[12:13], v[48:49]
	v_fmac_f64_e32 v[4:5], v[8:9], v[42:43]
	v_fmac_f64_e32 v[72:73], v[10:11], v[42:43]
	v_fma_f64 v[4:5], -v[10:11], v[44:45], v[4:5]
	v_fmac_f64_e32 v[72:73], v[8:9], v[44:45]
	v_fmac_f64_e32 v[4:5], v[0:1], v[38:39]
	v_fmac_f64_e32 v[72:73], v[2:3], v[38:39]
	v_fma_f64 v[54:55], -v[2:3], v[40:41], v[4:5]
	v_fmac_f64_e32 v[72:73], v[0:1], v[40:41]
	global_load_dwordx4 v[0:3], v[24:25], off offset:240
	global_load_dwordx4 v[8:11], v[24:25], off offset:224
	global_load_dwordx4 v[12:15], v[24:25], off offset:208
	global_load_dwordx4 v[20:23], v[24:25], off offset:192
	s_waitcnt vmcnt(0)
	v_fmac_f64_e32 v[6:7], v[20:21], v[50:51]
	v_fmac_f64_e32 v[70:71], v[22:23], v[50:51]
	v_fma_f64 v[4:5], -v[22:23], v[52:53], v[6:7]
	v_fmac_f64_e32 v[70:71], v[20:21], v[52:53]
	v_fmac_f64_e32 v[4:5], v[12:13], v[46:47]
	v_fmac_f64_e32 v[70:71], v[14:15], v[46:47]
	v_fma_f64 v[4:5], -v[14:15], v[48:49], v[4:5]
	v_fmac_f64_e32 v[70:71], v[12:13], v[48:49]
	;; [unrolled: 4-line block ×4, first 2 shown]
	s_andn2_b64 exec, exec, s[16:17]
	s_cbranch_execnz .LBB19_23
; %bb.24:
	s_or_b64 exec, exec, s[16:17]
.LBB19_25:
	s_or_b64 exec, exec, s[14:15]
.LBB19_26:
	s_or_b64 exec, exec, s[10:11]
	s_andn2_b64 vcc, exec, s[8:9]
	s_cbranch_vccz .LBB19_28
	s_branch .LBB19_39
.LBB19_27:
                                        ; implicit-def: $vgpr76_vgpr77
                                        ; implicit-def: $vgpr58_vgpr59
                                        ; implicit-def: $vgpr52_vgpr53
                                        ; implicit-def: $vgpr70_vgpr71
                                        ; implicit-def: $vgpr54_vgpr55
                                        ; implicit-def: $vgpr72_vgpr73
                                        ; implicit-def: $vgpr56_vgpr57
                                        ; implicit-def: $vgpr74_vgpr75
.LBB19_28:
	v_pk_mov_b32 v[76:77], 0, 0
	v_pk_mov_b32 v[58:59], v[76:77], v[76:77] op_sel:[0,1]
	v_pk_mov_b32 v[52:53], v[76:77], v[76:77] op_sel:[0,1]
	;; [unrolled: 1-line block ×7, first 2 shown]
	s_and_saveexec_b64 s[8:9], s[0:1]
	s_cbranch_execz .LBB19_38
; %bb.29:
	v_add_u32_e32 v0, v26, v69
	v_subrev_u32_e32 v0, s20, v0
	v_add_u32_e32 v0, 64, v0
	v_max_i32_e32 v0, v0, v90
	v_not_b32_e32 v1, v26
	v_add3_u32 v0, v0, s20, v1
	v_sub_u32_e32 v0, v0, v69
	v_lshrrev_b32_e32 v1, 6, v0
	v_add_u32_e32 v1, 1, v1
	v_and_b32_e32 v1, 3, v1
	v_pk_mov_b32 v[74:75], 0, 0
	v_cmp_ne_u32_e32 vcc, 0, v1
	v_pk_mov_b32 v[56:57], v[74:75], v[74:75] op_sel:[0,1]
	v_pk_mov_b32 v[72:73], v[74:75], v[74:75] op_sel:[0,1]
	;; [unrolled: 1-line block ×7, first 2 shown]
	s_and_saveexec_b64 s[0:1], vcc
	s_cbranch_execz .LBB19_33
; %bb.30:
	v_pk_mov_b32 v[76:77], 0, 0
	v_lshlrev_b32_e32 v1, 8, v1
	s_mov_b64 s[2:3], 0
	v_mov_b32_e32 v2, s13
	v_mov_b32_e32 v3, s5
	v_pk_mov_b32 v[58:59], v[76:77], v[76:77] op_sel:[0,1]
	v_pk_mov_b32 v[52:53], v[76:77], v[76:77] op_sel:[0,1]
	;; [unrolled: 1-line block ×7, first 2 shown]
.LBB19_31:                              ; =>This Inner Loop Header: Depth=1
	v_ashrrev_i32_e32 v79, 31, v78
	v_lshlrev_b64 v[4:5], 2, v[78:79]
	v_add_co_u32_e32 v92, vcc, s12, v4
	v_addc_co_u32_e32 v93, vcc, v2, v5, vcc
	global_load_dword v79, v[92:93], off
	global_load_dwordx4 v[4:7], v[80:81], off offset:48
	global_load_dwordx4 v[8:11], v[80:81], off offset:32
	;; [unrolled: 1-line block ×3, first 2 shown]
	global_load_dwordx4 v[16:19], v[80:81], off
	global_load_dwordx4 v[20:23], v[80:81], off offset:112
	global_load_dwordx4 v[24:27], v[80:81], off offset:96
	;; [unrolled: 1-line block ×10, first 2 shown]
                                        ; kill: killed $vgpr92 killed $vgpr93
	global_load_dwordx4 v[92:95], v[80:81], off offset:224
	global_load_dwordx4 v[96:99], v[80:81], off offset:240
	v_add_u32_e32 v1, 0xffffff00, v1
	v_add_u32_e32 v78, 64, v78
	s_waitcnt vmcnt(16)
	v_subrev_u32_e32 v79, s20, v79
	v_lshlrev_b32_e32 v100, 2, v79
	v_ashrrev_i32_e32 v101, 31, v100
	v_lshlrev_b64 v[100:101], 4, v[100:101]
	v_add_co_u32_e32 v116, vcc, s4, v100
	v_addc_co_u32_e32 v117, vcc, v3, v101, vcc
	global_load_dwordx4 v[100:103], v[116:117], off
	global_load_dwordx4 v[104:107], v[116:117], off offset:16
	global_load_dwordx4 v[108:111], v[116:117], off offset:32
	;; [unrolled: 1-line block ×3, first 2 shown]
	v_add_co_u32_e32 v80, vcc, 0x4000, v80
	v_addc_co_u32_e32 v81, vcc, 0, v81, vcc
	v_cmp_eq_u32_e32 vcc, 0, v1
	s_or_b64 s[2:3], vcc, s[2:3]
	s_waitcnt vmcnt(3)
	v_fmac_f64_e32 v[58:59], v[16:17], v[100:101]
	v_fmac_f64_e32 v[76:77], v[18:19], v[100:101]
	v_fmac_f64_e32 v[56:57], v[12:13], v[100:101]
	v_fmac_f64_e32 v[74:75], v[14:15], v[100:101]
	v_fmac_f64_e32 v[54:55], v[8:9], v[100:101]
	v_fmac_f64_e32 v[72:73], v[10:11], v[100:101]
	v_fmac_f64_e32 v[52:53], v[4:5], v[100:101]
	v_fmac_f64_e32 v[70:71], v[6:7], v[100:101]
	v_fma_f64 v[18:19], -v[18:19], v[102:103], v[58:59]
	v_fmac_f64_e32 v[76:77], v[16:17], v[102:103]
	v_fma_f64 v[14:15], -v[14:15], v[102:103], v[56:57]
	v_fmac_f64_e32 v[74:75], v[12:13], v[102:103]
	v_fma_f64 v[10:11], -v[10:11], v[102:103], v[54:55]
	v_fmac_f64_e32 v[72:73], v[8:9], v[102:103]
	v_fma_f64 v[6:7], -v[6:7], v[102:103], v[52:53]
	v_fmac_f64_e32 v[70:71], v[4:5], v[102:103]
	s_waitcnt vmcnt(2)
	v_fmac_f64_e32 v[18:19], v[32:33], v[104:105]
	v_fmac_f64_e32 v[76:77], v[34:35], v[104:105]
	v_fmac_f64_e32 v[14:15], v[28:29], v[104:105]
	v_fmac_f64_e32 v[74:75], v[30:31], v[104:105]
	v_fmac_f64_e32 v[10:11], v[24:25], v[104:105]
	v_fmac_f64_e32 v[72:73], v[26:27], v[104:105]
	v_fmac_f64_e32 v[6:7], v[20:21], v[104:105]
	v_fmac_f64_e32 v[70:71], v[22:23], v[104:105]
	v_fma_f64 v[4:5], -v[34:35], v[106:107], v[18:19]
	v_fmac_f64_e32 v[76:77], v[32:33], v[106:107]
	v_fma_f64 v[8:9], -v[30:31], v[106:107], v[14:15]
	v_fmac_f64_e32 v[74:75], v[28:29], v[106:107]
	v_fma_f64 v[10:11], -v[26:27], v[106:107], v[10:11]
	v_fmac_f64_e32 v[72:73], v[24:25], v[106:107]
	v_fma_f64 v[6:7], -v[22:23], v[106:107], v[6:7]
	v_fmac_f64_e32 v[70:71], v[20:21], v[106:107]
	;; [unrolled: 17-line block ×4, first 2 shown]
	s_andn2_b64 exec, exec, s[2:3]
	s_cbranch_execnz .LBB19_31
; %bb.32:
	s_or_b64 exec, exec, s[2:3]
.LBB19_33:
	s_or_b64 exec, exec, s[0:1]
	s_movk_i32 s0, 0xbf
	v_cmp_lt_u32_e32 vcc, s0, v0
	s_and_saveexec_b64 s[10:11], vcc
	s_cbranch_execz .LBB19_37
; %bb.34:
	s_mov_b64 s[14:15], 0
	v_mov_b32_e32 v91, s13
	v_mov_b32_e32 v92, s5
	s_movk_i32 s5, 0x4000
	s_mov_b32 s13, 0x8000
	s_mov_b32 s16, 0xc000
.LBB19_35:                              ; =>This Inner Loop Header: Depth=1
	v_ashrrev_i32_e32 v79, 31, v78
	v_lshlrev_b64 v[48:49], 2, v[78:79]
	v_add_co_u32_e32 v82, vcc, s12, v48
	v_addc_co_u32_e32 v83, vcc, v91, v49, vcc
	global_load_dwordx4 v[0:3], v[80:81], off offset:48
	global_load_dwordx4 v[4:7], v[80:81], off offset:32
	;; [unrolled: 1-line block ×3, first 2 shown]
	global_load_dwordx4 v[86:89], v[80:81], off
	global_load_dwordx4 v[12:15], v[80:81], off offset:112
	global_load_dwordx4 v[16:19], v[80:81], off offset:96
	;; [unrolled: 1-line block ×9, first 2 shown]
	global_load_dword v48, v[82:83], off
	v_add_co_u32_e64 v96, s[0:1], s13, v80
	v_add_u32_e32 v78, 0x100, v78
	s_waitcnt vmcnt(0)
	v_subrev_u32_e32 v48, s20, v48
	v_lshlrev_b32_e32 v48, 2, v48
	v_ashrrev_i32_e32 v49, 31, v48
	v_lshlrev_b64 v[48:49], 4, v[48:49]
	v_add_co_u32_e32 v84, vcc, s4, v48
	v_addc_co_u32_e32 v85, vcc, v92, v49, vcc
	global_load_dwordx4 v[48:51], v[84:85], off
	v_add_co_u32_e32 v94, vcc, s5, v80
	v_addc_co_u32_e32 v95, vcc, 0, v81, vcc
	v_addc_co_u32_e64 v97, vcc, 0, v81, s[0:1]
	s_waitcnt vmcnt(0)
	v_fmac_f64_e32 v[52:53], v[0:1], v[48:49]
	v_fmac_f64_e32 v[70:71], v[2:3], v[48:49]
	v_fma_f64 v[52:53], -v[2:3], v[50:51], v[52:53]
	v_fmac_f64_e32 v[70:71], v[0:1], v[50:51]
	global_load_dwordx4 v[0:3], v[84:85], off offset:16
	v_fmac_f64_e32 v[58:59], v[86:87], v[48:49]
	v_fmac_f64_e32 v[76:77], v[88:89], v[48:49]
	v_fmac_f64_e32 v[56:57], v[8:9], v[48:49]
	v_fmac_f64_e32 v[74:75], v[10:11], v[48:49]
	v_fmac_f64_e32 v[54:55], v[4:5], v[48:49]
	v_fmac_f64_e32 v[72:73], v[6:7], v[48:49]
	v_fma_f64 v[58:59], -v[88:89], v[50:51], v[58:59]
	v_fmac_f64_e32 v[76:77], v[86:87], v[50:51]
	v_fma_f64 v[56:57], -v[10:11], v[50:51], v[56:57]
	v_fmac_f64_e32 v[74:75], v[8:9], v[50:51]
	;; [unrolled: 2-line block ×3, first 2 shown]
	global_load_dwordx4 v[86:89], v[80:81], off offset:224
	global_load_dwordx4 v[8:11], v[80:81], off offset:208
	;; [unrolled: 1-line block ×3, first 2 shown]
	v_add_co_u32_e64 v48, s[2:3], s16, v80
	v_addc_co_u32_e64 v49, vcc, 0, v81, s[2:3]
	s_waitcnt vmcnt(3)
	v_fmac_f64_e32 v[58:59], v[24:25], v[0:1]
	v_fmac_f64_e32 v[76:77], v[26:27], v[0:1]
	;; [unrolled: 1-line block ×8, first 2 shown]
	v_fma_f64 v[50:51], -v[26:27], v[2:3], v[58:59]
	v_fmac_f64_e32 v[76:77], v[24:25], v[2:3]
	global_load_dwordx4 v[24:27], v[94:95], off offset:48
	v_fma_f64 v[56:57], -v[22:23], v[2:3], v[56:57]
	v_fmac_f64_e32 v[74:75], v[20:21], v[2:3]
	global_load_dwordx4 v[20:23], v[94:95], off offset:32
	v_fma_f64 v[54:55], -v[18:19], v[2:3], v[54:55]
	v_fmac_f64_e32 v[72:73], v[16:17], v[2:3]
	global_load_dwordx4 v[16:19], v[94:95], off
	v_fma_f64 v[52:53], -v[14:15], v[2:3], v[52:53]
	v_fmac_f64_e32 v[70:71], v[12:13], v[2:3]
	global_load_dwordx4 v[0:3], v[94:95], off offset:16
	global_load_dwordx4 v[12:15], v[84:85], off offset:32
	s_waitcnt vmcnt(0)
	v_fmac_f64_e32 v[50:51], v[40:41], v[12:13]
	v_fmac_f64_e32 v[76:77], v[42:43], v[12:13]
	;; [unrolled: 1-line block ×8, first 2 shown]
	v_fma_f64 v[50:51], -v[42:43], v[14:15], v[50:51]
	v_fmac_f64_e32 v[76:77], v[40:41], v[14:15]
	global_load_dwordx4 v[40:43], v[94:95], off offset:112
	v_fma_f64 v[56:57], -v[38:39], v[14:15], v[56:57]
	v_fmac_f64_e32 v[74:75], v[36:37], v[14:15]
	global_load_dwordx4 v[36:39], v[94:95], off offset:96
	;; [unrolled: 3-line block ×4, first 2 shown]
	global_load_dwordx4 v[28:31], v[84:85], off offset:48
	s_waitcnt vmcnt(0)
	v_fmac_f64_e32 v[50:51], v[4:5], v[28:29]
	v_fmac_f64_e32 v[76:77], v[6:7], v[28:29]
	;; [unrolled: 1-line block ×8, first 2 shown]
	v_fma_f64 v[84:85], -v[6:7], v[30:31], v[50:51]
	v_fmac_f64_e32 v[76:77], v[4:5], v[30:31]
	global_load_dwordx4 v[4:7], v[94:95], off offset:176
	v_fma_f64 v[56:57], -v[10:11], v[30:31], v[56:57]
	v_fmac_f64_e32 v[74:75], v[8:9], v[30:31]
	global_load_dwordx4 v[8:11], v[94:95], off offset:160
	global_load_dwordx4 v[50:53], v[94:95], off offset:144
	v_fma_f64 v[54:55], -v[88:89], v[30:31], v[54:55]
	v_fmac_f64_e32 v[72:73], v[86:87], v[30:31]
	v_fma_f64 v[58:59], -v[46:47], v[30:31], v[58:59]
	v_fmac_f64_e32 v[70:71], v[44:45], v[30:31]
	global_load_dwordx4 v[28:31], v[94:95], off offset:128
	global_load_dword v44, v[82:83], off offset:256
	s_waitcnt vmcnt(0)
	v_subrev_u32_e32 v44, s20, v44
	v_lshlrev_b32_e32 v44, 2, v44
	v_ashrrev_i32_e32 v45, 31, v44
	v_lshlrev_b64 v[44:45], 4, v[44:45]
	v_add_co_u32_e32 v86, vcc, s4, v44
	v_addc_co_u32_e32 v87, vcc, v92, v45, vcc
	global_load_dwordx4 v[44:47], v[86:87], off
	s_waitcnt vmcnt(0)
	v_fmac_f64_e32 v[84:85], v[16:17], v[44:45]
	v_fmac_f64_e32 v[76:77], v[18:19], v[44:45]
	;; [unrolled: 1-line block ×8, first 2 shown]
	v_fma_f64 v[84:85], -v[18:19], v[46:47], v[84:85]
	v_fmac_f64_e32 v[76:77], v[16:17], v[46:47]
	global_load_dwordx4 v[16:19], v[94:95], off offset:240
	v_fma_f64 v[56:57], -v[2:3], v[46:47], v[56:57]
	v_fmac_f64_e32 v[74:75], v[0:1], v[46:47]
	global_load_dwordx4 v[0:3], v[94:95], off offset:224
	;; [unrolled: 3-line block ×4, first 2 shown]
	global_load_dwordx4 v[44:47], v[86:87], off offset:16
	s_waitcnt vmcnt(0)
	v_fmac_f64_e32 v[84:85], v[12:13], v[44:45]
	v_fmac_f64_e32 v[76:77], v[14:15], v[44:45]
	v_fmac_f64_e32 v[56:57], v[32:33], v[44:45]
	v_fmac_f64_e32 v[74:75], v[34:35], v[44:45]
	v_fmac_f64_e32 v[54:55], v[36:37], v[44:45]
	v_fmac_f64_e32 v[72:73], v[38:39], v[44:45]
	v_fmac_f64_e32 v[58:59], v[40:41], v[44:45]
	v_fmac_f64_e32 v[70:71], v[42:43], v[44:45]
	v_fma_f64 v[84:85], -v[14:15], v[46:47], v[84:85]
	v_fmac_f64_e32 v[76:77], v[12:13], v[46:47]
	global_load_dwordx4 v[12:15], v[96:97], off offset:48
	v_fma_f64 v[56:57], -v[34:35], v[46:47], v[56:57]
	v_fmac_f64_e32 v[74:75], v[32:33], v[46:47]
	global_load_dwordx4 v[32:35], v[96:97], off offset:32
	v_fma_f64 v[54:55], -v[38:39], v[46:47], v[54:55]
	v_fmac_f64_e32 v[72:73], v[36:37], v[46:47]
	global_load_dwordx4 v[36:39], v[96:97], off
	v_fma_f64 v[58:59], -v[42:43], v[46:47], v[58:59]
	v_fmac_f64_e32 v[70:71], v[40:41], v[46:47]
	global_load_dwordx4 v[40:43], v[96:97], off offset:16
	global_load_dwordx4 v[44:47], v[86:87], off offset:32
	s_waitcnt vmcnt(0)
	v_fmac_f64_e32 v[84:85], v[28:29], v[44:45]
	v_fmac_f64_e32 v[76:77], v[30:31], v[44:45]
	v_fmac_f64_e32 v[56:57], v[50:51], v[44:45]
	v_fmac_f64_e32 v[74:75], v[52:53], v[44:45]
	v_fmac_f64_e32 v[54:55], v[8:9], v[44:45]
	v_fmac_f64_e32 v[72:73], v[10:11], v[44:45]
	v_fmac_f64_e32 v[58:59], v[4:5], v[44:45]
	v_fmac_f64_e32 v[70:71], v[6:7], v[44:45]
	v_fma_f64 v[84:85], -v[30:31], v[46:47], v[84:85]
	v_fmac_f64_e32 v[76:77], v[28:29], v[46:47]
	global_load_dwordx4 v[28:31], v[96:97], off offset:112
	v_fma_f64 v[88:89], -v[52:53], v[46:47], v[56:57]
	v_fmac_f64_e32 v[74:75], v[50:51], v[46:47]
	global_load_dwordx4 v[50:53], v[96:97], off offset:96
	;; [unrolled: 3-line block ×4, first 2 shown]
	global_load_dwordx4 v[44:47], v[96:97], off offset:176
	global_load_dwordx4 v[54:57], v[86:87], off offset:48
	s_waitcnt vmcnt(0)
	v_fmac_f64_e32 v[72:73], v[2:3], v[54:55]
	v_fmac_f64_e32 v[94:95], v[0:1], v[54:55]
	;; [unrolled: 1-line block ×3, first 2 shown]
	global_load_dword v0, v[82:83], off offset:512
	v_fmac_f64_e32 v[58:59], v[16:17], v[54:55]
	v_fmac_f64_e32 v[84:85], v[24:25], v[54:55]
	;; [unrolled: 1-line block ×6, first 2 shown]
	v_fma_f64 v[54:55], -v[18:19], v[56:57], v[58:59]
	v_fma_f64 v[94:95], -v[2:3], v[56:57], v[94:95]
	;; [unrolled: 1-line block ×3, first 2 shown]
	v_fmac_f64_e32 v[76:77], v[24:25], v[56:57]
	v_fma_f64 v[88:89], -v[22:23], v[56:57], v[88:89]
	v_fmac_f64_e32 v[74:75], v[20:21], v[56:57]
	v_fmac_f64_e32 v[70:71], v[16:17], v[56:57]
	global_load_dwordx4 v[24:27], v[96:97], off offset:160
	global_load_dwordx4 v[20:23], v[96:97], off offset:144
	;; [unrolled: 1-line block ×3, first 2 shown]
	s_waitcnt vmcnt(3)
	v_subrev_u32_e32 v0, s20, v0
	v_lshlrev_b32_e32 v0, 2, v0
	v_ashrrev_i32_e32 v1, 31, v0
	v_lshlrev_b64 v[0:1], 4, v[0:1]
	v_add_co_u32_e32 v58, vcc, s4, v0
	v_addc_co_u32_e32 v59, vcc, v92, v1, vcc
	global_load_dwordx4 v[0:3], v[58:59], off
	s_waitcnt vmcnt(0)
	v_fmac_f64_e32 v[98:99], v[36:37], v[0:1]
	v_fmac_f64_e32 v[76:77], v[38:39], v[0:1]
	;; [unrolled: 1-line block ×8, first 2 shown]
	v_fma_f64 v[56:57], -v[38:39], v[2:3], v[98:99]
	v_fmac_f64_e32 v[76:77], v[36:37], v[2:3]
	global_load_dwordx4 v[36:39], v[96:97], off offset:240
	v_fma_f64 v[88:89], -v[42:43], v[2:3], v[88:89]
	v_fmac_f64_e32 v[74:75], v[40:41], v[2:3]
	global_load_dwordx4 v[40:43], v[96:97], off offset:224
	;; [unrolled: 3-line block ×3, first 2 shown]
	global_load_dwordx4 v[16:19], v[96:97], off offset:192
	v_fma_f64 v[14:15], -v[14:15], v[2:3], v[54:55]
	v_fmac_f64_e32 v[70:71], v[12:13], v[2:3]
	global_load_dwordx4 v[94:97], v[48:49], off offset:48
	global_load_dwordx4 v[0:3], v[58:59], off offset:16
	global_load_dwordx4 v[98:101], v[48:49], off
	s_waitcnt vmcnt(1)
	v_fmac_f64_e32 v[56:57], v[4:5], v[0:1]
	v_fmac_f64_e32 v[76:77], v[6:7], v[0:1]
	;; [unrolled: 1-line block ×8, first 2 shown]
	v_fma_f64 v[12:13], -v[6:7], v[2:3], v[56:57]
	v_fmac_f64_e32 v[76:77], v[4:5], v[2:3]
	global_load_dwordx4 v[54:57], v[48:49], off offset:32
	v_fma_f64 v[88:89], -v[10:11], v[2:3], v[88:89]
	v_fmac_f64_e32 v[74:75], v[8:9], v[2:3]
	v_fma_f64 v[102:103], -v[52:53], v[2:3], v[102:103]
	v_fmac_f64_e32 v[72:73], v[50:51], v[2:3]
	global_load_dwordx4 v[50:53], v[48:49], off offset:16
	v_fma_f64 v[14:15], -v[30:31], v[2:3], v[14:15]
	v_fmac_f64_e32 v[70:71], v[28:29], v[2:3]
	global_load_dwordx4 v[0:3], v[48:49], off offset:112
	global_load_dwordx4 v[4:7], v[58:59], off offset:32
	;; [unrolled: 1-line block ×4, first 2 shown]
	s_waitcnt vmcnt(2)
	v_fmac_f64_e32 v[12:13], v[84:85], v[4:5]
	v_fmac_f64_e32 v[76:77], v[86:87], v[4:5]
	v_fmac_f64_e32 v[88:89], v[20:21], v[4:5]
	v_fmac_f64_e32 v[74:75], v[22:23], v[4:5]
	v_fmac_f64_e32 v[102:103], v[24:25], v[4:5]
	v_fmac_f64_e32 v[72:73], v[26:27], v[4:5]
	v_fmac_f64_e32 v[14:15], v[44:45], v[4:5]
	v_fmac_f64_e32 v[70:71], v[46:47], v[4:5]
	v_fma_f64 v[86:87], -v[86:87], v[6:7], v[12:13]
	v_fmac_f64_e32 v[76:77], v[84:85], v[6:7]
	v_fma_f64 v[84:85], -v[22:23], v[6:7], v[88:89]
	v_fmac_f64_e32 v[74:75], v[20:21], v[6:7]
	global_load_dwordx4 v[20:23], v[48:49], off offset:80
	v_fma_f64 v[88:89], -v[26:27], v[6:7], v[102:103]
	v_fmac_f64_e32 v[72:73], v[24:25], v[6:7]
	v_fma_f64 v[46:47], -v[46:47], v[6:7], v[14:15]
	v_fmac_f64_e32 v[70:71], v[44:45], v[6:7]
	global_load_dwordx4 v[4:7], v[48:49], off offset:176
	global_load_dwordx4 v[12:15], v[58:59], off offset:48
	;; [unrolled: 1-line block ×3, first 2 shown]
	s_waitcnt vmcnt(1)
	v_fmac_f64_e32 v[86:87], v[16:17], v[12:13]
	v_fmac_f64_e32 v[76:77], v[18:19], v[12:13]
	;; [unrolled: 1-line block ×8, first 2 shown]
	v_fma_f64 v[44:45], -v[18:19], v[14:15], v[86:87]
	v_fmac_f64_e32 v[76:77], v[16:17], v[14:15]
	global_load_dwordx4 v[16:19], v[48:49], off offset:160
	v_fma_f64 v[58:59], -v[34:35], v[14:15], v[84:85]
	v_fmac_f64_e32 v[74:75], v[32:33], v[14:15]
	global_load_dwordx4 v[32:35], v[48:49], off offset:128
	v_fma_f64 v[86:87], -v[42:43], v[14:15], v[88:89]
	v_fmac_f64_e32 v[72:73], v[40:41], v[14:15]
	v_fma_f64 v[88:89], -v[38:39], v[14:15], v[46:47]
	v_fmac_f64_e32 v[70:71], v[36:37], v[14:15]
	global_load_dwordx4 v[12:15], v[48:49], off offset:224
	global_load_dword v36, v[82:83], off offset:768
	s_waitcnt vmcnt(0)
	v_subrev_u32_e32 v36, s20, v36
	v_lshlrev_b32_e32 v36, 2, v36
	v_ashrrev_i32_e32 v37, 31, v36
	v_lshlrev_b64 v[36:37], 4, v[36:37]
	v_add_co_u32_e32 v106, vcc, s4, v36
	v_addc_co_u32_e32 v107, vcc, v92, v37, vcc
	global_load_dwordx4 v[102:105], v[106:107], off
	global_load_dwordx4 v[36:39], v[48:49], off offset:208
	v_add_co_u32_e32 v80, vcc, 0x10000, v80
	v_addc_co_u32_e32 v81, vcc, 0, v81, vcc
	v_cmp_ge_i32_e32 vcc, v78, v90
	s_or_b64 s[14:15], vcc, s[14:15]
	s_waitcnt vmcnt(1)
	v_fmac_f64_e32 v[44:45], v[98:99], v[102:103]
	v_fmac_f64_e32 v[58:59], v[50:51], v[102:103]
	v_fmac_f64_e32 v[86:87], v[54:55], v[102:103]
	v_fma_f64 v[82:83], -v[100:101], v[104:105], v[44:45]
	v_fma_f64 v[84:85], -v[52:53], v[104:105], v[58:59]
	global_load_dwordx4 v[44:47], v[48:49], off offset:192
	global_load_dwordx4 v[40:43], v[48:49], off offset:240
	v_fmac_f64_e32 v[72:73], v[56:57], v[102:103]
	v_fma_f64 v[86:87], -v[56:57], v[104:105], v[86:87]
	global_load_dwordx4 v[56:59], v[106:107], off offset:16
	v_fmac_f64_e32 v[74:75], v[52:53], v[102:103]
	v_fmac_f64_e32 v[74:75], v[50:51], v[104:105]
	;; [unrolled: 1-line block ×3, first 2 shown]
	global_load_dwordx4 v[52:55], v[106:107], off offset:32
	global_load_dwordx4 v[48:51], v[106:107], off offset:48
	v_fmac_f64_e32 v[76:77], v[100:101], v[102:103]
	v_fmac_f64_e32 v[88:89], v[94:95], v[102:103]
	;; [unrolled: 1-line block ×4, first 2 shown]
	v_fma_f64 v[88:89], -v[96:97], v[104:105], v[88:89]
	v_fmac_f64_e32 v[70:71], v[94:95], v[104:105]
	s_waitcnt vmcnt(2)
	v_fmac_f64_e32 v[82:83], v[28:29], v[56:57]
	v_fmac_f64_e32 v[76:77], v[30:31], v[56:57]
	v_fmac_f64_e32 v[84:85], v[20:21], v[56:57]
	v_fmac_f64_e32 v[74:75], v[22:23], v[56:57]
	v_fmac_f64_e32 v[86:87], v[8:9], v[56:57]
	v_fmac_f64_e32 v[72:73], v[10:11], v[56:57]
	v_fmac_f64_e32 v[88:89], v[0:1], v[56:57]
	v_fmac_f64_e32 v[70:71], v[2:3], v[56:57]
	v_fma_f64 v[30:31], -v[30:31], v[58:59], v[82:83]
	v_fmac_f64_e32 v[76:77], v[28:29], v[58:59]
	v_fma_f64 v[22:23], -v[22:23], v[58:59], v[84:85]
	v_fmac_f64_e32 v[74:75], v[20:21], v[58:59]
	v_fma_f64 v[10:11], -v[10:11], v[58:59], v[86:87]
	v_fmac_f64_e32 v[72:73], v[8:9], v[58:59]
	v_fma_f64 v[2:3], -v[2:3], v[58:59], v[88:89]
	v_fmac_f64_e32 v[70:71], v[0:1], v[58:59]
	s_waitcnt vmcnt(1)
	v_fmac_f64_e32 v[30:31], v[32:33], v[52:53]
	v_fmac_f64_e32 v[76:77], v[34:35], v[52:53]
	v_fmac_f64_e32 v[22:23], v[24:25], v[52:53]
	v_fmac_f64_e32 v[74:75], v[26:27], v[52:53]
	v_fmac_f64_e32 v[10:11], v[16:17], v[52:53]
	v_fmac_f64_e32 v[72:73], v[18:19], v[52:53]
	v_fmac_f64_e32 v[2:3], v[4:5], v[52:53]
	v_fmac_f64_e32 v[70:71], v[6:7], v[52:53]
	v_fma_f64 v[0:1], -v[34:35], v[54:55], v[30:31]
	v_fmac_f64_e32 v[76:77], v[32:33], v[54:55]
	v_fma_f64 v[8:9], -v[26:27], v[54:55], v[22:23]
	v_fmac_f64_e32 v[74:75], v[24:25], v[54:55]
	v_fma_f64 v[10:11], -v[18:19], v[54:55], v[10:11]
	v_fmac_f64_e32 v[72:73], v[16:17], v[54:55]
	;; [unrolled: 17-line block ×3, first 2 shown]
	v_fma_f64 v[52:53], -v[42:43], v[50:51], v[2:3]
	v_fmac_f64_e32 v[70:71], v[40:41], v[50:51]
	s_andn2_b64 exec, exec, s[14:15]
	s_cbranch_execnz .LBB19_35
; %bb.36:
	s_or_b64 exec, exec, s[14:15]
.LBB19_37:
	s_or_b64 exec, exec, s[10:11]
.LBB19_38:
	s_or_b64 exec, exec, s[8:9]
.LBB19_39:
	v_mov_b32_dpp v0, v58 row_shr:1 row_mask:0xf bank_mask:0xf
	v_mov_b32_dpp v1, v59 row_shr:1 row_mask:0xf bank_mask:0xf
	v_mov_b32_dpp v4, v76 row_shr:1 row_mask:0xf bank_mask:0xf
	v_mov_b32_dpp v5, v77 row_shr:1 row_mask:0xf bank_mask:0xf
	v_mov_b32_dpp v8, v56 row_shr:1 row_mask:0xf bank_mask:0xf
	v_mov_b32_dpp v9, v57 row_shr:1 row_mask:0xf bank_mask:0xf
	v_mov_b32_dpp v12, v74 row_shr:1 row_mask:0xf bank_mask:0xf
	v_mov_b32_dpp v13, v75 row_shr:1 row_mask:0xf bank_mask:0xf
	v_mov_b32_dpp v16, v54 row_shr:1 row_mask:0xf bank_mask:0xf
	v_mov_b32_dpp v17, v55 row_shr:1 row_mask:0xf bank_mask:0xf
	v_mov_b32_dpp v20, v72 row_shr:1 row_mask:0xf bank_mask:0xf
	v_mov_b32_dpp v21, v73 row_shr:1 row_mask:0xf bank_mask:0xf
	v_mov_b32_dpp v24, v52 row_shr:1 row_mask:0xf bank_mask:0xf
	v_mov_b32_dpp v25, v53 row_shr:1 row_mask:0xf bank_mask:0xf
	v_mov_b32_dpp v28, v70 row_shr:1 row_mask:0xf bank_mask:0xf
	v_mov_b32_dpp v29, v71 row_shr:1 row_mask:0xf bank_mask:0xf
	v_add_f64 v[0:1], v[58:59], v[0:1]
	v_add_f64 v[4:5], v[76:77], v[4:5]
	v_add_f64 v[8:9], v[56:57], v[8:9]
	v_add_f64 v[12:13], v[74:75], v[12:13]
	v_add_f64 v[16:17], v[54:55], v[16:17]
	v_add_f64 v[20:21], v[72:73], v[20:21]
	v_add_f64 v[24:25], v[52:53], v[24:25]
	v_add_f64 v[28:29], v[70:71], v[28:29]
	v_mov_b32_dpp v2, v0 row_shr:2 row_mask:0xf bank_mask:0xf
	v_mov_b32_dpp v3, v1 row_shr:2 row_mask:0xf bank_mask:0xf
	v_mov_b32_dpp v6, v4 row_shr:2 row_mask:0xf bank_mask:0xf
	v_mov_b32_dpp v7, v5 row_shr:2 row_mask:0xf bank_mask:0xf
	v_mov_b32_dpp v10, v8 row_shr:2 row_mask:0xf bank_mask:0xf
	v_mov_b32_dpp v11, v9 row_shr:2 row_mask:0xf bank_mask:0xf
	v_mov_b32_dpp v14, v12 row_shr:2 row_mask:0xf bank_mask:0xf
	v_mov_b32_dpp v15, v13 row_shr:2 row_mask:0xf bank_mask:0xf
	v_mov_b32_dpp v18, v16 row_shr:2 row_mask:0xf bank_mask:0xf
	v_mov_b32_dpp v19, v17 row_shr:2 row_mask:0xf bank_mask:0xf
	v_mov_b32_dpp v22, v20 row_shr:2 row_mask:0xf bank_mask:0xf
	v_mov_b32_dpp v23, v21 row_shr:2 row_mask:0xf bank_mask:0xf
	v_mov_b32_dpp v26, v24 row_shr:2 row_mask:0xf bank_mask:0xf
	v_mov_b32_dpp v27, v25 row_shr:2 row_mask:0xf bank_mask:0xf
	v_mov_b32_dpp v30, v28 row_shr:2 row_mask:0xf bank_mask:0xf
	v_mov_b32_dpp v31, v29 row_shr:2 row_mask:0xf bank_mask:0xf
	v_add_f64 v[0:1], v[0:1], v[2:3]
	v_add_f64 v[4:5], v[4:5], v[6:7]
	v_add_f64 v[8:9], v[8:9], v[10:11]
	v_add_f64 v[12:13], v[12:13], v[14:15]
	v_add_f64 v[16:17], v[16:17], v[18:19]
	v_add_f64 v[20:21], v[20:21], v[22:23]
	v_add_f64 v[24:25], v[24:25], v[26:27]
	v_add_f64 v[28:29], v[28:29], v[30:31]
	v_mov_b32_dpp v2, v0 row_shr:4 row_mask:0xf bank_mask:0xe
	v_mov_b32_dpp v3, v1 row_shr:4 row_mask:0xf bank_mask:0xe
	v_mov_b32_dpp v6, v4 row_shr:4 row_mask:0xf bank_mask:0xe
	v_mov_b32_dpp v7, v5 row_shr:4 row_mask:0xf bank_mask:0xe
	v_mov_b32_dpp v10, v8 row_shr:4 row_mask:0xf bank_mask:0xe
	v_mov_b32_dpp v11, v9 row_shr:4 row_mask:0xf bank_mask:0xe
	v_mov_b32_dpp v14, v12 row_shr:4 row_mask:0xf bank_mask:0xe
	v_mov_b32_dpp v15, v13 row_shr:4 row_mask:0xf bank_mask:0xe
	v_mov_b32_dpp v18, v16 row_shr:4 row_mask:0xf bank_mask:0xe
	v_mov_b32_dpp v19, v17 row_shr:4 row_mask:0xf bank_mask:0xe
	v_mov_b32_dpp v22, v20 row_shr:4 row_mask:0xf bank_mask:0xe
	v_mov_b32_dpp v23, v21 row_shr:4 row_mask:0xf bank_mask:0xe
	v_mov_b32_dpp v26, v24 row_shr:4 row_mask:0xf bank_mask:0xe
	v_mov_b32_dpp v27, v25 row_shr:4 row_mask:0xf bank_mask:0xe
	v_mov_b32_dpp v30, v28 row_shr:4 row_mask:0xf bank_mask:0xe
	v_mov_b32_dpp v31, v29 row_shr:4 row_mask:0xf bank_mask:0xe
	v_add_f64 v[0:1], v[0:1], v[2:3]
	v_add_f64 v[4:5], v[4:5], v[6:7]
	v_add_f64 v[8:9], v[8:9], v[10:11]
	v_add_f64 v[12:13], v[12:13], v[14:15]
	v_add_f64 v[16:17], v[16:17], v[18:19]
	v_add_f64 v[20:21], v[20:21], v[22:23]
	v_add_f64 v[24:25], v[24:25], v[26:27]
	v_add_f64 v[28:29], v[28:29], v[30:31]
	v_mov_b32_dpp v2, v0 row_shr:8 row_mask:0xf bank_mask:0xc
	v_mov_b32_dpp v3, v1 row_shr:8 row_mask:0xf bank_mask:0xc
	v_mov_b32_dpp v6, v4 row_shr:8 row_mask:0xf bank_mask:0xc
	v_mov_b32_dpp v7, v5 row_shr:8 row_mask:0xf bank_mask:0xc
	v_mov_b32_dpp v10, v8 row_shr:8 row_mask:0xf bank_mask:0xc
	v_mov_b32_dpp v11, v9 row_shr:8 row_mask:0xf bank_mask:0xc
	v_mov_b32_dpp v14, v12 row_shr:8 row_mask:0xf bank_mask:0xc
	v_mov_b32_dpp v15, v13 row_shr:8 row_mask:0xf bank_mask:0xc
	v_mov_b32_dpp v18, v16 row_shr:8 row_mask:0xf bank_mask:0xc
	v_mov_b32_dpp v19, v17 row_shr:8 row_mask:0xf bank_mask:0xc
	v_mov_b32_dpp v22, v20 row_shr:8 row_mask:0xf bank_mask:0xc
	v_mov_b32_dpp v23, v21 row_shr:8 row_mask:0xf bank_mask:0xc
	v_mov_b32_dpp v26, v24 row_shr:8 row_mask:0xf bank_mask:0xc
	v_mov_b32_dpp v27, v25 row_shr:8 row_mask:0xf bank_mask:0xc
	v_mov_b32_dpp v30, v28 row_shr:8 row_mask:0xf bank_mask:0xc
	v_mov_b32_dpp v31, v29 row_shr:8 row_mask:0xf bank_mask:0xc
	v_add_f64 v[0:1], v[0:1], v[2:3]
	v_add_f64 v[4:5], v[4:5], v[6:7]
	v_add_f64 v[8:9], v[8:9], v[10:11]
	v_add_f64 v[12:13], v[12:13], v[14:15]
	v_add_f64 v[16:17], v[16:17], v[18:19]
	v_add_f64 v[20:21], v[20:21], v[22:23]
	v_add_f64 v[24:25], v[24:25], v[26:27]
	v_add_f64 v[28:29], v[28:29], v[30:31]
	v_mov_b32_dpp v2, v0 row_bcast:15 row_mask:0xa bank_mask:0xf
	v_mov_b32_dpp v3, v1 row_bcast:15 row_mask:0xa bank_mask:0xf
	;; [unrolled: 1-line block ×16, first 2 shown]
	v_add_f64 v[0:1], v[0:1], v[2:3]
	v_add_f64 v[4:5], v[4:5], v[6:7]
	;; [unrolled: 1-line block ×8, first 2 shown]
	v_mov_b32_dpp v2, v0 row_bcast:31 row_mask:0xc bank_mask:0xf
	v_mov_b32_dpp v3, v1 row_bcast:31 row_mask:0xc bank_mask:0xf
	;; [unrolled: 1-line block ×16, first 2 shown]
	v_cmp_eq_u32_e32 vcc, 63, v69
	s_and_b64 exec, exec, vcc
	s_cbranch_execz .LBB19_12
; %bb.40:
	s_load_dwordx2 s[2:3], s[6:7], 0x60
	v_add_f64 v[32:33], v[0:1], v[2:3]
	v_add_f64 v[0:1], v[4:5], v[6:7]
	;; [unrolled: 1-line block ×8, first 2 shown]
	v_cmp_eq_f64_e32 vcc, 0, v[60:61]
	v_cmp_eq_f64_e64 s[0:1], 0, v[62:63]
	v_mul_f64 v[12:13], v[0:1], -v[66:67]
	v_mul_f64 v[14:15], v[64:65], v[0:1]
	v_mul_f64 v[8:9], v[2:3], -v[66:67]
	v_mul_f64 v[10:11], v[64:65], v[2:3]
	;; [unrolled: 2-line block ×4, first 2 shown]
	s_and_b64 s[0:1], vcc, s[0:1]
	v_fmac_f64_e32 v[12:13], v[64:65], v[32:33]
	v_fmac_f64_e32 v[14:15], v[66:67], v[32:33]
	v_lshlrev_b32_e32 v16, 2, v68
	v_fmac_f64_e32 v[8:9], v[64:65], v[34:35]
	v_fmac_f64_e32 v[10:11], v[66:67], v[34:35]
	;; [unrolled: 1-line block ×6, first 2 shown]
	s_and_saveexec_b64 s[4:5], s[0:1]
	s_xor_b64 s[0:1], exec, s[4:5]
	s_cbranch_execz .LBB19_42
; %bb.41:
	v_ashrrev_i32_e32 v17, 31, v16
	v_lshlrev_b64 v[16:17], 4, v[16:17]
	s_waitcnt lgkmcnt(0)
	v_mov_b32_e32 v18, s3
	v_add_co_u32_e32 v16, vcc, s2, v16
	v_addc_co_u32_e32 v17, vcc, v18, v17, vcc
	global_store_dwordx4 v[16:17], v[12:15], off
	global_store_dwordx4 v[16:17], v[8:11], off offset:16
	global_store_dwordx4 v[16:17], v[4:7], off offset:32
	;; [unrolled: 1-line block ×3, first 2 shown]
                                        ; implicit-def: $vgpr60_vgpr61
                                        ; implicit-def: $vgpr62_vgpr63
                                        ; implicit-def: $vgpr12_vgpr13
                                        ; implicit-def: $vgpr16
                                        ; implicit-def: $vgpr8_vgpr9
                                        ; implicit-def: $vgpr4_vgpr5
                                        ; implicit-def: $vgpr0_vgpr1
.LBB19_42:
	s_andn2_saveexec_b64 s[0:1], s[0:1]
	s_cbranch_execz .LBB19_12
; %bb.43:
	v_ashrrev_i32_e32 v17, 31, v16
	v_lshlrev_b64 v[16:17], 4, v[16:17]
	s_waitcnt lgkmcnt(0)
	v_mov_b32_e32 v18, s3
	v_add_co_u32_e32 v32, vcc, s2, v16
	v_addc_co_u32_e32 v33, vcc, v18, v17, vcc
	global_load_dwordx4 v[16:19], v[32:33], off
	global_load_dwordx4 v[20:23], v[32:33], off offset:16
	global_load_dwordx4 v[24:27], v[32:33], off offset:32
	;; [unrolled: 1-line block ×3, first 2 shown]
	s_waitcnt vmcnt(3)
	v_fmac_f64_e32 v[12:13], v[60:61], v[16:17]
	v_fmac_f64_e32 v[14:15], v[62:63], v[16:17]
	s_waitcnt vmcnt(2)
	v_fmac_f64_e32 v[8:9], v[60:61], v[20:21]
	v_fmac_f64_e32 v[10:11], v[62:63], v[20:21]
	;; [unrolled: 3-line block ×4, first 2 shown]
	v_fma_f64 v[12:13], -v[62:63], v[18:19], v[12:13]
	v_fmac_f64_e32 v[14:15], v[60:61], v[18:19]
	v_fma_f64 v[8:9], -v[62:63], v[22:23], v[8:9]
	v_fmac_f64_e32 v[10:11], v[60:61], v[22:23]
	;; [unrolled: 2-line block ×4, first 2 shown]
	global_store_dwordx4 v[32:33], v[12:15], off
	global_store_dwordx4 v[32:33], v[8:11], off offset:16
	global_store_dwordx4 v[32:33], v[4:7], off offset:32
	;; [unrolled: 1-line block ×3, first 2 shown]
	s_endpgm
	.section	.rodata,"a",@progbits
	.p2align	6, 0x0
	.amdhsa_kernel _ZN9rocsparseL18bsrxmvn_4x4_kernelILj128ELj64E21rocsparse_complex_numIdEiiS2_S2_S2_EEvT3_20rocsparse_direction_NS_24const_host_device_scalarIT1_EES3_PKS3_PKT2_SC_S9_PKT4_PKT5_S7_PT6_21rocsparse_index_base_b
		.amdhsa_group_segment_fixed_size 2048
		.amdhsa_private_segment_fixed_size 0
		.amdhsa_kernarg_size 112
		.amdhsa_user_sgpr_count 8
		.amdhsa_user_sgpr_private_segment_buffer 1
		.amdhsa_user_sgpr_dispatch_ptr 1
		.amdhsa_user_sgpr_queue_ptr 0
		.amdhsa_user_sgpr_kernarg_segment_ptr 1
		.amdhsa_user_sgpr_dispatch_id 0
		.amdhsa_user_sgpr_flat_scratch_init 0
		.amdhsa_user_sgpr_kernarg_preload_length 0
		.amdhsa_user_sgpr_kernarg_preload_offset 0
		.amdhsa_user_sgpr_private_segment_size 0
		.amdhsa_uses_dynamic_stack 0
		.amdhsa_system_sgpr_private_segment_wavefront_offset 0
		.amdhsa_system_sgpr_workgroup_id_x 1
		.amdhsa_system_sgpr_workgroup_id_y 0
		.amdhsa_system_sgpr_workgroup_id_z 0
		.amdhsa_system_sgpr_workgroup_info 0
		.amdhsa_system_vgpr_workitem_id 2
		.amdhsa_next_free_vgpr 118
		.amdhsa_next_free_sgpr 22
		.amdhsa_accum_offset 120
		.amdhsa_reserve_vcc 1
		.amdhsa_reserve_flat_scratch 0
		.amdhsa_float_round_mode_32 0
		.amdhsa_float_round_mode_16_64 0
		.amdhsa_float_denorm_mode_32 3
		.amdhsa_float_denorm_mode_16_64 3
		.amdhsa_dx10_clamp 1
		.amdhsa_ieee_mode 1
		.amdhsa_fp16_overflow 0
		.amdhsa_tg_split 0
		.amdhsa_exception_fp_ieee_invalid_op 0
		.amdhsa_exception_fp_denorm_src 0
		.amdhsa_exception_fp_ieee_div_zero 0
		.amdhsa_exception_fp_ieee_overflow 0
		.amdhsa_exception_fp_ieee_underflow 0
		.amdhsa_exception_fp_ieee_inexact 0
		.amdhsa_exception_int_div_zero 0
	.end_amdhsa_kernel
	.section	.text._ZN9rocsparseL18bsrxmvn_4x4_kernelILj128ELj64E21rocsparse_complex_numIdEiiS2_S2_S2_EEvT3_20rocsparse_direction_NS_24const_host_device_scalarIT1_EES3_PKS3_PKT2_SC_S9_PKT4_PKT5_S7_PT6_21rocsparse_index_base_b,"axG",@progbits,_ZN9rocsparseL18bsrxmvn_4x4_kernelILj128ELj64E21rocsparse_complex_numIdEiiS2_S2_S2_EEvT3_20rocsparse_direction_NS_24const_host_device_scalarIT1_EES3_PKS3_PKT2_SC_S9_PKT4_PKT5_S7_PT6_21rocsparse_index_base_b,comdat
.Lfunc_end19:
	.size	_ZN9rocsparseL18bsrxmvn_4x4_kernelILj128ELj64E21rocsparse_complex_numIdEiiS2_S2_S2_EEvT3_20rocsparse_direction_NS_24const_host_device_scalarIT1_EES3_PKS3_PKT2_SC_S9_PKT4_PKT5_S7_PT6_21rocsparse_index_base_b, .Lfunc_end19-_ZN9rocsparseL18bsrxmvn_4x4_kernelILj128ELj64E21rocsparse_complex_numIdEiiS2_S2_S2_EEvT3_20rocsparse_direction_NS_24const_host_device_scalarIT1_EES3_PKS3_PKT2_SC_S9_PKT4_PKT5_S7_PT6_21rocsparse_index_base_b
                                        ; -- End function
	.section	.AMDGPU.csdata,"",@progbits
; Kernel info:
; codeLenInByte = 8588
; NumSgprs: 26
; NumVgprs: 118
; NumAgprs: 0
; TotalNumVgprs: 118
; ScratchSize: 0
; MemoryBound: 1
; FloatMode: 240
; IeeeMode: 1
; LDSByteSize: 2048 bytes/workgroup (compile time only)
; SGPRBlocks: 3
; VGPRBlocks: 14
; NumSGPRsForWavesPerEU: 26
; NumVGPRsForWavesPerEU: 118
; AccumOffset: 120
; Occupancy: 4
; WaveLimiterHint : 1
; COMPUTE_PGM_RSRC2:SCRATCH_EN: 0
; COMPUTE_PGM_RSRC2:USER_SGPR: 8
; COMPUTE_PGM_RSRC2:TRAP_HANDLER: 0
; COMPUTE_PGM_RSRC2:TGID_X_EN: 1
; COMPUTE_PGM_RSRC2:TGID_Y_EN: 0
; COMPUTE_PGM_RSRC2:TGID_Z_EN: 0
; COMPUTE_PGM_RSRC2:TIDIG_COMP_CNT: 2
; COMPUTE_PGM_RSRC3_GFX90A:ACCUM_OFFSET: 29
; COMPUTE_PGM_RSRC3_GFX90A:TG_SPLIT: 0
	.section	.text._ZN9rocsparseL18bsrxmvn_4x4_kernelILj128ELj4EflifffEEvT3_20rocsparse_direction_NS_24const_host_device_scalarIT1_EES1_PKS1_PKT2_SA_S7_PKT4_PKT5_S5_PT6_21rocsparse_index_base_b,"axG",@progbits,_ZN9rocsparseL18bsrxmvn_4x4_kernelILj128ELj4EflifffEEvT3_20rocsparse_direction_NS_24const_host_device_scalarIT1_EES1_PKS1_PKT2_SA_S7_PKT4_PKT5_S5_PT6_21rocsparse_index_base_b,comdat
	.globl	_ZN9rocsparseL18bsrxmvn_4x4_kernelILj128ELj4EflifffEEvT3_20rocsparse_direction_NS_24const_host_device_scalarIT1_EES1_PKS1_PKT2_SA_S7_PKT4_PKT5_S5_PT6_21rocsparse_index_base_b ; -- Begin function _ZN9rocsparseL18bsrxmvn_4x4_kernelILj128ELj4EflifffEEvT3_20rocsparse_direction_NS_24const_host_device_scalarIT1_EES1_PKS1_PKT2_SA_S7_PKT4_PKT5_S5_PT6_21rocsparse_index_base_b
	.p2align	8
	.type	_ZN9rocsparseL18bsrxmvn_4x4_kernelILj128ELj4EflifffEEvT3_20rocsparse_direction_NS_24const_host_device_scalarIT1_EES1_PKS1_PKT2_SA_S7_PKT4_PKT5_S5_PT6_21rocsparse_index_base_b,@function
_ZN9rocsparseL18bsrxmvn_4x4_kernelILj128ELj4EflifffEEvT3_20rocsparse_direction_NS_24const_host_device_scalarIT1_EES1_PKS1_PKT2_SA_S7_PKT4_PKT5_S5_PT6_21rocsparse_index_base_b: ; @_ZN9rocsparseL18bsrxmvn_4x4_kernelILj128ELj4EflifffEEvT3_20rocsparse_direction_NS_24const_host_device_scalarIT1_EES1_PKS1_PKT2_SA_S7_PKT4_PKT5_S5_PT6_21rocsparse_index_base_b
; %bb.0:
	s_load_dwordx2 s[20:21], s[4:5], 0x58
	s_load_dwordx2 s[16:17], s[4:5], 0x8
	;; [unrolled: 1-line block ×3, first 2 shown]
	s_waitcnt lgkmcnt(0)
	s_bitcmp1_b32 s21, 0
	s_cselect_b64 s[2:3], -1, 0
	s_xor_b64 s[0:1], s[2:3], -1
	s_and_b64 vcc, exec, s[2:3]
	s_cbranch_vccnz .LBB20_2
; %bb.1:
	s_load_dword s16, s[16:17], 0x0
.LBB20_2:
	s_andn2_b64 vcc, exec, s[0:1]
	s_cbranch_vccnz .LBB20_4
; %bb.3:
	s_load_dword s18, s[18:19], 0x0
.LBB20_4:
	s_waitcnt lgkmcnt(0)
	v_cmp_neq_f32_e64 s[0:1], s16, 0
	v_cmp_neq_f32_e64 s[2:3], s18, 1.0
	s_or_b64 s[0:1], s[0:1], s[2:3]
	s_andn2_b64 vcc, exec, s[0:1]
	s_cbranch_vccnz .LBB20_10
; %bb.5:
	s_load_dwordx2 s[8:9], s[4:5], 0x18
	s_load_dwordx2 s[0:1], s[4:5], 0x0
	v_lshrrev_b32_e32 v1, 2, v0
	v_lshl_or_b32 v32, s6, 5, v1
	s_mov_b64 s[2:3], 0
	s_waitcnt lgkmcnt(0)
	s_cmp_lg_u64 s[8:9], 0
	s_cbranch_scc0 .LBB20_11
; %bb.6:
	s_load_dword s6, s[4:5], 0x10
                                        ; implicit-def: $vgpr1
	s_waitcnt lgkmcnt(0)
	v_cmp_gt_i32_e32 vcc, s6, v32
	s_and_saveexec_b64 s[6:7], vcc
	s_xor_b64 s[6:7], exec, s[6:7]
	s_cbranch_execz .LBB20_8
; %bb.7:
	v_ashrrev_i32_e32 v33, 31, v32
	v_lshlrev_b64 v[2:3], 2, v[32:33]
	v_mov_b32_e32 v1, s9
	v_add_co_u32_e32 v2, vcc, s8, v2
	v_addc_co_u32_e32 v3, vcc, v1, v3, vcc
	global_load_dword v1, v[2:3], off
	s_mov_b64 s[2:3], exec
	s_waitcnt vmcnt(0)
	v_subrev_u32_e32 v1, s20, v1
.LBB20_8:
	s_or_b64 exec, exec, s[6:7]
	s_branch .LBB20_12
.LBB20_9:
	v_cmp_gt_i32_e32 vcc, s0, v32
	s_andn2_b64 s[2:3], s[2:3], exec
	s_and_b64 s[6:7], vcc, exec
	s_or_b64 s[2:3], s[2:3], s[6:7]
	s_and_saveexec_b64 s[6:7], s[2:3]
	s_cbranch_execnz .LBB20_13
.LBB20_10:
	s_endpgm
.LBB20_11:
                                        ; implicit-def: $vgpr1
	s_cbranch_execnz .LBB20_9
.LBB20_12:
	v_mov_b32_e32 v32, v1
	s_and_saveexec_b64 s[6:7], s[2:3]
	s_cbranch_execz .LBB20_10
.LBB20_13:
	s_load_dwordx8 s[8:15], s[4:5], 0x20
	v_ashrrev_i32_e32 v33, 31, v32
	v_lshlrev_b64 v[2:3], 3, v[32:33]
	v_and_b32_e32 v34, 3, v0
	s_load_dwordx2 s[6:7], s[4:5], 0x40
	s_waitcnt lgkmcnt(0)
	v_mov_b32_e32 v1, s9
	v_add_co_u32_e32 v4, vcc, s8, v2
	v_addc_co_u32_e32 v5, vcc, v1, v3, vcc
	v_add_co_u32_e32 v1, vcc, 8, v4
	global_load_dwordx2 v[46:47], v[4:5], off
	v_addc_co_u32_e32 v4, vcc, 0, v5, vcc
	v_mov_b32_e32 v5, s11
	v_add_co_u32_e32 v2, vcc, s10, v2
	s_cmp_eq_u64 s[10:11], 0
	v_addc_co_u32_e32 v3, vcc, v5, v3, vcc
	s_cselect_b64 vcc, -1, 0
	v_cndmask_b32_e32 v3, v3, v4, vcc
	v_cndmask_b32_e32 v2, v2, v1, vcc
	global_load_dwordx2 v[2:3], v[2:3], off
	v_mov_b32_e32 v4, s15
	s_mov_b32 s17, 0
	v_mov_b32_e32 v43, 0
	s_cmp_eq_u32 s1, 1
	s_waitcnt vmcnt(1)
	v_subrev_co_u32_e32 v0, vcc, s20, v46
	v_subbrev_co_u32_e32 v1, vcc, 0, v47, vcc
	v_add_co_u32_e32 v36, vcc, v0, v34
	v_addc_co_u32_e32 v37, vcc, 0, v1, vcc
	v_lshlrev_b64 v[0:1], 6, v[36:37]
	s_waitcnt vmcnt(0)
	v_subrev_co_u32_e32 v38, vcc, s20, v2
	v_subbrev_co_u32_e32 v39, vcc, 0, v3, vcc
	v_add_co_u32_e32 v40, vcc, s14, v0
	v_addc_co_u32_e32 v41, vcc, v4, v1, vcc
	v_cmp_lt_i64_e64 s[0:1], v[36:37], v[38:39]
	s_cbranch_scc1 .LBB20_25
; %bb.14:
	v_mov_b32_e32 v42, 0
	v_mov_b32_e32 v45, 0
	;; [unrolled: 1-line block ×3, first 2 shown]
	s_and_saveexec_b64 s[8:9], s[0:1]
	s_cbranch_execz .LBB20_24
; %bb.15:
	v_or_b32_e32 v0, 4, v34
	v_mov_b32_e32 v1, s17
	v_subrev_co_u32_e32 v0, vcc, s20, v0
	v_subb_co_u32_e32 v1, vcc, 0, v1, vcc
	v_add_co_u32_e32 v0, vcc, v0, v46
	v_addc_co_u32_e32 v1, vcc, v1, v47, vcc
	v_cmp_gt_i64_e32 vcc, v[0:1], v[38:39]
	v_cndmask_b32_e32 v1, v39, v1, vcc
	v_cndmask_b32_e32 v0, v38, v0, vcc
	v_mov_b32_e32 v4, s17
	v_sub_co_u32_e32 v5, vcc, s20, v34
	v_not_b32_e32 v3, v46
	v_subbrev_co_u32_e32 v4, vcc, 0, v4, vcc
	v_not_b32_e32 v2, v47
	v_add_co_u32_e32 v3, vcc, v5, v3
	v_addc_co_u32_e32 v2, vcc, v4, v2, vcc
	v_add_co_u32_e32 v0, vcc, v3, v0
	v_addc_co_u32_e32 v1, vcc, v2, v1, vcc
	v_lshrrev_b32_e32 v2, 2, v0
	v_add_u32_e32 v2, 1, v2
	v_and_b32_e32 v2, 3, v2
	v_mov_b32_e32 v44, 0
	v_cmp_ne_u32_e32 vcc, 0, v2
	v_mov_b32_e32 v45, v44
	v_mov_b32_e32 v42, v44
	;; [unrolled: 1-line block ×3, first 2 shown]
	v_pk_mov_b32 v[48:49], v[36:37], v[36:37] op_sel:[0,1]
	v_pk_mov_b32 v[50:51], v[40:41], v[40:41] op_sel:[0,1]
	s_and_saveexec_b64 s[2:3], vcc
	s_cbranch_execz .LBB20_19
; %bb.16:
	v_lshlrev_b64 v[4:5], 2, v[36:37]
	v_mov_b32_e32 v3, 0
	v_mov_b32_e32 v6, s13
	v_add_co_u32_e32 v4, vcc, s12, v4
	v_addc_co_u32_e32 v5, vcc, v6, v5, vcc
	v_lshlrev_b32_e32 v2, 4, v2
	s_mov_b64 s[10:11], 0
	v_mov_b32_e32 v6, s7
	s_movk_i32 s14, 0x100
	v_pk_mov_b32 v[50:51], v[40:41], v[40:41] op_sel:[0,1]
	v_pk_mov_b32 v[48:49], v[36:37], v[36:37] op_sel:[0,1]
	v_mov_b32_e32 v44, v3
	v_mov_b32_e32 v45, v3
	v_mov_b32_e32 v42, v3
	v_mov_b32_e32 v43, v3
.LBB20_17:                              ; =>This Inner Loop Header: Depth=1
	global_load_dword v7, v[4:5], off
	global_load_dwordx4 v[8:11], v[50:51], off
	global_load_dwordx4 v[12:15], v[50:51], off offset:16
	global_load_dwordx4 v[16:19], v[50:51], off offset:48
	;; [unrolled: 1-line block ×3, first 2 shown]
	s_waitcnt vmcnt(4)
	v_subrev_u32_e32 v7, s20, v7
	v_lshlrev_b32_e32 v24, 2, v7
	v_ashrrev_i32_e32 v25, 31, v24
	v_lshlrev_b64 v[24:25], 2, v[24:25]
	v_add_co_u32_e32 v24, vcc, s6, v24
	v_addc_co_u32_e32 v25, vcc, v6, v25, vcc
	global_load_dwordx4 v[24:27], v[24:25], off
	v_add_co_u32_e32 v50, vcc, s14, v50
	v_addc_co_u32_e32 v51, vcc, 0, v51, vcc
	v_add_co_u32_e32 v48, vcc, 4, v48
	v_addc_co_u32_e32 v49, vcc, 0, v49, vcc
	;; [unrolled: 2-line block ×3, first 2 shown]
	s_waitcnt vmcnt(4)
	v_mov_b32_e32 v28, v8
	s_waitcnt vmcnt(3)
	v_mov_b32_e32 v29, v12
	v_mov_b32_e32 v12, v9
	;; [unrolled: 1-line block ×5, first 2 shown]
	s_waitcnt vmcnt(1)
	v_mov_b32_e32 v10, v20
	v_mov_b32_e32 v11, v16
	v_add_co_u32_e32 v2, vcc, -16, v2
	v_mov_b32_e32 v16, v21
	v_mov_b32_e32 v20, v22
	;; [unrolled: 1-line block ×4, first 2 shown]
	v_addc_co_u32_e32 v3, vcc, -1, v3, vcc
	v_cmp_eq_u64_e32 vcc, 0, v[2:3]
	s_or_b64 s[10:11], vcc, s[10:11]
	s_waitcnt vmcnt(0)
	v_pk_fma_f32 v[22:23], v[28:29], v[24:25], v[44:45] op_sel_hi:[1,0,1]
	v_pk_fma_f32 v[10:11], v[10:11], v[24:25], v[42:43] op_sel_hi:[1,0,1]
	v_pk_fma_f32 v[12:13], v[12:13], v[24:25], v[22:23] op_sel:[0,1,0]
	v_pk_fma_f32 v[10:11], v[16:17], v[24:25], v[10:11] op_sel:[0,1,0]
	v_mov_b32_e32 v28, v27
	v_pk_fma_f32 v[8:9], v[8:9], v[26:27], v[12:13] op_sel_hi:[1,0,1]
	v_pk_fma_f32 v[10:11], v[20:21], v[26:27], v[10:11] op_sel_hi:[1,0,1]
	;; [unrolled: 1-line block ×4, first 2 shown]
	s_andn2_b64 exec, exec, s[10:11]
	s_cbranch_execnz .LBB20_17
; %bb.18:
	s_or_b64 exec, exec, s[10:11]
.LBB20_19:
	s_or_b64 exec, exec, s[2:3]
	v_cmp_lt_u64_e32 vcc, 11, v[0:1]
	s_and_saveexec_b64 s[10:11], vcc
	s_cbranch_execz .LBB20_23
; %bb.20:
	v_lshlrev_b64 v[0:1], 2, v[48:49]
	v_mov_b32_e32 v2, s13
	v_add_co_u32_e32 v0, vcc, s12, v0
	v_addc_co_u32_e32 v1, vcc, v1, v2, vcc
	v_add_co_u32_e32 v52, vcc, 32, v0
	v_addc_co_u32_e32 v53, vcc, 0, v1, vcc
	s_mov_b64 s[14:15], 0
	v_mov_b32_e32 v33, s7
.LBB20_21:                              ; =>This Inner Loop Header: Depth=1
	global_load_dword v35, v[52:53], off offset:-32
	global_load_dword v86, v[52:53], off offset:-16
	global_load_dword v87, v[52:53], off
	global_load_dwordx4 v[54:57], v[50:51], off
	global_load_dword v88, v[52:53], off offset:16
	global_load_dwordx4 v[28:31], v[50:51], off offset:16
	global_load_dwordx4 v[24:27], v[50:51], off offset:48
	;; [unrolled: 1-line block ×15, first 2 shown]
	v_add_co_u32_e32 v50, vcc, 0x400, v50
	v_addc_co_u32_e32 v51, vcc, 0, v51, vcc
	v_add_co_u32_e64 v48, s[2:3], 16, v48
	v_addc_co_u32_e64 v49, s[2:3], 0, v49, s[2:3]
	v_add_co_u32_e64 v52, s[2:3], 64, v52
	v_addc_co_u32_e64 v53, s[2:3], 0, v53, s[2:3]
	v_cmp_ge_i64_e64 s[2:3], v[48:49], v[38:39]
	s_or_b64 s[14:15], s[2:3], s[14:15]
	s_waitcnt vmcnt(19)
	v_subrev_u32_e32 v35, s20, v35
	s_waitcnt vmcnt(18)
	v_subrev_u32_e32 v89, s20, v86
	;; [unrolled: 2-line block ×3, first 2 shown]
	v_lshlrev_b32_e32 v86, 2, v35
	v_lshlrev_b32_e32 v90, 2, v87
	v_ashrrev_i32_e32 v87, 31, v86
	s_waitcnt vmcnt(16)
	v_mov_b32_e32 v102, v54
	s_waitcnt vmcnt(15)
	v_subrev_u32_e32 v54, s20, v88
	v_lshlrev_b32_e32 v88, 2, v89
	v_lshlrev_b64 v[86:87], 2, v[86:87]
	v_ashrrev_i32_e32 v89, 31, v88
	v_add_co_u32_e32 v104, vcc, s6, v86
	v_lshlrev_b64 v[88:89], 2, v[88:89]
	v_addc_co_u32_e32 v105, vcc, v33, v87, vcc
	v_ashrrev_i32_e32 v91, 31, v90
	v_add_co_u32_e32 v106, vcc, s6, v88
	v_lshlrev_b32_e32 v92, 2, v54
	v_lshlrev_b64 v[90:91], 2, v[90:91]
	v_addc_co_u32_e32 v107, vcc, v33, v89, vcc
	v_ashrrev_i32_e32 v93, 31, v92
	v_add_co_u32_e32 v108, vcc, s6, v90
	v_lshlrev_b64 v[92:93], 2, v[92:93]
	v_addc_co_u32_e32 v109, vcc, v33, v91, vcc
	v_add_co_u32_e32 v110, vcc, s6, v92
	v_addc_co_u32_e32 v111, vcc, v33, v93, vcc
	global_load_dwordx4 v[86:89], v[104:105], off
	global_load_dwordx4 v[90:93], v[106:107], off
	;; [unrolled: 1-line block ×4, first 2 shown]
	s_waitcnt vmcnt(18)
	v_mov_b32_e32 v103, v28
	v_mov_b32_e32 v28, v55
	s_waitcnt vmcnt(16)
	v_mov_b32_e32 v54, v58
	v_mov_b32_e32 v55, v24
	;; [unrolled: 1-line block ×9, first 2 shown]
	s_waitcnt vmcnt(12)
	v_mov_b32_e32 v56, v66
	v_mov_b32_e32 v57, v16
	;; [unrolled: 1-line block ×11, first 2 shown]
	s_waitcnt vmcnt(8)
	v_mov_b32_e32 v60, v74
	v_mov_b32_e32 v14, v65
	s_waitcnt vmcnt(4)
	v_mov_b32_e32 v74, v82
	v_mov_b32_e32 v82, v72
	;; [unrolled: 1-line block ×23, first 2 shown]
	s_waitcnt vmcnt(3)
	v_pk_fma_f32 v[44:45], v[102:103], v[86:87], v[44:45] op_sel_hi:[1,0,1]
	v_pk_fma_f32 v[42:43], v[54:55], v[86:87], v[42:43] op_sel_hi:[1,0,1]
	v_pk_fma_f32 v[28:29], v[28:29], v[86:87], v[44:45] op_sel:[0,1,0]
	v_pk_fma_f32 v[24:25], v[24:25], v[86:87], v[42:43] op_sel:[0,1,0]
	v_mov_b32_e32 v54, v89
	v_pk_fma_f32 v[28:29], v[104:105], v[88:89], v[28:29] op_sel_hi:[1,0,1]
	v_pk_fma_f32 v[24:25], v[58:59], v[88:89], v[24:25] op_sel_hi:[1,0,1]
	v_pk_fma_f32 v[28:29], v[30:31], v[54:55], v[28:29] op_sel_hi:[1,0,1]
	v_pk_fma_f32 v[24:25], v[26:27], v[54:55], v[24:25] op_sel_hi:[1,0,1]
	s_waitcnt vmcnt(2)
	v_pk_fma_f32 v[26:27], v[56:57], v[90:91], v[28:29] op_sel_hi:[1,0,1]
	v_pk_fma_f32 v[24:25], v[68:69], v[90:91], v[24:25] op_sel_hi:[1,0,1]
	v_pk_fma_f32 v[16:17], v[16:17], v[90:91], v[26:27] op_sel:[0,1,0]
	v_pk_fma_f32 v[12:13], v[12:13], v[90:91], v[24:25] op_sel:[0,1,0]
	v_mov_b32_e32 v80, v93
	v_pk_fma_f32 v[16:17], v[66:67], v[92:93], v[16:17] op_sel_hi:[1,0,1]
	v_pk_fma_f32 v[12:13], v[62:63], v[92:93], v[12:13] op_sel_hi:[1,0,1]
	v_pk_fma_f32 v[16:17], v[18:19], v[80:81], v[16:17] op_sel_hi:[1,0,1]
	v_pk_fma_f32 v[12:13], v[14:15], v[80:81], v[12:13] op_sel_hi:[1,0,1]
	;; [unrolled: 10-line block ×4, first 2 shown]
	s_andn2_b64 exec, exec, s[14:15]
	s_cbranch_execnz .LBB20_21
; %bb.22:
	s_or_b64 exec, exec, s[14:15]
.LBB20_23:
	s_or_b64 exec, exec, s[10:11]
.LBB20_24:
	s_or_b64 exec, exec, s[8:9]
	s_cbranch_execz .LBB20_26
	s_branch .LBB20_37
.LBB20_25:
                                        ; implicit-def: $vgpr43
                                        ; implicit-def: $vgpr45
.LBB20_26:
	v_mov_b32_e32 v43, 0
	v_mov_b32_e32 v42, 0
	;; [unrolled: 1-line block ×4, first 2 shown]
	s_and_saveexec_b64 s[2:3], s[0:1]
	s_cbranch_execz .LBB20_36
; %bb.27:
	v_or_b32_e32 v0, 4, v34
	v_mov_b32_e32 v1, s17
	v_subrev_co_u32_e32 v0, vcc, s20, v0
	v_subb_co_u32_e32 v1, vcc, 0, v1, vcc
	v_add_co_u32_e32 v0, vcc, v0, v46
	v_addc_co_u32_e32 v1, vcc, v1, v47, vcc
	v_cmp_gt_i64_e32 vcc, v[0:1], v[38:39]
	v_cndmask_b32_e32 v1, v39, v1, vcc
	v_cndmask_b32_e32 v0, v38, v0, vcc
	v_mov_b32_e32 v4, s17
	v_sub_co_u32_e32 v5, vcc, s20, v34
	v_not_b32_e32 v3, v46
	v_subbrev_co_u32_e32 v4, vcc, 0, v4, vcc
	v_not_b32_e32 v2, v47
	v_add_co_u32_e32 v3, vcc, v5, v3
	v_addc_co_u32_e32 v2, vcc, v4, v2, vcc
	v_add_co_u32_e32 v0, vcc, v3, v0
	v_addc_co_u32_e32 v1, vcc, v2, v1, vcc
	v_lshrrev_b32_e32 v2, 2, v0
	v_add_u32_e32 v2, 1, v2
	v_and_b32_e32 v2, 3, v2
	v_mov_b32_e32 v44, 0
	v_cmp_ne_u32_e32 vcc, 0, v2
	v_mov_b32_e32 v45, v44
	v_mov_b32_e32 v42, v44
	;; [unrolled: 1-line block ×3, first 2 shown]
	s_and_saveexec_b64 s[0:1], vcc
	s_cbranch_execz .LBB20_31
; %bb.28:
	v_lshlrev_b64 v[4:5], 2, v[36:37]
	v_mov_b32_e32 v3, 0
	v_mov_b32_e32 v6, s13
	v_add_co_u32_e32 v4, vcc, s12, v4
	v_addc_co_u32_e32 v5, vcc, v6, v5, vcc
	v_lshlrev_b32_e32 v2, 4, v2
	s_mov_b64 s[8:9], 0
	v_mov_b32_e32 v6, s7
	s_movk_i32 s10, 0x100
	v_mov_b32_e32 v44, v3
	v_mov_b32_e32 v45, v3
	;; [unrolled: 1-line block ×4, first 2 shown]
.LBB20_29:                              ; =>This Inner Loop Header: Depth=1
	global_load_dword v7, v[4:5], off
	global_load_dwordx4 v[8:11], v[40:41], off offset:16
	global_load_dwordx4 v[12:15], v[40:41], off
	s_waitcnt vmcnt(2)
	v_subrev_u32_e32 v7, s20, v7
	v_lshlrev_b32_e32 v16, 2, v7
	v_ashrrev_i32_e32 v17, 31, v16
	v_lshlrev_b64 v[16:17], 2, v[16:17]
	v_add_co_u32_e32 v28, vcc, s6, v16
	v_addc_co_u32_e32 v29, vcc, v6, v17, vcc
	global_load_dwordx4 v[16:19], v[28:29], off
	global_load_dwordx4 v[20:23], v[40:41], off offset:32
	global_load_dwordx4 v[24:27], v[40:41], off offset:48
	v_add_co_u32_e32 v40, vcc, s10, v40
	v_addc_co_u32_e32 v41, vcc, 0, v41, vcc
	v_add_co_u32_e32 v36, vcc, 4, v36
	v_addc_co_u32_e32 v37, vcc, 0, v37, vcc
	;; [unrolled: 2-line block ×3, first 2 shown]
	v_add_co_u32_e32 v2, vcc, -16, v2
	v_addc_co_u32_e32 v3, vcc, -1, v3, vcc
	v_cmp_eq_u64_e32 vcc, 0, v[2:3]
	s_or_b64 s[8:9], vcc, s[8:9]
	s_waitcnt vmcnt(2)
	v_pk_fma_f32 v[12:13], v[12:13], v[16:17], v[44:45] op_sel_hi:[1,0,1]
	v_pk_fma_f32 v[14:15], v[14:15], v[16:17], v[42:43] op_sel_hi:[1,0,1]
	v_pk_fma_f32 v[8:9], v[8:9], v[16:17], v[12:13] op_sel:[0,1,0]
	v_pk_fma_f32 v[10:11], v[10:11], v[16:17], v[14:15] op_sel:[0,1,0]
	v_mov_b32_e32 v28, v19
	s_waitcnt vmcnt(1)
	v_pk_fma_f32 v[8:9], v[20:21], v[18:19], v[8:9] op_sel_hi:[1,0,1]
	v_pk_fma_f32 v[10:11], v[22:23], v[18:19], v[10:11] op_sel_hi:[1,0,1]
	s_waitcnt vmcnt(0)
	v_pk_fma_f32 v[44:45], v[24:25], v[28:29], v[8:9] op_sel_hi:[1,0,1]
	v_pk_fma_f32 v[42:43], v[26:27], v[28:29], v[10:11] op_sel_hi:[1,0,1]
	s_andn2_b64 exec, exec, s[8:9]
	s_cbranch_execnz .LBB20_29
; %bb.30:
	s_or_b64 exec, exec, s[8:9]
.LBB20_31:
	s_or_b64 exec, exec, s[0:1]
	v_cmp_lt_u64_e32 vcc, 11, v[0:1]
	s_and_saveexec_b64 s[8:9], vcc
	s_cbranch_execz .LBB20_35
; %bb.32:
	v_lshlrev_b64 v[0:1], 2, v[36:37]
	v_mov_b32_e32 v2, s13
	v_add_co_u32_e32 v0, vcc, s12, v0
	v_addc_co_u32_e32 v1, vcc, v1, v2, vcc
	v_add_co_u32_e32 v0, vcc, 32, v0
	v_addc_co_u32_e32 v1, vcc, 0, v1, vcc
	s_mov_b64 s[10:11], 0
	v_mov_b32_e32 v2, s7
.LBB20_33:                              ; =>This Inner Loop Header: Depth=1
	global_load_dword v3, v[0:1], off offset:-32
	global_load_dword v33, v[0:1], off offset:-16
	global_load_dword v35, v[0:1], off
	global_load_dword v74, v[0:1], off offset:16
	global_load_dwordx4 v[4:7], v[40:41], off offset:48
	global_load_dwordx4 v[8:11], v[40:41], off offset:32
	;; [unrolled: 1-line block ×3, first 2 shown]
	global_load_dwordx4 v[16:19], v[40:41], off
	global_load_dwordx4 v[20:23], v[40:41], off offset:304
	global_load_dwordx4 v[24:27], v[40:41], off offset:288
	;; [unrolled: 1-line block ×10, first 2 shown]
	s_waitcnt vmcnt(17)
	v_subrev_u32_e32 v3, s20, v3
	s_waitcnt vmcnt(16)
	v_subrev_u32_e32 v33, s20, v33
	v_lshlrev_b32_e32 v76, 2, v33
	s_waitcnt vmcnt(14)
	v_subrev_u32_e32 v75, s20, v74
	v_lshlrev_b32_e32 v74, 2, v3
	v_lshlrev_b32_e32 v80, 2, v75
	v_ashrrev_i32_e32 v75, 31, v74
	v_lshlrev_b64 v[74:75], 2, v[74:75]
	v_subrev_u32_e32 v35, s20, v35
	v_ashrrev_i32_e32 v77, 31, v76
	v_add_co_u32_e32 v98, vcc, s6, v74
	v_lshlrev_b32_e32 v78, 2, v35
	v_lshlrev_b64 v[76:77], 2, v[76:77]
	v_addc_co_u32_e32 v99, vcc, v2, v75, vcc
	v_ashrrev_i32_e32 v79, 31, v78
	v_add_co_u32_e32 v100, vcc, s6, v76
	v_lshlrev_b64 v[78:79], 2, v[78:79]
	v_addc_co_u32_e32 v101, vcc, v2, v77, vcc
	v_ashrrev_i32_e32 v81, 31, v80
	v_add_co_u32_e32 v102, vcc, s6, v78
	v_lshlrev_b64 v[80:81], 2, v[80:81]
	v_addc_co_u32_e32 v103, vcc, v2, v79, vcc
	v_add_co_u32_e32 v104, vcc, s6, v80
	v_addc_co_u32_e32 v105, vcc, v2, v81, vcc
	global_load_dwordx4 v[74:77], v[98:99], off
	global_load_dwordx4 v[78:81], v[100:101], off
	;; [unrolled: 1-line block ×4, first 2 shown]
	global_load_dwordx4 v[90:93], v[40:41], off offset:800
	global_load_dwordx4 v[94:97], v[40:41], off offset:816
	v_add_co_u32_e32 v36, vcc, 16, v36
	v_addc_co_u32_e32 v37, vcc, 0, v37, vcc
	v_add_co_u32_e32 v0, vcc, 64, v0
	v_addc_co_u32_e32 v1, vcc, 0, v1, vcc
	v_add_co_u32_e32 v40, vcc, 0x400, v40
	v_cmp_ge_i64_e64 s[0:1], v[36:37], v[38:39]
	v_addc_co_u32_e32 v41, vcc, 0, v41, vcc
	s_or_b64 s[10:11], s[0:1], s[10:11]
	s_waitcnt vmcnt(5)
	v_pk_fma_f32 v[16:17], v[16:17], v[74:75], v[44:45] op_sel_hi:[1,0,1]
	v_pk_fma_f32 v[18:19], v[18:19], v[74:75], v[42:43] op_sel_hi:[1,0,1]
	v_pk_fma_f32 v[12:13], v[12:13], v[74:75], v[16:17] op_sel:[0,1,0]
	v_pk_fma_f32 v[14:15], v[14:15], v[74:75], v[18:19] op_sel:[0,1,0]
	v_mov_b32_e32 v42, v77
	v_pk_fma_f32 v[8:9], v[8:9], v[76:77], v[12:13] op_sel_hi:[1,0,1]
	v_pk_fma_f32 v[10:11], v[10:11], v[76:77], v[14:15] op_sel_hi:[1,0,1]
	v_pk_fma_f32 v[4:5], v[4:5], v[42:43], v[8:9] op_sel_hi:[1,0,1]
	v_pk_fma_f32 v[6:7], v[6:7], v[42:43], v[10:11] op_sel_hi:[1,0,1]
	s_waitcnt vmcnt(4)
	v_pk_fma_f32 v[4:5], v[46:47], v[78:79], v[4:5] op_sel_hi:[1,0,1]
	v_pk_fma_f32 v[6:7], v[48:49], v[78:79], v[6:7] op_sel_hi:[1,0,1]
	v_pk_fma_f32 v[4:5], v[28:29], v[78:79], v[4:5] op_sel:[0,1,0]
	v_pk_fma_f32 v[6:7], v[30:31], v[78:79], v[6:7] op_sel:[0,1,0]
	v_mov_b32_e32 v44, v81
	v_pk_fma_f32 v[4:5], v[24:25], v[80:81], v[4:5] op_sel_hi:[1,0,1]
	v_pk_fma_f32 v[6:7], v[26:27], v[80:81], v[6:7] op_sel_hi:[1,0,1]
	v_pk_fma_f32 v[4:5], v[20:21], v[44:45], v[4:5] op_sel_hi:[1,0,1]
	v_pk_fma_f32 v[6:7], v[22:23], v[44:45], v[6:7] op_sel_hi:[1,0,1]
	;; [unrolled: 10-line block ×3, first 2 shown]
	s_waitcnt vmcnt(2)
	v_pk_fma_f32 v[4:5], v[70:71], v[86:87], v[4:5] op_sel_hi:[1,0,1]
	v_pk_fma_f32 v[6:7], v[72:73], v[86:87], v[6:7] op_sel_hi:[1,0,1]
	v_pk_fma_f32 v[4:5], v[66:67], v[86:87], v[4:5] op_sel:[0,1,0]
	v_pk_fma_f32 v[6:7], v[68:69], v[86:87], v[6:7] op_sel:[0,1,0]
	v_mov_b32_e32 v100, v89
	s_waitcnt vmcnt(1)
	v_pk_fma_f32 v[4:5], v[90:91], v[88:89], v[4:5] op_sel_hi:[1,0,1]
	v_pk_fma_f32 v[6:7], v[92:93], v[88:89], v[6:7] op_sel_hi:[1,0,1]
	s_waitcnt vmcnt(0)
	v_pk_fma_f32 v[44:45], v[94:95], v[100:101], v[4:5] op_sel_hi:[1,0,1]
	v_pk_fma_f32 v[42:43], v[96:97], v[100:101], v[6:7] op_sel_hi:[1,0,1]
	s_andn2_b64 exec, exec, s[10:11]
	s_cbranch_execnz .LBB20_33
; %bb.34:
	s_or_b64 exec, exec, s[10:11]
.LBB20_35:
	s_or_b64 exec, exec, s[8:9]
.LBB20_36:
	s_or_b64 exec, exec, s[2:3]
.LBB20_37:
	v_mov_b32_dpp v0, v44 row_shr:1 row_mask:0xf bank_mask:0xf
	v_mov_b32_dpp v1, v45 row_shr:1 row_mask:0xf bank_mask:0xf
	v_mov_b32_dpp v4, v42 row_shr:1 row_mask:0xf bank_mask:0xf
	v_mov_b32_dpp v5, v43 row_shr:1 row_mask:0xf bank_mask:0xf
	v_pk_add_f32 v[0:1], v[44:45], v[0:1]
	v_pk_add_f32 v[4:5], v[42:43], v[4:5]
	v_cmp_eq_u32_e32 vcc, 3, v34
	v_mov_b32_dpp v2, v0 row_shr:2 row_mask:0xf bank_mask:0xf
	v_mov_b32_dpp v3, v1 row_shr:2 row_mask:0xf bank_mask:0xf
	;; [unrolled: 1-line block ×4, first 2 shown]
	s_and_b64 exec, exec, vcc
	s_cbranch_execz .LBB20_10
; %bb.38:
	s_load_dwordx2 s[0:1], s[4:5], 0x50
	v_cmp_eq_f32_e64 s[2:3], s18, 0
	v_pk_add_f32 v[2:3], v[0:1], v[2:3]
	v_pk_add_f32 v[0:1], v[4:5], v[6:7]
	s_and_b64 vcc, exec, s[2:3]
	v_lshlrev_b32_e32 v4, 2, v32
	s_cbranch_vccz .LBB20_40
; %bb.39:
	v_ashrrev_i32_e32 v5, 31, v4
	v_lshlrev_b64 v[6:7], 2, v[4:5]
	s_waitcnt lgkmcnt(0)
	v_mov_b32_e32 v5, s1
	v_add_co_u32_e32 v10, vcc, s0, v6
	v_addc_co_u32_e32 v11, vcc, v5, v7, vcc
	v_pk_mul_f32 v[6:7], s[16:17], v[2:3] op_sel_hi:[0,1]
	v_pk_mul_f32 v[8:9], s[16:17], v[0:1] op_sel_hi:[0,1]
	global_store_dwordx4 v[10:11], v[6:9], off
	s_cbranch_execnz .LBB20_10
	s_branch .LBB20_41
.LBB20_40:
.LBB20_41:
	v_ashrrev_i32_e32 v5, 31, v4
	v_lshlrev_b64 v[4:5], 2, v[4:5]
	s_waitcnt lgkmcnt(0)
	v_mov_b32_e32 v6, s1
	v_add_co_u32_e32 v8, vcc, s0, v4
	v_addc_co_u32_e32 v9, vcc, v6, v5, vcc
	global_load_dwordx4 v[4:7], v[8:9], off
	v_pk_mul_f32 v[2:3], s[16:17], v[2:3] op_sel_hi:[0,1]
	v_pk_mul_f32 v[10:11], s[16:17], v[0:1] op_sel_hi:[0,1]
	s_waitcnt vmcnt(0)
	v_pk_fma_f32 v[0:1], s[18:19], v[4:5], v[2:3] op_sel_hi:[0,1,1]
	v_pk_fma_f32 v[2:3], s[18:19], v[6:7], v[10:11] op_sel_hi:[0,1,1]
	global_store_dwordx4 v[8:9], v[0:3], off
	s_endpgm
	.section	.rodata,"a",@progbits
	.p2align	6, 0x0
	.amdhsa_kernel _ZN9rocsparseL18bsrxmvn_4x4_kernelILj128ELj4EflifffEEvT3_20rocsparse_direction_NS_24const_host_device_scalarIT1_EES1_PKS1_PKT2_SA_S7_PKT4_PKT5_S5_PT6_21rocsparse_index_base_b
		.amdhsa_group_segment_fixed_size 0
		.amdhsa_private_segment_fixed_size 0
		.amdhsa_kernarg_size 96
		.amdhsa_user_sgpr_count 6
		.amdhsa_user_sgpr_private_segment_buffer 1
		.amdhsa_user_sgpr_dispatch_ptr 0
		.amdhsa_user_sgpr_queue_ptr 0
		.amdhsa_user_sgpr_kernarg_segment_ptr 1
		.amdhsa_user_sgpr_dispatch_id 0
		.amdhsa_user_sgpr_flat_scratch_init 0
		.amdhsa_user_sgpr_kernarg_preload_length 0
		.amdhsa_user_sgpr_kernarg_preload_offset 0
		.amdhsa_user_sgpr_private_segment_size 0
		.amdhsa_uses_dynamic_stack 0
		.amdhsa_system_sgpr_private_segment_wavefront_offset 0
		.amdhsa_system_sgpr_workgroup_id_x 1
		.amdhsa_system_sgpr_workgroup_id_y 0
		.amdhsa_system_sgpr_workgroup_id_z 0
		.amdhsa_system_sgpr_workgroup_info 0
		.amdhsa_system_vgpr_workitem_id 0
		.amdhsa_next_free_vgpr 112
		.amdhsa_next_free_sgpr 22
		.amdhsa_accum_offset 112
		.amdhsa_reserve_vcc 1
		.amdhsa_reserve_flat_scratch 0
		.amdhsa_float_round_mode_32 0
		.amdhsa_float_round_mode_16_64 0
		.amdhsa_float_denorm_mode_32 3
		.amdhsa_float_denorm_mode_16_64 3
		.amdhsa_dx10_clamp 1
		.amdhsa_ieee_mode 1
		.amdhsa_fp16_overflow 0
		.amdhsa_tg_split 0
		.amdhsa_exception_fp_ieee_invalid_op 0
		.amdhsa_exception_fp_denorm_src 0
		.amdhsa_exception_fp_ieee_div_zero 0
		.amdhsa_exception_fp_ieee_overflow 0
		.amdhsa_exception_fp_ieee_underflow 0
		.amdhsa_exception_fp_ieee_inexact 0
		.amdhsa_exception_int_div_zero 0
	.end_amdhsa_kernel
	.section	.text._ZN9rocsparseL18bsrxmvn_4x4_kernelILj128ELj4EflifffEEvT3_20rocsparse_direction_NS_24const_host_device_scalarIT1_EES1_PKS1_PKT2_SA_S7_PKT4_PKT5_S5_PT6_21rocsparse_index_base_b,"axG",@progbits,_ZN9rocsparseL18bsrxmvn_4x4_kernelILj128ELj4EflifffEEvT3_20rocsparse_direction_NS_24const_host_device_scalarIT1_EES1_PKS1_PKT2_SA_S7_PKT4_PKT5_S5_PT6_21rocsparse_index_base_b,comdat
.Lfunc_end20:
	.size	_ZN9rocsparseL18bsrxmvn_4x4_kernelILj128ELj4EflifffEEvT3_20rocsparse_direction_NS_24const_host_device_scalarIT1_EES1_PKS1_PKT2_SA_S7_PKT4_PKT5_S5_PT6_21rocsparse_index_base_b, .Lfunc_end20-_ZN9rocsparseL18bsrxmvn_4x4_kernelILj128ELj4EflifffEEvT3_20rocsparse_direction_NS_24const_host_device_scalarIT1_EES1_PKS1_PKT2_SA_S7_PKT4_PKT5_S5_PT6_21rocsparse_index_base_b
                                        ; -- End function
	.section	.AMDGPU.csdata,"",@progbits
; Kernel info:
; codeLenInByte = 3300
; NumSgprs: 26
; NumVgprs: 112
; NumAgprs: 0
; TotalNumVgprs: 112
; ScratchSize: 0
; MemoryBound: 0
; FloatMode: 240
; IeeeMode: 1
; LDSByteSize: 0 bytes/workgroup (compile time only)
; SGPRBlocks: 3
; VGPRBlocks: 13
; NumSGPRsForWavesPerEU: 26
; NumVGPRsForWavesPerEU: 112
; AccumOffset: 112
; Occupancy: 4
; WaveLimiterHint : 1
; COMPUTE_PGM_RSRC2:SCRATCH_EN: 0
; COMPUTE_PGM_RSRC2:USER_SGPR: 6
; COMPUTE_PGM_RSRC2:TRAP_HANDLER: 0
; COMPUTE_PGM_RSRC2:TGID_X_EN: 1
; COMPUTE_PGM_RSRC2:TGID_Y_EN: 0
; COMPUTE_PGM_RSRC2:TGID_Z_EN: 0
; COMPUTE_PGM_RSRC2:TIDIG_COMP_CNT: 0
; COMPUTE_PGM_RSRC3_GFX90A:ACCUM_OFFSET: 27
; COMPUTE_PGM_RSRC3_GFX90A:TG_SPLIT: 0
	.section	.text._ZN9rocsparseL18bsrxmvn_4x4_kernelILj128ELj8EflifffEEvT3_20rocsparse_direction_NS_24const_host_device_scalarIT1_EES1_PKS1_PKT2_SA_S7_PKT4_PKT5_S5_PT6_21rocsparse_index_base_b,"axG",@progbits,_ZN9rocsparseL18bsrxmvn_4x4_kernelILj128ELj8EflifffEEvT3_20rocsparse_direction_NS_24const_host_device_scalarIT1_EES1_PKS1_PKT2_SA_S7_PKT4_PKT5_S5_PT6_21rocsparse_index_base_b,comdat
	.globl	_ZN9rocsparseL18bsrxmvn_4x4_kernelILj128ELj8EflifffEEvT3_20rocsparse_direction_NS_24const_host_device_scalarIT1_EES1_PKS1_PKT2_SA_S7_PKT4_PKT5_S5_PT6_21rocsparse_index_base_b ; -- Begin function _ZN9rocsparseL18bsrxmvn_4x4_kernelILj128ELj8EflifffEEvT3_20rocsparse_direction_NS_24const_host_device_scalarIT1_EES1_PKS1_PKT2_SA_S7_PKT4_PKT5_S5_PT6_21rocsparse_index_base_b
	.p2align	8
	.type	_ZN9rocsparseL18bsrxmvn_4x4_kernelILj128ELj8EflifffEEvT3_20rocsparse_direction_NS_24const_host_device_scalarIT1_EES1_PKS1_PKT2_SA_S7_PKT4_PKT5_S5_PT6_21rocsparse_index_base_b,@function
_ZN9rocsparseL18bsrxmvn_4x4_kernelILj128ELj8EflifffEEvT3_20rocsparse_direction_NS_24const_host_device_scalarIT1_EES1_PKS1_PKT2_SA_S7_PKT4_PKT5_S5_PT6_21rocsparse_index_base_b: ; @_ZN9rocsparseL18bsrxmvn_4x4_kernelILj128ELj8EflifffEEvT3_20rocsparse_direction_NS_24const_host_device_scalarIT1_EES1_PKS1_PKT2_SA_S7_PKT4_PKT5_S5_PT6_21rocsparse_index_base_b
; %bb.0:
	s_load_dwordx2 s[20:21], s[4:5], 0x58
	s_load_dwordx2 s[16:17], s[4:5], 0x8
	;; [unrolled: 1-line block ×3, first 2 shown]
	s_waitcnt lgkmcnt(0)
	s_bitcmp1_b32 s21, 0
	s_cselect_b64 s[2:3], -1, 0
	s_xor_b64 s[0:1], s[2:3], -1
	s_and_b64 vcc, exec, s[2:3]
	s_cbranch_vccnz .LBB21_2
; %bb.1:
	s_load_dword s16, s[16:17], 0x0
.LBB21_2:
	s_andn2_b64 vcc, exec, s[0:1]
	s_cbranch_vccnz .LBB21_4
; %bb.3:
	s_load_dword s18, s[18:19], 0x0
.LBB21_4:
	s_waitcnt lgkmcnt(0)
	v_cmp_neq_f32_e64 s[0:1], s16, 0
	v_cmp_neq_f32_e64 s[2:3], s18, 1.0
	s_or_b64 s[0:1], s[0:1], s[2:3]
	s_andn2_b64 vcc, exec, s[0:1]
	s_cbranch_vccnz .LBB21_10
; %bb.5:
	s_load_dwordx2 s[8:9], s[4:5], 0x18
	s_load_dwordx2 s[0:1], s[4:5], 0x0
	v_lshrrev_b32_e32 v1, 3, v0
	v_lshl_or_b32 v32, s6, 4, v1
	s_mov_b64 s[2:3], 0
	s_waitcnt lgkmcnt(0)
	s_cmp_lg_u64 s[8:9], 0
	s_cbranch_scc0 .LBB21_11
; %bb.6:
	s_load_dword s6, s[4:5], 0x10
                                        ; implicit-def: $vgpr1
	s_waitcnt lgkmcnt(0)
	v_cmp_gt_i32_e32 vcc, s6, v32
	s_and_saveexec_b64 s[6:7], vcc
	s_xor_b64 s[6:7], exec, s[6:7]
	s_cbranch_execz .LBB21_8
; %bb.7:
	v_ashrrev_i32_e32 v33, 31, v32
	v_lshlrev_b64 v[2:3], 2, v[32:33]
	v_mov_b32_e32 v1, s9
	v_add_co_u32_e32 v2, vcc, s8, v2
	v_addc_co_u32_e32 v3, vcc, v1, v3, vcc
	global_load_dword v1, v[2:3], off
	s_mov_b64 s[2:3], exec
	s_waitcnt vmcnt(0)
	v_subrev_u32_e32 v1, s20, v1
.LBB21_8:
	s_or_b64 exec, exec, s[6:7]
	s_branch .LBB21_12
.LBB21_9:
	v_cmp_gt_i32_e32 vcc, s0, v32
	s_andn2_b64 s[2:3], s[2:3], exec
	s_and_b64 s[6:7], vcc, exec
	s_or_b64 s[2:3], s[2:3], s[6:7]
	s_and_saveexec_b64 s[6:7], s[2:3]
	s_cbranch_execnz .LBB21_13
.LBB21_10:
	s_endpgm
.LBB21_11:
                                        ; implicit-def: $vgpr1
	s_cbranch_execnz .LBB21_9
.LBB21_12:
	v_mov_b32_e32 v32, v1
	s_and_saveexec_b64 s[6:7], s[2:3]
	s_cbranch_execz .LBB21_10
.LBB21_13:
	s_load_dwordx8 s[8:15], s[4:5], 0x20
	v_ashrrev_i32_e32 v33, 31, v32
	v_lshlrev_b64 v[2:3], 3, v[32:33]
	v_and_b32_e32 v34, 7, v0
	s_load_dwordx2 s[6:7], s[4:5], 0x40
	s_waitcnt lgkmcnt(0)
	v_mov_b32_e32 v1, s9
	v_add_co_u32_e32 v4, vcc, s8, v2
	v_addc_co_u32_e32 v5, vcc, v1, v3, vcc
	v_add_co_u32_e32 v1, vcc, 8, v4
	global_load_dwordx2 v[46:47], v[4:5], off
	v_addc_co_u32_e32 v4, vcc, 0, v5, vcc
	v_mov_b32_e32 v5, s11
	v_add_co_u32_e32 v2, vcc, s10, v2
	s_cmp_eq_u64 s[10:11], 0
	v_addc_co_u32_e32 v3, vcc, v5, v3, vcc
	s_cselect_b64 vcc, -1, 0
	v_cndmask_b32_e32 v3, v3, v4, vcc
	v_cndmask_b32_e32 v2, v2, v1, vcc
	global_load_dwordx2 v[2:3], v[2:3], off
	v_mov_b32_e32 v4, s15
	s_mov_b32 s17, 0
	v_mov_b32_e32 v43, 0
	s_cmp_eq_u32 s1, 1
	s_waitcnt vmcnt(1)
	v_subrev_co_u32_e32 v0, vcc, s20, v46
	v_subbrev_co_u32_e32 v1, vcc, 0, v47, vcc
	v_add_co_u32_e32 v36, vcc, v0, v34
	v_addc_co_u32_e32 v37, vcc, 0, v1, vcc
	v_lshlrev_b64 v[0:1], 6, v[36:37]
	s_waitcnt vmcnt(0)
	v_subrev_co_u32_e32 v38, vcc, s20, v2
	v_subbrev_co_u32_e32 v39, vcc, 0, v3, vcc
	v_add_co_u32_e32 v40, vcc, s14, v0
	v_addc_co_u32_e32 v41, vcc, v4, v1, vcc
	v_cmp_lt_i64_e64 s[0:1], v[36:37], v[38:39]
	s_cbranch_scc1 .LBB21_25
; %bb.14:
	v_mov_b32_e32 v42, 0
	v_mov_b32_e32 v45, 0
	;; [unrolled: 1-line block ×3, first 2 shown]
	s_and_saveexec_b64 s[8:9], s[0:1]
	s_cbranch_execz .LBB21_24
; %bb.15:
	v_or_b32_e32 v0, 8, v34
	v_mov_b32_e32 v1, s17
	v_subrev_co_u32_e32 v0, vcc, s20, v0
	v_subb_co_u32_e32 v1, vcc, 0, v1, vcc
	v_add_co_u32_e32 v0, vcc, v0, v46
	v_addc_co_u32_e32 v1, vcc, v1, v47, vcc
	v_cmp_gt_i64_e32 vcc, v[0:1], v[38:39]
	v_cndmask_b32_e32 v1, v39, v1, vcc
	v_cndmask_b32_e32 v0, v38, v0, vcc
	v_mov_b32_e32 v4, s17
	v_sub_co_u32_e32 v5, vcc, s20, v34
	v_not_b32_e32 v3, v46
	v_subbrev_co_u32_e32 v4, vcc, 0, v4, vcc
	v_not_b32_e32 v2, v47
	v_add_co_u32_e32 v3, vcc, v5, v3
	v_addc_co_u32_e32 v2, vcc, v4, v2, vcc
	v_add_co_u32_e32 v0, vcc, v3, v0
	v_addc_co_u32_e32 v1, vcc, v2, v1, vcc
	v_lshrrev_b32_e32 v2, 3, v0
	v_add_u32_e32 v2, 1, v2
	v_and_b32_e32 v2, 3, v2
	v_mov_b32_e32 v44, 0
	v_cmp_ne_u32_e32 vcc, 0, v2
	v_mov_b32_e32 v45, v44
	v_mov_b32_e32 v42, v44
	;; [unrolled: 1-line block ×3, first 2 shown]
	v_pk_mov_b32 v[48:49], v[36:37], v[36:37] op_sel:[0,1]
	v_pk_mov_b32 v[50:51], v[40:41], v[40:41] op_sel:[0,1]
	s_and_saveexec_b64 s[2:3], vcc
	s_cbranch_execz .LBB21_19
; %bb.16:
	v_lshlrev_b64 v[4:5], 2, v[36:37]
	v_mov_b32_e32 v3, 0
	v_mov_b32_e32 v6, s13
	v_add_co_u32_e32 v4, vcc, s12, v4
	v_addc_co_u32_e32 v5, vcc, v6, v5, vcc
	v_lshlrev_b32_e32 v2, 4, v2
	s_mov_b64 s[10:11], 0
	v_mov_b32_e32 v6, s7
	s_movk_i32 s14, 0x200
	v_pk_mov_b32 v[50:51], v[40:41], v[40:41] op_sel:[0,1]
	v_pk_mov_b32 v[48:49], v[36:37], v[36:37] op_sel:[0,1]
	v_mov_b32_e32 v43, v3
	v_mov_b32_e32 v42, v3
	;; [unrolled: 1-line block ×4, first 2 shown]
.LBB21_17:                              ; =>This Inner Loop Header: Depth=1
	global_load_dword v7, v[4:5], off
	global_load_dwordx4 v[8:11], v[50:51], off
	global_load_dwordx4 v[12:15], v[50:51], off offset:16
	global_load_dwordx4 v[16:19], v[50:51], off offset:48
	;; [unrolled: 1-line block ×3, first 2 shown]
	s_waitcnt vmcnt(4)
	v_subrev_u32_e32 v7, s20, v7
	v_lshlrev_b32_e32 v24, 2, v7
	v_ashrrev_i32_e32 v25, 31, v24
	v_lshlrev_b64 v[24:25], 2, v[24:25]
	v_add_co_u32_e32 v24, vcc, s6, v24
	v_addc_co_u32_e32 v25, vcc, v6, v25, vcc
	global_load_dwordx4 v[24:27], v[24:25], off
	v_add_co_u32_e32 v50, vcc, s14, v50
	v_addc_co_u32_e32 v51, vcc, 0, v51, vcc
	v_add_co_u32_e32 v48, vcc, 8, v48
	v_addc_co_u32_e32 v49, vcc, 0, v49, vcc
	;; [unrolled: 2-line block ×3, first 2 shown]
	s_waitcnt vmcnt(4)
	v_mov_b32_e32 v28, v8
	s_waitcnt vmcnt(3)
	v_mov_b32_e32 v29, v12
	v_mov_b32_e32 v12, v9
	;; [unrolled: 1-line block ×5, first 2 shown]
	s_waitcnt vmcnt(1)
	v_mov_b32_e32 v10, v20
	v_mov_b32_e32 v11, v16
	v_add_co_u32_e32 v2, vcc, -16, v2
	v_mov_b32_e32 v16, v21
	v_mov_b32_e32 v20, v22
	;; [unrolled: 1-line block ×4, first 2 shown]
	v_addc_co_u32_e32 v3, vcc, -1, v3, vcc
	v_cmp_eq_u64_e32 vcc, 0, v[2:3]
	s_or_b64 s[10:11], vcc, s[10:11]
	s_waitcnt vmcnt(0)
	v_pk_fma_f32 v[22:23], v[28:29], v[24:25], v[44:45] op_sel_hi:[1,0,1]
	v_pk_fma_f32 v[10:11], v[10:11], v[24:25], v[42:43] op_sel_hi:[1,0,1]
	v_pk_fma_f32 v[12:13], v[12:13], v[24:25], v[22:23] op_sel:[0,1,0]
	v_pk_fma_f32 v[10:11], v[16:17], v[24:25], v[10:11] op_sel:[0,1,0]
	v_mov_b32_e32 v28, v27
	v_pk_fma_f32 v[8:9], v[8:9], v[26:27], v[12:13] op_sel_hi:[1,0,1]
	v_pk_fma_f32 v[10:11], v[20:21], v[26:27], v[10:11] op_sel_hi:[1,0,1]
	;; [unrolled: 1-line block ×4, first 2 shown]
	s_andn2_b64 exec, exec, s[10:11]
	s_cbranch_execnz .LBB21_17
; %bb.18:
	s_or_b64 exec, exec, s[10:11]
.LBB21_19:
	s_or_b64 exec, exec, s[2:3]
	v_cmp_lt_u64_e32 vcc, 23, v[0:1]
	s_and_saveexec_b64 s[10:11], vcc
	s_cbranch_execz .LBB21_23
; %bb.20:
	v_lshlrev_b64 v[0:1], 2, v[48:49]
	v_mov_b32_e32 v2, s13
	v_add_co_u32_e32 v0, vcc, s12, v0
	v_addc_co_u32_e32 v1, vcc, v1, v2, vcc
	v_add_co_u32_e32 v52, vcc, 64, v0
	v_addc_co_u32_e32 v53, vcc, 0, v1, vcc
	s_mov_b64 s[14:15], 0
	v_mov_b32_e32 v33, s7
.LBB21_21:                              ; =>This Inner Loop Header: Depth=1
	global_load_dword v35, v[52:53], off offset:-64
	global_load_dword v86, v[52:53], off offset:-32
	global_load_dword v87, v[52:53], off
	global_load_dwordx4 v[54:57], v[50:51], off
	global_load_dword v88, v[52:53], off offset:32
	global_load_dwordx4 v[28:31], v[50:51], off offset:16
	global_load_dwordx4 v[24:27], v[50:51], off offset:48
	;; [unrolled: 1-line block ×15, first 2 shown]
	v_add_co_u32_e32 v52, vcc, 0x80, v52
	s_mov_b64 s[2:3], vcc
	v_add_co_u32_e32 v48, vcc, 32, v48
	v_addc_co_u32_e32 v49, vcc, 0, v49, vcc
	v_add_co_u32_e32 v50, vcc, 0x800, v50
	v_addc_co_u32_e32 v51, vcc, 0, v51, vcc
	v_addc_co_u32_e64 v53, s[2:3], 0, v53, s[2:3]
	v_cmp_ge_i64_e64 s[2:3], v[48:49], v[38:39]
	s_or_b64 s[14:15], s[2:3], s[14:15]
	s_waitcnt vmcnt(19)
	v_subrev_u32_e32 v35, s20, v35
	s_waitcnt vmcnt(18)
	v_subrev_u32_e32 v89, s20, v86
	;; [unrolled: 2-line block ×3, first 2 shown]
	v_lshlrev_b32_e32 v86, 2, v35
	v_lshlrev_b32_e32 v90, 2, v87
	v_ashrrev_i32_e32 v87, 31, v86
	s_waitcnt vmcnt(16)
	v_mov_b32_e32 v102, v54
	s_waitcnt vmcnt(15)
	v_subrev_u32_e32 v54, s20, v88
	v_lshlrev_b32_e32 v88, 2, v89
	v_lshlrev_b64 v[86:87], 2, v[86:87]
	v_ashrrev_i32_e32 v89, 31, v88
	v_add_co_u32_e32 v104, vcc, s6, v86
	v_lshlrev_b64 v[88:89], 2, v[88:89]
	v_addc_co_u32_e32 v105, vcc, v33, v87, vcc
	v_ashrrev_i32_e32 v91, 31, v90
	v_add_co_u32_e32 v106, vcc, s6, v88
	v_lshlrev_b32_e32 v92, 2, v54
	v_lshlrev_b64 v[90:91], 2, v[90:91]
	v_addc_co_u32_e32 v107, vcc, v33, v89, vcc
	v_ashrrev_i32_e32 v93, 31, v92
	v_add_co_u32_e32 v108, vcc, s6, v90
	v_lshlrev_b64 v[92:93], 2, v[92:93]
	v_addc_co_u32_e32 v109, vcc, v33, v91, vcc
	v_add_co_u32_e32 v110, vcc, s6, v92
	v_addc_co_u32_e32 v111, vcc, v33, v93, vcc
	global_load_dwordx4 v[86:89], v[104:105], off
	global_load_dwordx4 v[90:93], v[106:107], off
	;; [unrolled: 1-line block ×4, first 2 shown]
	s_waitcnt vmcnt(18)
	v_mov_b32_e32 v103, v28
	v_mov_b32_e32 v28, v55
	s_waitcnt vmcnt(16)
	v_mov_b32_e32 v54, v58
	v_mov_b32_e32 v55, v24
	;; [unrolled: 1-line block ×9, first 2 shown]
	s_waitcnt vmcnt(12)
	v_mov_b32_e32 v56, v66
	v_mov_b32_e32 v57, v16
	s_waitcnt vmcnt(8)
	v_mov_b32_e32 v60, v74
	v_mov_b32_e32 v61, v8
	;; [unrolled: 1-line block ×15, first 2 shown]
	s_waitcnt vmcnt(6)
	v_mov_b32_e32 v72, v78
	v_mov_b32_e32 v78, v80
	;; [unrolled: 1-line block ×8, first 2 shown]
	s_waitcnt vmcnt(4)
	v_mov_b32_e32 v76, v82
	v_mov_b32_e32 v82, v84
	;; [unrolled: 1-line block ×11, first 2 shown]
	s_waitcnt vmcnt(3)
	v_pk_fma_f32 v[44:45], v[102:103], v[86:87], v[44:45] op_sel_hi:[1,0,1]
	v_pk_fma_f32 v[42:43], v[54:55], v[86:87], v[42:43] op_sel_hi:[1,0,1]
	v_pk_fma_f32 v[28:29], v[28:29], v[86:87], v[44:45] op_sel:[0,1,0]
	v_pk_fma_f32 v[24:25], v[24:25], v[86:87], v[42:43] op_sel:[0,1,0]
	v_mov_b32_e32 v54, v89
	v_pk_fma_f32 v[28:29], v[104:105], v[88:89], v[28:29] op_sel_hi:[1,0,1]
	v_pk_fma_f32 v[24:25], v[58:59], v[88:89], v[24:25] op_sel_hi:[1,0,1]
	v_pk_fma_f32 v[28:29], v[30:31], v[54:55], v[28:29] op_sel_hi:[1,0,1]
	v_pk_fma_f32 v[24:25], v[26:27], v[54:55], v[24:25] op_sel_hi:[1,0,1]
	s_waitcnt vmcnt(2)
	v_pk_fma_f32 v[26:27], v[56:57], v[90:91], v[28:29] op_sel_hi:[1,0,1]
	v_pk_fma_f32 v[24:25], v[74:75], v[90:91], v[24:25] op_sel_hi:[1,0,1]
	v_pk_fma_f32 v[16:17], v[16:17], v[90:91], v[26:27] op_sel:[0,1,0]
	v_pk_fma_f32 v[12:13], v[12:13], v[90:91], v[24:25] op_sel:[0,1,0]
	v_mov_b32_e32 v80, v93
	v_pk_fma_f32 v[16:17], v[66:67], v[92:93], v[16:17] op_sel_hi:[1,0,1]
	v_pk_fma_f32 v[12:13], v[62:63], v[92:93], v[12:13] op_sel_hi:[1,0,1]
	v_pk_fma_f32 v[16:17], v[18:19], v[80:81], v[16:17] op_sel_hi:[1,0,1]
	v_pk_fma_f32 v[12:13], v[14:15], v[80:81], v[12:13] op_sel_hi:[1,0,1]
	;; [unrolled: 10-line block ×4, first 2 shown]
	s_andn2_b64 exec, exec, s[14:15]
	s_cbranch_execnz .LBB21_21
; %bb.22:
	s_or_b64 exec, exec, s[14:15]
.LBB21_23:
	s_or_b64 exec, exec, s[10:11]
.LBB21_24:
	s_or_b64 exec, exec, s[8:9]
	s_cbranch_execz .LBB21_26
	s_branch .LBB21_37
.LBB21_25:
                                        ; implicit-def: $vgpr43
                                        ; implicit-def: $vgpr45
.LBB21_26:
	v_mov_b32_e32 v43, 0
	v_mov_b32_e32 v42, 0
	v_mov_b32_e32 v45, 0
	v_mov_b32_e32 v44, 0
	s_and_saveexec_b64 s[2:3], s[0:1]
	s_cbranch_execz .LBB21_36
; %bb.27:
	v_or_b32_e32 v0, 8, v34
	v_mov_b32_e32 v1, s17
	v_subrev_co_u32_e32 v0, vcc, s20, v0
	v_subb_co_u32_e32 v1, vcc, 0, v1, vcc
	v_add_co_u32_e32 v0, vcc, v0, v46
	v_addc_co_u32_e32 v1, vcc, v1, v47, vcc
	v_cmp_gt_i64_e32 vcc, v[0:1], v[38:39]
	v_cndmask_b32_e32 v1, v39, v1, vcc
	v_cndmask_b32_e32 v0, v38, v0, vcc
	v_mov_b32_e32 v4, s17
	v_sub_co_u32_e32 v5, vcc, s20, v34
	v_not_b32_e32 v3, v46
	v_subbrev_co_u32_e32 v4, vcc, 0, v4, vcc
	v_not_b32_e32 v2, v47
	v_add_co_u32_e32 v3, vcc, v5, v3
	v_addc_co_u32_e32 v2, vcc, v4, v2, vcc
	v_add_co_u32_e32 v0, vcc, v3, v0
	v_addc_co_u32_e32 v1, vcc, v2, v1, vcc
	v_lshrrev_b32_e32 v2, 3, v0
	v_add_u32_e32 v2, 1, v2
	v_and_b32_e32 v2, 3, v2
	v_mov_b32_e32 v44, 0
	v_cmp_ne_u32_e32 vcc, 0, v2
	v_mov_b32_e32 v45, v44
	v_mov_b32_e32 v42, v44
	;; [unrolled: 1-line block ×3, first 2 shown]
	s_and_saveexec_b64 s[0:1], vcc
	s_cbranch_execz .LBB21_31
; %bb.28:
	v_lshlrev_b64 v[4:5], 2, v[36:37]
	v_mov_b32_e32 v3, 0
	v_mov_b32_e32 v6, s13
	v_add_co_u32_e32 v4, vcc, s12, v4
	v_addc_co_u32_e32 v5, vcc, v6, v5, vcc
	v_lshlrev_b32_e32 v2, 4, v2
	s_mov_b64 s[8:9], 0
	v_mov_b32_e32 v6, s7
	s_movk_i32 s10, 0x200
	v_mov_b32_e32 v43, v3
	v_mov_b32_e32 v42, v3
	;; [unrolled: 1-line block ×4, first 2 shown]
.LBB21_29:                              ; =>This Inner Loop Header: Depth=1
	global_load_dword v7, v[4:5], off
	global_load_dwordx4 v[8:11], v[40:41], off offset:16
	global_load_dwordx4 v[12:15], v[40:41], off
	s_waitcnt vmcnt(2)
	v_subrev_u32_e32 v7, s20, v7
	v_lshlrev_b32_e32 v16, 2, v7
	v_ashrrev_i32_e32 v17, 31, v16
	v_lshlrev_b64 v[16:17], 2, v[16:17]
	v_add_co_u32_e32 v28, vcc, s6, v16
	v_addc_co_u32_e32 v29, vcc, v6, v17, vcc
	global_load_dwordx4 v[16:19], v[28:29], off
	global_load_dwordx4 v[20:23], v[40:41], off offset:32
	global_load_dwordx4 v[24:27], v[40:41], off offset:48
	v_add_co_u32_e32 v40, vcc, s10, v40
	v_addc_co_u32_e32 v41, vcc, 0, v41, vcc
	v_add_co_u32_e32 v36, vcc, 8, v36
	v_addc_co_u32_e32 v37, vcc, 0, v37, vcc
	;; [unrolled: 2-line block ×3, first 2 shown]
	v_add_co_u32_e32 v2, vcc, -16, v2
	v_addc_co_u32_e32 v3, vcc, -1, v3, vcc
	v_cmp_eq_u64_e32 vcc, 0, v[2:3]
	s_or_b64 s[8:9], vcc, s[8:9]
	s_waitcnt vmcnt(2)
	v_pk_fma_f32 v[12:13], v[12:13], v[16:17], v[44:45] op_sel_hi:[1,0,1]
	v_pk_fma_f32 v[14:15], v[14:15], v[16:17], v[42:43] op_sel_hi:[1,0,1]
	v_pk_fma_f32 v[8:9], v[8:9], v[16:17], v[12:13] op_sel:[0,1,0]
	v_pk_fma_f32 v[10:11], v[10:11], v[16:17], v[14:15] op_sel:[0,1,0]
	v_mov_b32_e32 v28, v19
	s_waitcnt vmcnt(1)
	v_pk_fma_f32 v[8:9], v[20:21], v[18:19], v[8:9] op_sel_hi:[1,0,1]
	v_pk_fma_f32 v[10:11], v[22:23], v[18:19], v[10:11] op_sel_hi:[1,0,1]
	s_waitcnt vmcnt(0)
	v_pk_fma_f32 v[44:45], v[24:25], v[28:29], v[8:9] op_sel_hi:[1,0,1]
	v_pk_fma_f32 v[42:43], v[26:27], v[28:29], v[10:11] op_sel_hi:[1,0,1]
	s_andn2_b64 exec, exec, s[8:9]
	s_cbranch_execnz .LBB21_29
; %bb.30:
	s_or_b64 exec, exec, s[8:9]
.LBB21_31:
	s_or_b64 exec, exec, s[0:1]
	v_cmp_lt_u64_e32 vcc, 23, v[0:1]
	s_and_saveexec_b64 s[8:9], vcc
	s_cbranch_execz .LBB21_35
; %bb.32:
	v_lshlrev_b64 v[0:1], 2, v[36:37]
	v_mov_b32_e32 v2, s13
	v_add_co_u32_e32 v0, vcc, s12, v0
	v_addc_co_u32_e32 v1, vcc, v1, v2, vcc
	v_add_co_u32_e32 v0, vcc, 64, v0
	v_addc_co_u32_e32 v1, vcc, 0, v1, vcc
	s_mov_b64 s[10:11], 0
	v_mov_b32_e32 v2, s7
.LBB21_33:                              ; =>This Inner Loop Header: Depth=1
	global_load_dword v3, v[0:1], off offset:-64
	global_load_dword v33, v[0:1], off offset:-32
	global_load_dword v35, v[0:1], off
	global_load_dword v74, v[0:1], off offset:32
	global_load_dwordx4 v[4:7], v[40:41], off offset:48
	global_load_dwordx4 v[8:11], v[40:41], off offset:32
	;; [unrolled: 1-line block ×3, first 2 shown]
	global_load_dwordx4 v[16:19], v[40:41], off
	global_load_dwordx4 v[20:23], v[40:41], off offset:560
	global_load_dwordx4 v[24:27], v[40:41], off offset:544
	;; [unrolled: 1-line block ×10, first 2 shown]
	s_waitcnt vmcnt(17)
	v_subrev_u32_e32 v3, s20, v3
	s_waitcnt vmcnt(16)
	v_subrev_u32_e32 v33, s20, v33
	v_lshlrev_b32_e32 v76, 2, v33
	s_waitcnt vmcnt(14)
	v_subrev_u32_e32 v75, s20, v74
	v_lshlrev_b32_e32 v74, 2, v3
	v_lshlrev_b32_e32 v80, 2, v75
	v_ashrrev_i32_e32 v75, 31, v74
	v_lshlrev_b64 v[74:75], 2, v[74:75]
	v_subrev_u32_e32 v35, s20, v35
	v_ashrrev_i32_e32 v77, 31, v76
	v_add_co_u32_e32 v98, vcc, s6, v74
	v_lshlrev_b32_e32 v78, 2, v35
	v_lshlrev_b64 v[76:77], 2, v[76:77]
	v_addc_co_u32_e32 v99, vcc, v2, v75, vcc
	v_ashrrev_i32_e32 v79, 31, v78
	v_add_co_u32_e32 v100, vcc, s6, v76
	v_lshlrev_b64 v[78:79], 2, v[78:79]
	v_addc_co_u32_e32 v101, vcc, v2, v77, vcc
	v_ashrrev_i32_e32 v81, 31, v80
	v_add_co_u32_e32 v102, vcc, s6, v78
	v_lshlrev_b64 v[80:81], 2, v[80:81]
	v_addc_co_u32_e32 v103, vcc, v2, v79, vcc
	v_add_co_u32_e32 v104, vcc, s6, v80
	v_addc_co_u32_e32 v105, vcc, v2, v81, vcc
	global_load_dwordx4 v[74:77], v[98:99], off
	global_load_dwordx4 v[78:81], v[100:101], off
	;; [unrolled: 1-line block ×4, first 2 shown]
	global_load_dwordx4 v[90:93], v[40:41], off offset:1568
	global_load_dwordx4 v[94:97], v[40:41], off offset:1584
	v_add_co_u32_e32 v36, vcc, 32, v36
	v_addc_co_u32_e32 v37, vcc, 0, v37, vcc
	v_add_co_u32_e32 v0, vcc, 0x80, v0
	v_addc_co_u32_e32 v1, vcc, 0, v1, vcc
	v_cmp_ge_i64_e64 s[0:1], v[36:37], v[38:39]
	v_add_co_u32_e32 v40, vcc, 0x800, v40
	v_addc_co_u32_e32 v41, vcc, 0, v41, vcc
	s_or_b64 s[10:11], s[0:1], s[10:11]
	s_waitcnt vmcnt(5)
	v_pk_fma_f32 v[16:17], v[16:17], v[74:75], v[44:45] op_sel_hi:[1,0,1]
	v_pk_fma_f32 v[18:19], v[18:19], v[74:75], v[42:43] op_sel_hi:[1,0,1]
	v_pk_fma_f32 v[12:13], v[12:13], v[74:75], v[16:17] op_sel:[0,1,0]
	v_pk_fma_f32 v[14:15], v[14:15], v[74:75], v[18:19] op_sel:[0,1,0]
	v_mov_b32_e32 v42, v77
	v_pk_fma_f32 v[8:9], v[8:9], v[76:77], v[12:13] op_sel_hi:[1,0,1]
	v_pk_fma_f32 v[10:11], v[10:11], v[76:77], v[14:15] op_sel_hi:[1,0,1]
	v_pk_fma_f32 v[4:5], v[4:5], v[42:43], v[8:9] op_sel_hi:[1,0,1]
	v_pk_fma_f32 v[6:7], v[6:7], v[42:43], v[10:11] op_sel_hi:[1,0,1]
	s_waitcnt vmcnt(4)
	v_pk_fma_f32 v[4:5], v[46:47], v[78:79], v[4:5] op_sel_hi:[1,0,1]
	v_pk_fma_f32 v[6:7], v[48:49], v[78:79], v[6:7] op_sel_hi:[1,0,1]
	v_pk_fma_f32 v[4:5], v[28:29], v[78:79], v[4:5] op_sel:[0,1,0]
	v_pk_fma_f32 v[6:7], v[30:31], v[78:79], v[6:7] op_sel:[0,1,0]
	v_mov_b32_e32 v44, v81
	v_pk_fma_f32 v[4:5], v[24:25], v[80:81], v[4:5] op_sel_hi:[1,0,1]
	v_pk_fma_f32 v[6:7], v[26:27], v[80:81], v[6:7] op_sel_hi:[1,0,1]
	v_pk_fma_f32 v[4:5], v[20:21], v[44:45], v[4:5] op_sel_hi:[1,0,1]
	v_pk_fma_f32 v[6:7], v[22:23], v[44:45], v[6:7] op_sel_hi:[1,0,1]
	;; [unrolled: 10-line block ×3, first 2 shown]
	s_waitcnt vmcnt(2)
	v_pk_fma_f32 v[4:5], v[70:71], v[86:87], v[4:5] op_sel_hi:[1,0,1]
	v_pk_fma_f32 v[6:7], v[72:73], v[86:87], v[6:7] op_sel_hi:[1,0,1]
	v_pk_fma_f32 v[4:5], v[66:67], v[86:87], v[4:5] op_sel:[0,1,0]
	v_pk_fma_f32 v[6:7], v[68:69], v[86:87], v[6:7] op_sel:[0,1,0]
	v_mov_b32_e32 v100, v89
	s_waitcnt vmcnt(1)
	v_pk_fma_f32 v[4:5], v[90:91], v[88:89], v[4:5] op_sel_hi:[1,0,1]
	v_pk_fma_f32 v[6:7], v[92:93], v[88:89], v[6:7] op_sel_hi:[1,0,1]
	s_waitcnt vmcnt(0)
	v_pk_fma_f32 v[44:45], v[94:95], v[100:101], v[4:5] op_sel_hi:[1,0,1]
	v_pk_fma_f32 v[42:43], v[96:97], v[100:101], v[6:7] op_sel_hi:[1,0,1]
	s_andn2_b64 exec, exec, s[10:11]
	s_cbranch_execnz .LBB21_33
; %bb.34:
	s_or_b64 exec, exec, s[10:11]
.LBB21_35:
	s_or_b64 exec, exec, s[8:9]
.LBB21_36:
	s_or_b64 exec, exec, s[2:3]
.LBB21_37:
	v_mov_b32_dpp v0, v44 row_shr:1 row_mask:0xf bank_mask:0xf
	v_mov_b32_dpp v1, v45 row_shr:1 row_mask:0xf bank_mask:0xf
	;; [unrolled: 1-line block ×4, first 2 shown]
	v_pk_add_f32 v[0:1], v[44:45], v[0:1]
	v_pk_add_f32 v[4:5], v[42:43], v[4:5]
	v_cmp_eq_u32_e32 vcc, 7, v34
	v_mov_b32_dpp v2, v0 row_shr:2 row_mask:0xf bank_mask:0xf
	v_mov_b32_dpp v3, v1 row_shr:2 row_mask:0xf bank_mask:0xf
	;; [unrolled: 1-line block ×4, first 2 shown]
	v_pk_add_f32 v[0:1], v[0:1], v[2:3]
	v_pk_add_f32 v[4:5], v[4:5], v[6:7]
	s_nop 0
	v_mov_b32_dpp v2, v0 row_shr:4 row_mask:0xf bank_mask:0xe
	v_mov_b32_dpp v3, v1 row_shr:4 row_mask:0xf bank_mask:0xe
	;; [unrolled: 1-line block ×4, first 2 shown]
	s_and_b64 exec, exec, vcc
	s_cbranch_execz .LBB21_10
; %bb.38:
	s_load_dwordx2 s[0:1], s[4:5], 0x50
	v_cmp_eq_f32_e64 s[2:3], s18, 0
	v_pk_add_f32 v[2:3], v[0:1], v[2:3]
	v_pk_add_f32 v[0:1], v[4:5], v[6:7]
	s_and_b64 vcc, exec, s[2:3]
	v_lshlrev_b32_e32 v4, 2, v32
	s_cbranch_vccz .LBB21_40
; %bb.39:
	v_ashrrev_i32_e32 v5, 31, v4
	v_lshlrev_b64 v[6:7], 2, v[4:5]
	s_waitcnt lgkmcnt(0)
	v_mov_b32_e32 v5, s1
	v_add_co_u32_e32 v10, vcc, s0, v6
	v_addc_co_u32_e32 v11, vcc, v5, v7, vcc
	v_pk_mul_f32 v[6:7], s[16:17], v[2:3] op_sel_hi:[0,1]
	v_pk_mul_f32 v[8:9], s[16:17], v[0:1] op_sel_hi:[0,1]
	global_store_dwordx4 v[10:11], v[6:9], off
	s_cbranch_execnz .LBB21_10
	s_branch .LBB21_41
.LBB21_40:
.LBB21_41:
	v_ashrrev_i32_e32 v5, 31, v4
	v_lshlrev_b64 v[4:5], 2, v[4:5]
	s_waitcnt lgkmcnt(0)
	v_mov_b32_e32 v6, s1
	v_add_co_u32_e32 v8, vcc, s0, v4
	v_addc_co_u32_e32 v9, vcc, v6, v5, vcc
	global_load_dwordx4 v[4:7], v[8:9], off
	v_pk_mul_f32 v[2:3], s[16:17], v[2:3] op_sel_hi:[0,1]
	v_pk_mul_f32 v[10:11], s[16:17], v[0:1] op_sel_hi:[0,1]
	s_waitcnt vmcnt(0)
	v_pk_fma_f32 v[0:1], s[18:19], v[4:5], v[2:3] op_sel_hi:[0,1,1]
	v_pk_fma_f32 v[2:3], s[18:19], v[6:7], v[10:11] op_sel_hi:[0,1,1]
	global_store_dwordx4 v[8:9], v[0:3], off
	s_endpgm
	.section	.rodata,"a",@progbits
	.p2align	6, 0x0
	.amdhsa_kernel _ZN9rocsparseL18bsrxmvn_4x4_kernelILj128ELj8EflifffEEvT3_20rocsparse_direction_NS_24const_host_device_scalarIT1_EES1_PKS1_PKT2_SA_S7_PKT4_PKT5_S5_PT6_21rocsparse_index_base_b
		.amdhsa_group_segment_fixed_size 0
		.amdhsa_private_segment_fixed_size 0
		.amdhsa_kernarg_size 96
		.amdhsa_user_sgpr_count 6
		.amdhsa_user_sgpr_private_segment_buffer 1
		.amdhsa_user_sgpr_dispatch_ptr 0
		.amdhsa_user_sgpr_queue_ptr 0
		.amdhsa_user_sgpr_kernarg_segment_ptr 1
		.amdhsa_user_sgpr_dispatch_id 0
		.amdhsa_user_sgpr_flat_scratch_init 0
		.amdhsa_user_sgpr_kernarg_preload_length 0
		.amdhsa_user_sgpr_kernarg_preload_offset 0
		.amdhsa_user_sgpr_private_segment_size 0
		.amdhsa_uses_dynamic_stack 0
		.amdhsa_system_sgpr_private_segment_wavefront_offset 0
		.amdhsa_system_sgpr_workgroup_id_x 1
		.amdhsa_system_sgpr_workgroup_id_y 0
		.amdhsa_system_sgpr_workgroup_id_z 0
		.amdhsa_system_sgpr_workgroup_info 0
		.amdhsa_system_vgpr_workitem_id 0
		.amdhsa_next_free_vgpr 112
		.amdhsa_next_free_sgpr 22
		.amdhsa_accum_offset 112
		.amdhsa_reserve_vcc 1
		.amdhsa_reserve_flat_scratch 0
		.amdhsa_float_round_mode_32 0
		.amdhsa_float_round_mode_16_64 0
		.amdhsa_float_denorm_mode_32 3
		.amdhsa_float_denorm_mode_16_64 3
		.amdhsa_dx10_clamp 1
		.amdhsa_ieee_mode 1
		.amdhsa_fp16_overflow 0
		.amdhsa_tg_split 0
		.amdhsa_exception_fp_ieee_invalid_op 0
		.amdhsa_exception_fp_denorm_src 0
		.amdhsa_exception_fp_ieee_div_zero 0
		.amdhsa_exception_fp_ieee_overflow 0
		.amdhsa_exception_fp_ieee_underflow 0
		.amdhsa_exception_fp_ieee_inexact 0
		.amdhsa_exception_int_div_zero 0
	.end_amdhsa_kernel
	.section	.text._ZN9rocsparseL18bsrxmvn_4x4_kernelILj128ELj8EflifffEEvT3_20rocsparse_direction_NS_24const_host_device_scalarIT1_EES1_PKS1_PKT2_SA_S7_PKT4_PKT5_S5_PT6_21rocsparse_index_base_b,"axG",@progbits,_ZN9rocsparseL18bsrxmvn_4x4_kernelILj128ELj8EflifffEEvT3_20rocsparse_direction_NS_24const_host_device_scalarIT1_EES1_PKS1_PKT2_SA_S7_PKT4_PKT5_S5_PT6_21rocsparse_index_base_b,comdat
.Lfunc_end21:
	.size	_ZN9rocsparseL18bsrxmvn_4x4_kernelILj128ELj8EflifffEEvT3_20rocsparse_direction_NS_24const_host_device_scalarIT1_EES1_PKS1_PKT2_SA_S7_PKT4_PKT5_S5_PT6_21rocsparse_index_base_b, .Lfunc_end21-_ZN9rocsparseL18bsrxmvn_4x4_kernelILj128ELj8EflifffEEvT3_20rocsparse_direction_NS_24const_host_device_scalarIT1_EES1_PKS1_PKT2_SA_S7_PKT4_PKT5_S5_PT6_21rocsparse_index_base_b
                                        ; -- End function
	.section	.AMDGPU.csdata,"",@progbits
; Kernel info:
; codeLenInByte = 3356
; NumSgprs: 26
; NumVgprs: 112
; NumAgprs: 0
; TotalNumVgprs: 112
; ScratchSize: 0
; MemoryBound: 0
; FloatMode: 240
; IeeeMode: 1
; LDSByteSize: 0 bytes/workgroup (compile time only)
; SGPRBlocks: 3
; VGPRBlocks: 13
; NumSGPRsForWavesPerEU: 26
; NumVGPRsForWavesPerEU: 112
; AccumOffset: 112
; Occupancy: 4
; WaveLimiterHint : 1
; COMPUTE_PGM_RSRC2:SCRATCH_EN: 0
; COMPUTE_PGM_RSRC2:USER_SGPR: 6
; COMPUTE_PGM_RSRC2:TRAP_HANDLER: 0
; COMPUTE_PGM_RSRC2:TGID_X_EN: 1
; COMPUTE_PGM_RSRC2:TGID_Y_EN: 0
; COMPUTE_PGM_RSRC2:TGID_Z_EN: 0
; COMPUTE_PGM_RSRC2:TIDIG_COMP_CNT: 0
; COMPUTE_PGM_RSRC3_GFX90A:ACCUM_OFFSET: 27
; COMPUTE_PGM_RSRC3_GFX90A:TG_SPLIT: 0
	.section	.text._ZN9rocsparseL18bsrxmvn_4x4_kernelILj128ELj16EflifffEEvT3_20rocsparse_direction_NS_24const_host_device_scalarIT1_EES1_PKS1_PKT2_SA_S7_PKT4_PKT5_S5_PT6_21rocsparse_index_base_b,"axG",@progbits,_ZN9rocsparseL18bsrxmvn_4x4_kernelILj128ELj16EflifffEEvT3_20rocsparse_direction_NS_24const_host_device_scalarIT1_EES1_PKS1_PKT2_SA_S7_PKT4_PKT5_S5_PT6_21rocsparse_index_base_b,comdat
	.globl	_ZN9rocsparseL18bsrxmvn_4x4_kernelILj128ELj16EflifffEEvT3_20rocsparse_direction_NS_24const_host_device_scalarIT1_EES1_PKS1_PKT2_SA_S7_PKT4_PKT5_S5_PT6_21rocsparse_index_base_b ; -- Begin function _ZN9rocsparseL18bsrxmvn_4x4_kernelILj128ELj16EflifffEEvT3_20rocsparse_direction_NS_24const_host_device_scalarIT1_EES1_PKS1_PKT2_SA_S7_PKT4_PKT5_S5_PT6_21rocsparse_index_base_b
	.p2align	8
	.type	_ZN9rocsparseL18bsrxmvn_4x4_kernelILj128ELj16EflifffEEvT3_20rocsparse_direction_NS_24const_host_device_scalarIT1_EES1_PKS1_PKT2_SA_S7_PKT4_PKT5_S5_PT6_21rocsparse_index_base_b,@function
_ZN9rocsparseL18bsrxmvn_4x4_kernelILj128ELj16EflifffEEvT3_20rocsparse_direction_NS_24const_host_device_scalarIT1_EES1_PKS1_PKT2_SA_S7_PKT4_PKT5_S5_PT6_21rocsparse_index_base_b: ; @_ZN9rocsparseL18bsrxmvn_4x4_kernelILj128ELj16EflifffEEvT3_20rocsparse_direction_NS_24const_host_device_scalarIT1_EES1_PKS1_PKT2_SA_S7_PKT4_PKT5_S5_PT6_21rocsparse_index_base_b
; %bb.0:
	s_load_dwordx2 s[20:21], s[4:5], 0x58
	s_load_dwordx2 s[16:17], s[4:5], 0x8
	;; [unrolled: 1-line block ×3, first 2 shown]
	s_waitcnt lgkmcnt(0)
	s_bitcmp1_b32 s21, 0
	s_cselect_b64 s[2:3], -1, 0
	s_xor_b64 s[0:1], s[2:3], -1
	s_and_b64 vcc, exec, s[2:3]
	s_cbranch_vccnz .LBB22_2
; %bb.1:
	s_load_dword s16, s[16:17], 0x0
.LBB22_2:
	s_andn2_b64 vcc, exec, s[0:1]
	s_cbranch_vccnz .LBB22_4
; %bb.3:
	s_load_dword s18, s[18:19], 0x0
.LBB22_4:
	s_waitcnt lgkmcnt(0)
	v_cmp_neq_f32_e64 s[0:1], s16, 0
	v_cmp_neq_f32_e64 s[2:3], s18, 1.0
	s_or_b64 s[0:1], s[0:1], s[2:3]
	s_andn2_b64 vcc, exec, s[0:1]
	s_cbranch_vccnz .LBB22_10
; %bb.5:
	s_load_dwordx2 s[8:9], s[4:5], 0x18
	s_load_dwordx2 s[0:1], s[4:5], 0x0
	v_lshrrev_b32_e32 v1, 4, v0
	v_lshl_or_b32 v20, s6, 3, v1
	s_mov_b64 s[2:3], 0
	s_waitcnt lgkmcnt(0)
	s_cmp_lg_u64 s[8:9], 0
	s_cbranch_scc0 .LBB22_11
; %bb.6:
	s_load_dword s6, s[4:5], 0x10
                                        ; implicit-def: $vgpr1
	s_waitcnt lgkmcnt(0)
	v_cmp_gt_i32_e32 vcc, s6, v20
	s_and_saveexec_b64 s[6:7], vcc
	s_xor_b64 s[6:7], exec, s[6:7]
	s_cbranch_execz .LBB22_8
; %bb.7:
	v_ashrrev_i32_e32 v21, 31, v20
	v_lshlrev_b64 v[2:3], 2, v[20:21]
	v_mov_b32_e32 v1, s9
	v_add_co_u32_e32 v2, vcc, s8, v2
	v_addc_co_u32_e32 v3, vcc, v1, v3, vcc
	global_load_dword v1, v[2:3], off
	s_mov_b64 s[2:3], exec
	s_waitcnt vmcnt(0)
	v_subrev_u32_e32 v1, s20, v1
.LBB22_8:
	s_or_b64 exec, exec, s[6:7]
	s_branch .LBB22_12
.LBB22_9:
	v_cmp_gt_i32_e32 vcc, s0, v20
	s_andn2_b64 s[2:3], s[2:3], exec
	s_and_b64 s[6:7], vcc, exec
	s_or_b64 s[2:3], s[2:3], s[6:7]
	s_and_saveexec_b64 s[6:7], s[2:3]
	s_cbranch_execnz .LBB22_13
.LBB22_10:
	s_endpgm
.LBB22_11:
                                        ; implicit-def: $vgpr1
	s_cbranch_execnz .LBB22_9
.LBB22_12:
	v_mov_b32_e32 v20, v1
	s_and_saveexec_b64 s[6:7], s[2:3]
	s_cbranch_execz .LBB22_10
.LBB22_13:
	s_load_dwordx8 s[8:15], s[4:5], 0x20
	v_ashrrev_i32_e32 v21, 31, v20
	v_lshlrev_b64 v[2:3], 3, v[20:21]
	v_and_b32_e32 v22, 15, v0
	s_load_dwordx2 s[6:7], s[4:5], 0x40
	s_waitcnt lgkmcnt(0)
	v_mov_b32_e32 v1, s9
	v_add_co_u32_e32 v4, vcc, s8, v2
	v_addc_co_u32_e32 v5, vcc, v1, v3, vcc
	v_add_co_u32_e32 v1, vcc, 8, v4
	global_load_dwordx2 v[34:35], v[4:5], off
	v_addc_co_u32_e32 v4, vcc, 0, v5, vcc
	v_mov_b32_e32 v5, s11
	v_add_co_u32_e32 v2, vcc, s10, v2
	s_cmp_eq_u64 s[10:11], 0
	v_addc_co_u32_e32 v3, vcc, v5, v3, vcc
	s_cselect_b64 vcc, -1, 0
	v_cndmask_b32_e32 v3, v3, v4, vcc
	v_cndmask_b32_e32 v2, v2, v1, vcc
	global_load_dwordx2 v[2:3], v[2:3], off
	v_mov_b32_e32 v4, s15
	s_mov_b32 s17, 0
	v_mov_b32_e32 v31, 0
	s_cmp_eq_u32 s1, 1
	s_waitcnt vmcnt(1)
	v_subrev_co_u32_e32 v0, vcc, s20, v34
	v_subbrev_co_u32_e32 v1, vcc, 0, v35, vcc
	v_add_co_u32_e32 v24, vcc, v0, v22
	v_addc_co_u32_e32 v25, vcc, 0, v1, vcc
	v_lshlrev_b64 v[0:1], 6, v[24:25]
	s_waitcnt vmcnt(0)
	v_subrev_co_u32_e32 v26, vcc, s20, v2
	v_subbrev_co_u32_e32 v27, vcc, 0, v3, vcc
	v_add_co_u32_e32 v28, vcc, s14, v0
	v_addc_co_u32_e32 v29, vcc, v4, v1, vcc
	v_cmp_lt_i64_e64 s[0:1], v[24:25], v[26:27]
	s_cbranch_scc1 .LBB22_25
; %bb.14:
	v_mov_b32_e32 v30, 0
	v_mov_b32_e32 v33, 0
	;; [unrolled: 1-line block ×3, first 2 shown]
	s_and_saveexec_b64 s[8:9], s[0:1]
	s_cbranch_execz .LBB22_24
; %bb.15:
	v_or_b32_e32 v0, 16, v22
	v_mov_b32_e32 v1, s17
	v_subrev_co_u32_e32 v0, vcc, s20, v0
	v_subb_co_u32_e32 v1, vcc, 0, v1, vcc
	v_add_co_u32_e32 v0, vcc, v0, v34
	v_addc_co_u32_e32 v1, vcc, v1, v35, vcc
	v_cmp_gt_i64_e32 vcc, v[0:1], v[26:27]
	v_cndmask_b32_e32 v1, v27, v1, vcc
	v_cndmask_b32_e32 v0, v26, v0, vcc
	v_mov_b32_e32 v4, s17
	v_sub_co_u32_e32 v5, vcc, s20, v22
	v_not_b32_e32 v3, v34
	v_subbrev_co_u32_e32 v4, vcc, 0, v4, vcc
	v_not_b32_e32 v2, v35
	v_add_co_u32_e32 v3, vcc, v5, v3
	v_addc_co_u32_e32 v2, vcc, v4, v2, vcc
	v_add_co_u32_e32 v0, vcc, v3, v0
	v_addc_co_u32_e32 v1, vcc, v2, v1, vcc
	v_lshrrev_b32_e32 v2, 4, v0
	v_add_u32_e32 v2, 1, v2
	v_and_b32_e32 v2, 3, v2
	s_mov_b32 s2, s17
	s_mov_b32 s3, s17
	v_cmp_ne_u32_e32 vcc, 0, v2
	v_pk_mov_b32 v[32:33], s[2:3], s[2:3] op_sel:[0,1]
	v_pk_mov_b32 v[30:31], s[2:3], s[2:3] op_sel:[0,1]
	;; [unrolled: 1-line block ×4, first 2 shown]
	s_and_saveexec_b64 s[2:3], vcc
	s_cbranch_execz .LBB22_19
; %bb.16:
	v_lshlrev_b64 v[4:5], 2, v[24:25]
	v_mov_b32_e32 v3, 0
	v_mov_b32_e32 v6, s13
	v_add_co_u32_e32 v4, vcc, s12, v4
	v_addc_co_u32_e32 v5, vcc, v6, v5, vcc
	v_lshlrev_b32_e32 v2, 4, v2
	s_mov_b64 s[10:11], 0
	v_mov_b32_e32 v6, s7
	s_movk_i32 s14, 0x400
	v_pk_mov_b32 v[38:39], v[28:29], v[28:29] op_sel:[0,1]
	v_pk_mov_b32 v[36:37], v[24:25], v[24:25] op_sel:[0,1]
	v_mov_b32_e32 v30, v3
	v_mov_b32_e32 v31, v3
	;; [unrolled: 1-line block ×4, first 2 shown]
.LBB22_17:                              ; =>This Inner Loop Header: Depth=1
	global_load_dword v7, v[4:5], off
	global_load_dwordx4 v[8:11], v[38:39], off
	global_load_dwordx4 v[12:15], v[38:39], off offset:16
	global_load_dwordx4 v[16:19], v[38:39], off offset:48
	;; [unrolled: 1-line block ×3, first 2 shown]
	s_waitcnt vmcnt(4)
	v_subrev_u32_e32 v7, s20, v7
	v_lshlrev_b32_e32 v44, 2, v7
	v_ashrrev_i32_e32 v45, 31, v44
	v_lshlrev_b64 v[44:45], 2, v[44:45]
	v_add_co_u32_e32 v44, vcc, s6, v44
	v_addc_co_u32_e32 v45, vcc, v6, v45, vcc
	global_load_dwordx4 v[44:47], v[44:45], off
	v_add_co_u32_e32 v38, vcc, s14, v38
	v_addc_co_u32_e32 v39, vcc, 0, v39, vcc
	v_add_co_u32_e32 v36, vcc, 16, v36
	v_addc_co_u32_e32 v37, vcc, 0, v37, vcc
	;; [unrolled: 2-line block ×3, first 2 shown]
	s_waitcnt vmcnt(4)
	v_mov_b32_e32 v48, v8
	s_waitcnt vmcnt(3)
	v_mov_b32_e32 v49, v12
	v_mov_b32_e32 v12, v9
	v_mov_b32_e32 v8, v10
	v_mov_b32_e32 v9, v14
	v_mov_b32_e32 v14, v11
	s_waitcnt vmcnt(1)
	v_mov_b32_e32 v10, v40
	v_mov_b32_e32 v11, v16
	v_add_co_u32_e32 v2, vcc, -16, v2
	v_mov_b32_e32 v16, v41
	v_addc_co_u32_e32 v3, vcc, -1, v3, vcc
	v_mov_b32_e32 v40, v42
	v_mov_b32_e32 v41, v18
	v_cmp_eq_u64_e32 vcc, 0, v[2:3]
	v_mov_b32_e32 v18, v43
	s_or_b64 s[10:11], vcc, s[10:11]
	s_waitcnt vmcnt(0)
	v_pk_fma_f32 v[32:33], v[48:49], v[44:45], v[32:33] op_sel_hi:[1,0,1]
	v_pk_fma_f32 v[10:11], v[10:11], v[44:45], v[30:31] op_sel_hi:[1,0,1]
	v_pk_fma_f32 v[12:13], v[12:13], v[44:45], v[32:33] op_sel:[0,1,0]
	v_pk_fma_f32 v[10:11], v[16:17], v[44:45], v[10:11] op_sel:[0,1,0]
	v_mov_b32_e32 v42, v47
	v_pk_fma_f32 v[8:9], v[8:9], v[46:47], v[12:13] op_sel_hi:[1,0,1]
	v_pk_fma_f32 v[10:11], v[40:41], v[46:47], v[10:11] op_sel_hi:[1,0,1]
	;; [unrolled: 1-line block ×4, first 2 shown]
	s_andn2_b64 exec, exec, s[10:11]
	s_cbranch_execnz .LBB22_17
; %bb.18:
	s_or_b64 exec, exec, s[10:11]
.LBB22_19:
	s_or_b64 exec, exec, s[2:3]
	v_cmp_lt_u64_e32 vcc, 47, v[0:1]
	s_and_saveexec_b64 s[10:11], vcc
	s_cbranch_execz .LBB22_23
; %bb.20:
	v_lshlrev_b64 v[0:1], 2, v[36:37]
	v_mov_b32_e32 v2, s13
	v_add_co_u32_e32 v0, vcc, s12, v0
	v_addc_co_u32_e32 v1, vcc, v1, v2, vcc
	v_add_co_u32_e32 v40, vcc, 0x80, v0
	v_addc_co_u32_e32 v41, vcc, 0, v1, vcc
	s_mov_b64 s[14:15], 0
	v_mov_b32_e32 v21, s7
	s_movk_i32 s19, 0x1000
.LBB22_21:                              ; =>This Inner Loop Header: Depth=1
	global_load_dword v23, v[40:41], off offset:-128
	global_load_dwordx4 v[42:45], v[38:39], off
	global_load_dword v86, v[40:41], off offset:-64
	global_load_dword v87, v[40:41], off
	global_load_dword v88, v[40:41], off offset:64
	global_load_dwordx4 v[46:49], v[38:39], off offset:16
	global_load_dwordx4 v[50:53], v[38:39], off offset:48
	;; [unrolled: 1-line block ×15, first 2 shown]
	v_add_co_u32_e32 v38, vcc, s19, v38
	s_mov_b64 s[2:3], vcc
	v_add_co_u32_e32 v36, vcc, 64, v36
	v_addc_co_u32_e32 v37, vcc, 0, v37, vcc
	v_add_co_u32_e32 v40, vcc, 0x100, v40
	v_addc_co_u32_e32 v41, vcc, 0, v41, vcc
	v_addc_co_u32_e64 v39, s[2:3], 0, v39, s[2:3]
	v_cmp_ge_i64_e64 s[2:3], v[36:37], v[26:27]
	s_or_b64 s[14:15], s[2:3], s[14:15]
	s_waitcnt vmcnt(19)
	v_subrev_u32_e32 v23, s20, v23
	s_waitcnt vmcnt(18)
	v_mov_b32_e32 v102, v42
	s_waitcnt vmcnt(17)
	v_subrev_u32_e32 v42, s20, v86
	s_waitcnt vmcnt(16)
	v_subrev_u32_e32 v87, s20, v87
	v_lshlrev_b32_e32 v86, 2, v23
	v_lshlrev_b32_e32 v90, 2, v87
	v_ashrrev_i32_e32 v87, 31, v86
	s_waitcnt vmcnt(15)
	v_subrev_u32_e32 v89, s20, v88
	v_lshlrev_b32_e32 v88, 2, v42
	v_lshlrev_b64 v[86:87], 2, v[86:87]
	v_lshlrev_b32_e32 v92, 2, v89
	v_ashrrev_i32_e32 v89, 31, v88
	v_add_co_u32_e32 v104, vcc, s6, v86
	v_lshlrev_b64 v[88:89], 2, v[88:89]
	v_addc_co_u32_e32 v105, vcc, v21, v87, vcc
	v_ashrrev_i32_e32 v91, 31, v90
	v_add_co_u32_e32 v106, vcc, s6, v88
	v_lshlrev_b64 v[90:91], 2, v[90:91]
	v_addc_co_u32_e32 v107, vcc, v21, v89, vcc
	;; [unrolled: 4-line block ×3, first 2 shown]
	v_add_co_u32_e32 v110, vcc, s6, v92
	v_addc_co_u32_e32 v111, vcc, v21, v93, vcc
	global_load_dwordx4 v[86:89], v[104:105], off
	global_load_dwordx4 v[90:93], v[106:107], off
	;; [unrolled: 1-line block ×4, first 2 shown]
	s_waitcnt vmcnt(18)
	v_mov_b32_e32 v103, v46
	s_waitcnt vmcnt(16)
	v_mov_b32_e32 v104, v54
	v_mov_b32_e32 v105, v50
	;; [unrolled: 1-line block ×10, first 2 shown]
	s_waitcnt vmcnt(8)
	v_mov_b32_e32 v56, v70
	v_mov_b32_e32 v70, v58
	;; [unrolled: 1-line block ×5, first 2 shown]
	s_waitcnt vmcnt(4)
	v_mov_b32_e32 v68, v82
	v_mov_b32_e32 v82, v74
	;; [unrolled: 1-line block ×31, first 2 shown]
	s_waitcnt vmcnt(3)
	v_pk_fma_f32 v[32:33], v[102:103], v[86:87], v[32:33] op_sel_hi:[1,0,1]
	v_pk_fma_f32 v[30:31], v[104:105], v[86:87], v[30:31] op_sel_hi:[1,0,1]
	v_pk_fma_f32 v[32:33], v[46:47], v[86:87], v[32:33] op_sel:[0,1,0]
	v_pk_fma_f32 v[30:31], v[50:51], v[86:87], v[30:31] op_sel:[0,1,0]
	v_mov_b32_e32 v76, v89
	v_pk_fma_f32 v[32:33], v[42:43], v[88:89], v[32:33] op_sel_hi:[1,0,1]
	v_pk_fma_f32 v[30:31], v[54:55], v[88:89], v[30:31] op_sel_hi:[1,0,1]
	v_pk_fma_f32 v[32:33], v[48:49], v[76:77], v[32:33] op_sel_hi:[1,0,1]
	v_pk_fma_f32 v[30:31], v[52:53], v[76:77], v[30:31] op_sel_hi:[1,0,1]
	s_waitcnt vmcnt(2)
	v_pk_fma_f32 v[32:33], v[44:45], v[90:91], v[32:33] op_sel_hi:[1,0,1]
	v_pk_fma_f32 v[30:31], v[70:71], v[90:91], v[30:31] op_sel_hi:[1,0,1]
	v_pk_fma_f32 v[16:17], v[16:17], v[90:91], v[32:33] op_sel:[0,1,0]
	v_pk_fma_f32 v[12:13], v[12:13], v[90:91], v[30:31] op_sel:[0,1,0]
	v_mov_b32_e32 v84, v93
	v_pk_fma_f32 v[16:17], v[62:63], v[92:93], v[16:17] op_sel_hi:[1,0,1]
	v_pk_fma_f32 v[12:13], v[58:59], v[92:93], v[12:13] op_sel_hi:[1,0,1]
	v_pk_fma_f32 v[16:17], v[18:19], v[84:85], v[16:17] op_sel_hi:[1,0,1]
	v_pk_fma_f32 v[12:13], v[14:15], v[84:85], v[12:13] op_sel_hi:[1,0,1]
	s_waitcnt vmcnt(1)
	v_pk_fma_f32 v[14:15], v[56:57], v[94:95], v[16:17] op_sel_hi:[1,0,1]
	v_pk_fma_f32 v[12:13], v[60:61], v[94:95], v[12:13] op_sel_hi:[1,0,1]
	v_pk_fma_f32 v[8:9], v[8:9], v[94:95], v[14:15] op_sel:[0,1,0]
	v_pk_fma_f32 v[4:5], v[4:5], v[94:95], v[12:13] op_sel:[0,1,0]
	v_mov_b32_e32 v102, v97
	v_pk_fma_f32 v[8:9], v[64:65], v[96:97], v[8:9] op_sel_hi:[1,0,1]
	v_pk_fma_f32 v[4:5], v[66:67], v[96:97], v[4:5] op_sel_hi:[1,0,1]
	v_pk_fma_f32 v[8:9], v[10:11], v[102:103], v[8:9] op_sel_hi:[1,0,1]
	v_pk_fma_f32 v[4:5], v[6:7], v[102:103], v[4:5] op_sel_hi:[1,0,1]
	s_waitcnt vmcnt(0)
	v_pk_fma_f32 v[6:7], v[68:69], v[98:99], v[8:9] op_sel_hi:[1,0,1]
	v_pk_fma_f32 v[4:5], v[82:83], v[98:99], v[4:5] op_sel_hi:[1,0,1]
	v_pk_fma_f32 v[6:7], v[78:79], v[98:99], v[6:7] op_sel:[0,1,0]
	v_pk_fma_f32 v[0:1], v[0:1], v[98:99], v[4:5] op_sel:[0,1,0]
	v_mov_b32_e32 v104, v101
	v_pk_fma_f32 v[4:5], v[72:73], v[100:101], v[6:7] op_sel_hi:[1,0,1]
	v_pk_fma_f32 v[0:1], v[74:75], v[100:101], v[0:1] op_sel_hi:[1,0,1]
	v_pk_fma_f32 v[32:33], v[80:81], v[104:105], v[4:5] op_sel_hi:[1,0,1]
	v_pk_fma_f32 v[30:31], v[2:3], v[104:105], v[0:1] op_sel_hi:[1,0,1]
	s_andn2_b64 exec, exec, s[14:15]
	s_cbranch_execnz .LBB22_21
; %bb.22:
	s_or_b64 exec, exec, s[14:15]
.LBB22_23:
	s_or_b64 exec, exec, s[10:11]
.LBB22_24:
	s_or_b64 exec, exec, s[8:9]
	s_cbranch_execz .LBB22_26
	s_branch .LBB22_37
.LBB22_25:
                                        ; implicit-def: $vgpr31
                                        ; implicit-def: $vgpr33
.LBB22_26:
	s_mov_b32 s8, 0
	v_mov_b32_e32 v31, 0
	v_mov_b32_e32 v30, 0
	;; [unrolled: 1-line block ×4, first 2 shown]
	s_and_saveexec_b64 s[2:3], s[0:1]
	s_cbranch_execz .LBB22_36
; %bb.27:
	v_or_b32_e32 v0, 16, v22
	v_mov_b32_e32 v1, s17
	v_subrev_co_u32_e32 v0, vcc, s20, v0
	v_subb_co_u32_e32 v1, vcc, 0, v1, vcc
	v_add_co_u32_e32 v0, vcc, v0, v34
	v_addc_co_u32_e32 v1, vcc, v1, v35, vcc
	v_cmp_gt_i64_e32 vcc, v[0:1], v[26:27]
	v_cndmask_b32_e32 v1, v27, v1, vcc
	v_cndmask_b32_e32 v0, v26, v0, vcc
	v_mov_b32_e32 v4, s17
	v_sub_co_u32_e32 v5, vcc, s20, v22
	v_not_b32_e32 v3, v34
	v_subbrev_co_u32_e32 v4, vcc, 0, v4, vcc
	v_not_b32_e32 v2, v35
	v_add_co_u32_e32 v3, vcc, v5, v3
	v_addc_co_u32_e32 v2, vcc, v4, v2, vcc
	v_add_co_u32_e32 v0, vcc, v3, v0
	v_addc_co_u32_e32 v1, vcc, v2, v1, vcc
	v_lshrrev_b32_e32 v2, 4, v0
	v_add_u32_e32 v2, 1, v2
	v_and_b32_e32 v2, 3, v2
	s_mov_b32 s9, s8
	v_cmp_ne_u32_e32 vcc, 0, v2
	v_pk_mov_b32 v[32:33], s[8:9], s[8:9] op_sel:[0,1]
	v_pk_mov_b32 v[30:31], s[8:9], s[8:9] op_sel:[0,1]
	s_and_saveexec_b64 s[0:1], vcc
	s_cbranch_execz .LBB22_31
; %bb.28:
	v_lshlrev_b64 v[4:5], 2, v[24:25]
	v_mov_b32_e32 v3, 0
	v_mov_b32_e32 v6, s13
	v_add_co_u32_e32 v4, vcc, s12, v4
	v_addc_co_u32_e32 v5, vcc, v6, v5, vcc
	v_lshlrev_b32_e32 v2, 4, v2
	s_mov_b64 s[8:9], 0
	v_mov_b32_e32 v6, s7
	s_movk_i32 s10, 0x400
	v_mov_b32_e32 v30, v3
	v_mov_b32_e32 v31, v3
	;; [unrolled: 1-line block ×4, first 2 shown]
.LBB22_29:                              ; =>This Inner Loop Header: Depth=1
	global_load_dword v7, v[4:5], off
	global_load_dwordx4 v[8:11], v[28:29], off offset:16
	global_load_dwordx4 v[12:15], v[28:29], off
	s_waitcnt vmcnt(2)
	v_subrev_u32_e32 v7, s20, v7
	v_lshlrev_b32_e32 v16, 2, v7
	v_ashrrev_i32_e32 v17, 31, v16
	v_lshlrev_b64 v[16:17], 2, v[16:17]
	v_add_co_u32_e32 v42, vcc, s6, v16
	v_addc_co_u32_e32 v43, vcc, v6, v17, vcc
	global_load_dwordx4 v[16:19], v[42:43], off
	global_load_dwordx4 v[34:37], v[28:29], off offset:32
	global_load_dwordx4 v[38:41], v[28:29], off offset:48
	v_add_co_u32_e32 v28, vcc, s10, v28
	v_addc_co_u32_e32 v29, vcc, 0, v29, vcc
	v_add_co_u32_e32 v24, vcc, 16, v24
	v_addc_co_u32_e32 v25, vcc, 0, v25, vcc
	;; [unrolled: 2-line block ×3, first 2 shown]
	v_add_co_u32_e32 v2, vcc, -16, v2
	v_addc_co_u32_e32 v3, vcc, -1, v3, vcc
	v_cmp_eq_u64_e32 vcc, 0, v[2:3]
	s_or_b64 s[8:9], vcc, s[8:9]
	s_waitcnt vmcnt(2)
	v_pk_fma_f32 v[12:13], v[12:13], v[16:17], v[32:33] op_sel_hi:[1,0,1]
	v_pk_fma_f32 v[14:15], v[14:15], v[16:17], v[30:31] op_sel_hi:[1,0,1]
	v_pk_fma_f32 v[8:9], v[8:9], v[16:17], v[12:13] op_sel:[0,1,0]
	v_pk_fma_f32 v[10:11], v[10:11], v[16:17], v[14:15] op_sel:[0,1,0]
	v_mov_b32_e32 v30, v19
	s_waitcnt vmcnt(1)
	v_pk_fma_f32 v[8:9], v[34:35], v[18:19], v[8:9] op_sel_hi:[1,0,1]
	v_pk_fma_f32 v[10:11], v[36:37], v[18:19], v[10:11] op_sel_hi:[1,0,1]
	s_waitcnt vmcnt(0)
	v_pk_fma_f32 v[32:33], v[38:39], v[30:31], v[8:9] op_sel_hi:[1,0,1]
	v_pk_fma_f32 v[30:31], v[40:41], v[30:31], v[10:11] op_sel_hi:[1,0,1]
	s_andn2_b64 exec, exec, s[8:9]
	s_cbranch_execnz .LBB22_29
; %bb.30:
	s_or_b64 exec, exec, s[8:9]
.LBB22_31:
	s_or_b64 exec, exec, s[0:1]
	v_cmp_lt_u64_e32 vcc, 47, v[0:1]
	s_and_saveexec_b64 s[8:9], vcc
	s_cbranch_execz .LBB22_35
; %bb.32:
	v_lshlrev_b64 v[0:1], 2, v[24:25]
	v_mov_b32_e32 v2, s13
	v_add_co_u32_e32 v0, vcc, s12, v0
	v_addc_co_u32_e32 v1, vcc, v1, v2, vcc
	v_add_co_u32_e32 v0, vcc, 0x80, v0
	v_addc_co_u32_e32 v1, vcc, 0, v1, vcc
	s_mov_b64 s[10:11], 0
	v_mov_b32_e32 v2, s7
	s_movk_i32 s7, 0x1000
.LBB22_33:                              ; =>This Inner Loop Header: Depth=1
	global_load_dword v3, v[0:1], off offset:-128
	global_load_dword v21, v[0:1], off offset:-64
	global_load_dword v23, v[0:1], off
	global_load_dword v74, v[0:1], off offset:64
	global_load_dwordx4 v[4:7], v[28:29], off offset:48
	global_load_dwordx4 v[8:11], v[28:29], off offset:32
	;; [unrolled: 1-line block ×3, first 2 shown]
	global_load_dwordx4 v[16:19], v[28:29], off
	global_load_dwordx4 v[34:37], v[28:29], off offset:1072
	global_load_dwordx4 v[38:41], v[28:29], off offset:1056
	;; [unrolled: 1-line block ×10, first 2 shown]
	v_add_co_u32_e64 v24, s[0:1], 64, v24
	v_addc_co_u32_e64 v25, s[0:1], 0, v25, s[0:1]
	v_cmp_ge_i64_e64 s[0:1], v[24:25], v[26:27]
	s_or_b64 s[10:11], s[0:1], s[10:11]
	s_waitcnt vmcnt(17)
	v_subrev_u32_e32 v3, s20, v3
	s_waitcnt vmcnt(16)
	v_subrev_u32_e32 v21, s20, v21
	v_lshlrev_b32_e32 v76, 2, v21
	s_waitcnt vmcnt(14)
	v_subrev_u32_e32 v75, s20, v74
	v_lshlrev_b32_e32 v74, 2, v3
	v_lshlrev_b32_e32 v80, 2, v75
	v_ashrrev_i32_e32 v75, 31, v74
	v_lshlrev_b64 v[74:75], 2, v[74:75]
	v_subrev_u32_e32 v23, s20, v23
	v_ashrrev_i32_e32 v77, 31, v76
	v_add_co_u32_e32 v98, vcc, s6, v74
	v_lshlrev_b32_e32 v78, 2, v23
	v_lshlrev_b64 v[76:77], 2, v[76:77]
	v_addc_co_u32_e32 v99, vcc, v2, v75, vcc
	v_ashrrev_i32_e32 v79, 31, v78
	v_add_co_u32_e32 v100, vcc, s6, v76
	v_lshlrev_b64 v[78:79], 2, v[78:79]
	v_addc_co_u32_e32 v101, vcc, v2, v77, vcc
	v_ashrrev_i32_e32 v81, 31, v80
	v_add_co_u32_e32 v102, vcc, s6, v78
	v_lshlrev_b64 v[80:81], 2, v[80:81]
	v_addc_co_u32_e32 v103, vcc, v2, v79, vcc
	v_add_co_u32_e32 v104, vcc, s6, v80
	v_addc_co_u32_e32 v105, vcc, v2, v81, vcc
	global_load_dwordx4 v[74:77], v[98:99], off
	global_load_dwordx4 v[78:81], v[100:101], off
	;; [unrolled: 1-line block ×4, first 2 shown]
	global_load_dwordx4 v[90:93], v[28:29], off offset:3104
	global_load_dwordx4 v[94:97], v[28:29], off offset:3120
	v_add_co_u32_e32 v28, vcc, s7, v28
	v_addc_co_u32_e32 v29, vcc, 0, v29, vcc
	v_add_co_u32_e32 v0, vcc, 0x100, v0
	v_addc_co_u32_e32 v1, vcc, 0, v1, vcc
	s_waitcnt vmcnt(5)
	v_pk_fma_f32 v[16:17], v[16:17], v[74:75], v[32:33] op_sel_hi:[1,0,1]
	v_pk_fma_f32 v[18:19], v[18:19], v[74:75], v[30:31] op_sel_hi:[1,0,1]
	v_pk_fma_f32 v[12:13], v[12:13], v[74:75], v[16:17] op_sel:[0,1,0]
	v_pk_fma_f32 v[14:15], v[14:15], v[74:75], v[18:19] op_sel:[0,1,0]
	v_mov_b32_e32 v30, v77
	v_pk_fma_f32 v[8:9], v[8:9], v[76:77], v[12:13] op_sel_hi:[1,0,1]
	v_pk_fma_f32 v[10:11], v[10:11], v[76:77], v[14:15] op_sel_hi:[1,0,1]
	v_pk_fma_f32 v[4:5], v[4:5], v[30:31], v[8:9] op_sel_hi:[1,0,1]
	v_pk_fma_f32 v[6:7], v[6:7], v[30:31], v[10:11] op_sel_hi:[1,0,1]
	s_waitcnt vmcnt(4)
	v_pk_fma_f32 v[4:5], v[46:47], v[78:79], v[4:5] op_sel_hi:[1,0,1]
	v_pk_fma_f32 v[6:7], v[48:49], v[78:79], v[6:7] op_sel_hi:[1,0,1]
	v_pk_fma_f32 v[4:5], v[42:43], v[78:79], v[4:5] op_sel:[0,1,0]
	v_pk_fma_f32 v[6:7], v[44:45], v[78:79], v[6:7] op_sel:[0,1,0]
	v_mov_b32_e32 v32, v81
	v_pk_fma_f32 v[4:5], v[38:39], v[80:81], v[4:5] op_sel_hi:[1,0,1]
	v_pk_fma_f32 v[6:7], v[40:41], v[80:81], v[6:7] op_sel_hi:[1,0,1]
	v_pk_fma_f32 v[4:5], v[34:35], v[32:33], v[4:5] op_sel_hi:[1,0,1]
	v_pk_fma_f32 v[6:7], v[36:37], v[32:33], v[6:7] op_sel_hi:[1,0,1]
	;; [unrolled: 10-line block ×3, first 2 shown]
	s_waitcnt vmcnt(2)
	v_pk_fma_f32 v[4:5], v[70:71], v[86:87], v[4:5] op_sel_hi:[1,0,1]
	v_pk_fma_f32 v[6:7], v[72:73], v[86:87], v[6:7] op_sel_hi:[1,0,1]
	v_pk_fma_f32 v[4:5], v[66:67], v[86:87], v[4:5] op_sel:[0,1,0]
	v_pk_fma_f32 v[6:7], v[68:69], v[86:87], v[6:7] op_sel:[0,1,0]
	v_mov_b32_e32 v100, v89
	s_waitcnt vmcnt(1)
	v_pk_fma_f32 v[4:5], v[90:91], v[88:89], v[4:5] op_sel_hi:[1,0,1]
	v_pk_fma_f32 v[6:7], v[92:93], v[88:89], v[6:7] op_sel_hi:[1,0,1]
	s_waitcnt vmcnt(0)
	v_pk_fma_f32 v[32:33], v[94:95], v[100:101], v[4:5] op_sel_hi:[1,0,1]
	v_pk_fma_f32 v[30:31], v[96:97], v[100:101], v[6:7] op_sel_hi:[1,0,1]
	s_andn2_b64 exec, exec, s[10:11]
	s_cbranch_execnz .LBB22_33
; %bb.34:
	s_or_b64 exec, exec, s[10:11]
.LBB22_35:
	s_or_b64 exec, exec, s[8:9]
.LBB22_36:
	s_or_b64 exec, exec, s[2:3]
.LBB22_37:
	v_mov_b32_dpp v0, v32 row_shr:1 row_mask:0xf bank_mask:0xf
	v_mov_b32_dpp v1, v33 row_shr:1 row_mask:0xf bank_mask:0xf
	;; [unrolled: 1-line block ×4, first 2 shown]
	v_pk_add_f32 v[0:1], v[32:33], v[0:1]
	v_pk_add_f32 v[4:5], v[30:31], v[4:5]
	v_cmp_eq_u32_e32 vcc, 15, v22
	v_mov_b32_dpp v2, v0 row_shr:2 row_mask:0xf bank_mask:0xf
	v_mov_b32_dpp v3, v1 row_shr:2 row_mask:0xf bank_mask:0xf
	;; [unrolled: 1-line block ×4, first 2 shown]
	v_pk_add_f32 v[0:1], v[0:1], v[2:3]
	v_pk_add_f32 v[4:5], v[4:5], v[6:7]
	s_nop 0
	v_mov_b32_dpp v2, v0 row_shr:4 row_mask:0xf bank_mask:0xe
	v_mov_b32_dpp v3, v1 row_shr:4 row_mask:0xf bank_mask:0xe
	;; [unrolled: 1-line block ×4, first 2 shown]
	v_pk_add_f32 v[0:1], v[0:1], v[2:3]
	v_pk_add_f32 v[4:5], v[4:5], v[6:7]
	s_nop 0
	v_mov_b32_dpp v2, v0 row_shr:8 row_mask:0xf bank_mask:0xc
	v_mov_b32_dpp v3, v1 row_shr:8 row_mask:0xf bank_mask:0xc
	;; [unrolled: 1-line block ×4, first 2 shown]
	s_and_b64 exec, exec, vcc
	s_cbranch_execz .LBB22_10
; %bb.38:
	s_load_dwordx2 s[0:1], s[4:5], 0x50
	v_cmp_eq_f32_e64 s[2:3], s18, 0
	v_pk_add_f32 v[2:3], v[0:1], v[2:3]
	v_pk_add_f32 v[0:1], v[4:5], v[6:7]
	s_and_b64 vcc, exec, s[2:3]
	v_lshlrev_b32_e32 v4, 2, v20
	s_cbranch_vccz .LBB22_40
; %bb.39:
	v_ashrrev_i32_e32 v5, 31, v4
	v_lshlrev_b64 v[6:7], 2, v[4:5]
	s_waitcnt lgkmcnt(0)
	v_mov_b32_e32 v5, s1
	v_add_co_u32_e32 v10, vcc, s0, v6
	v_addc_co_u32_e32 v11, vcc, v5, v7, vcc
	v_pk_mul_f32 v[6:7], s[16:17], v[2:3] op_sel_hi:[0,1]
	v_pk_mul_f32 v[8:9], s[16:17], v[0:1] op_sel_hi:[0,1]
	global_store_dwordx4 v[10:11], v[6:9], off
	s_cbranch_execnz .LBB22_10
	s_branch .LBB22_41
.LBB22_40:
.LBB22_41:
	v_ashrrev_i32_e32 v5, 31, v4
	v_lshlrev_b64 v[4:5], 2, v[4:5]
	s_waitcnt lgkmcnt(0)
	v_mov_b32_e32 v6, s1
	v_add_co_u32_e32 v8, vcc, s0, v4
	v_addc_co_u32_e32 v9, vcc, v6, v5, vcc
	global_load_dwordx4 v[4:7], v[8:9], off
	v_pk_mul_f32 v[2:3], s[16:17], v[2:3] op_sel_hi:[0,1]
	v_pk_mul_f32 v[10:11], s[16:17], v[0:1] op_sel_hi:[0,1]
	s_waitcnt vmcnt(0)
	v_pk_fma_f32 v[0:1], s[18:19], v[4:5], v[2:3] op_sel_hi:[0,1,1]
	v_pk_fma_f32 v[2:3], s[18:19], v[6:7], v[10:11] op_sel_hi:[0,1,1]
	global_store_dwordx4 v[8:9], v[0:3], off
	s_endpgm
	.section	.rodata,"a",@progbits
	.p2align	6, 0x0
	.amdhsa_kernel _ZN9rocsparseL18bsrxmvn_4x4_kernelILj128ELj16EflifffEEvT3_20rocsparse_direction_NS_24const_host_device_scalarIT1_EES1_PKS1_PKT2_SA_S7_PKT4_PKT5_S5_PT6_21rocsparse_index_base_b
		.amdhsa_group_segment_fixed_size 0
		.amdhsa_private_segment_fixed_size 0
		.amdhsa_kernarg_size 96
		.amdhsa_user_sgpr_count 6
		.amdhsa_user_sgpr_private_segment_buffer 1
		.amdhsa_user_sgpr_dispatch_ptr 0
		.amdhsa_user_sgpr_queue_ptr 0
		.amdhsa_user_sgpr_kernarg_segment_ptr 1
		.amdhsa_user_sgpr_dispatch_id 0
		.amdhsa_user_sgpr_flat_scratch_init 0
		.amdhsa_user_sgpr_kernarg_preload_length 0
		.amdhsa_user_sgpr_kernarg_preload_offset 0
		.amdhsa_user_sgpr_private_segment_size 0
		.amdhsa_uses_dynamic_stack 0
		.amdhsa_system_sgpr_private_segment_wavefront_offset 0
		.amdhsa_system_sgpr_workgroup_id_x 1
		.amdhsa_system_sgpr_workgroup_id_y 0
		.amdhsa_system_sgpr_workgroup_id_z 0
		.amdhsa_system_sgpr_workgroup_info 0
		.amdhsa_system_vgpr_workitem_id 0
		.amdhsa_next_free_vgpr 112
		.amdhsa_next_free_sgpr 22
		.amdhsa_accum_offset 112
		.amdhsa_reserve_vcc 1
		.amdhsa_reserve_flat_scratch 0
		.amdhsa_float_round_mode_32 0
		.amdhsa_float_round_mode_16_64 0
		.amdhsa_float_denorm_mode_32 3
		.amdhsa_float_denorm_mode_16_64 3
		.amdhsa_dx10_clamp 1
		.amdhsa_ieee_mode 1
		.amdhsa_fp16_overflow 0
		.amdhsa_tg_split 0
		.amdhsa_exception_fp_ieee_invalid_op 0
		.amdhsa_exception_fp_denorm_src 0
		.amdhsa_exception_fp_ieee_div_zero 0
		.amdhsa_exception_fp_ieee_overflow 0
		.amdhsa_exception_fp_ieee_underflow 0
		.amdhsa_exception_fp_ieee_inexact 0
		.amdhsa_exception_int_div_zero 0
	.end_amdhsa_kernel
	.section	.text._ZN9rocsparseL18bsrxmvn_4x4_kernelILj128ELj16EflifffEEvT3_20rocsparse_direction_NS_24const_host_device_scalarIT1_EES1_PKS1_PKT2_SA_S7_PKT4_PKT5_S5_PT6_21rocsparse_index_base_b,"axG",@progbits,_ZN9rocsparseL18bsrxmvn_4x4_kernelILj128ELj16EflifffEEvT3_20rocsparse_direction_NS_24const_host_device_scalarIT1_EES1_PKS1_PKT2_SA_S7_PKT4_PKT5_S5_PT6_21rocsparse_index_base_b,comdat
.Lfunc_end22:
	.size	_ZN9rocsparseL18bsrxmvn_4x4_kernelILj128ELj16EflifffEEvT3_20rocsparse_direction_NS_24const_host_device_scalarIT1_EES1_PKS1_PKT2_SA_S7_PKT4_PKT5_S5_PT6_21rocsparse_index_base_b, .Lfunc_end22-_ZN9rocsparseL18bsrxmvn_4x4_kernelILj128ELj16EflifffEEvT3_20rocsparse_direction_NS_24const_host_device_scalarIT1_EES1_PKS1_PKT2_SA_S7_PKT4_PKT5_S5_PT6_21rocsparse_index_base_b
                                        ; -- End function
	.section	.AMDGPU.csdata,"",@progbits
; Kernel info:
; codeLenInByte = 3432
; NumSgprs: 26
; NumVgprs: 112
; NumAgprs: 0
; TotalNumVgprs: 112
; ScratchSize: 0
; MemoryBound: 1
; FloatMode: 240
; IeeeMode: 1
; LDSByteSize: 0 bytes/workgroup (compile time only)
; SGPRBlocks: 3
; VGPRBlocks: 13
; NumSGPRsForWavesPerEU: 26
; NumVGPRsForWavesPerEU: 112
; AccumOffset: 112
; Occupancy: 4
; WaveLimiterHint : 1
; COMPUTE_PGM_RSRC2:SCRATCH_EN: 0
; COMPUTE_PGM_RSRC2:USER_SGPR: 6
; COMPUTE_PGM_RSRC2:TRAP_HANDLER: 0
; COMPUTE_PGM_RSRC2:TGID_X_EN: 1
; COMPUTE_PGM_RSRC2:TGID_Y_EN: 0
; COMPUTE_PGM_RSRC2:TGID_Z_EN: 0
; COMPUTE_PGM_RSRC2:TIDIG_COMP_CNT: 0
; COMPUTE_PGM_RSRC3_GFX90A:ACCUM_OFFSET: 27
; COMPUTE_PGM_RSRC3_GFX90A:TG_SPLIT: 0
	.section	.text._ZN9rocsparseL18bsrxmvn_4x4_kernelILj128ELj32EflifffEEvT3_20rocsparse_direction_NS_24const_host_device_scalarIT1_EES1_PKS1_PKT2_SA_S7_PKT4_PKT5_S5_PT6_21rocsparse_index_base_b,"axG",@progbits,_ZN9rocsparseL18bsrxmvn_4x4_kernelILj128ELj32EflifffEEvT3_20rocsparse_direction_NS_24const_host_device_scalarIT1_EES1_PKS1_PKT2_SA_S7_PKT4_PKT5_S5_PT6_21rocsparse_index_base_b,comdat
	.globl	_ZN9rocsparseL18bsrxmvn_4x4_kernelILj128ELj32EflifffEEvT3_20rocsparse_direction_NS_24const_host_device_scalarIT1_EES1_PKS1_PKT2_SA_S7_PKT4_PKT5_S5_PT6_21rocsparse_index_base_b ; -- Begin function _ZN9rocsparseL18bsrxmvn_4x4_kernelILj128ELj32EflifffEEvT3_20rocsparse_direction_NS_24const_host_device_scalarIT1_EES1_PKS1_PKT2_SA_S7_PKT4_PKT5_S5_PT6_21rocsparse_index_base_b
	.p2align	8
	.type	_ZN9rocsparseL18bsrxmvn_4x4_kernelILj128ELj32EflifffEEvT3_20rocsparse_direction_NS_24const_host_device_scalarIT1_EES1_PKS1_PKT2_SA_S7_PKT4_PKT5_S5_PT6_21rocsparse_index_base_b,@function
_ZN9rocsparseL18bsrxmvn_4x4_kernelILj128ELj32EflifffEEvT3_20rocsparse_direction_NS_24const_host_device_scalarIT1_EES1_PKS1_PKT2_SA_S7_PKT4_PKT5_S5_PT6_21rocsparse_index_base_b: ; @_ZN9rocsparseL18bsrxmvn_4x4_kernelILj128ELj32EflifffEEvT3_20rocsparse_direction_NS_24const_host_device_scalarIT1_EES1_PKS1_PKT2_SA_S7_PKT4_PKT5_S5_PT6_21rocsparse_index_base_b
; %bb.0:
	s_load_dwordx2 s[20:21], s[4:5], 0x58
	s_load_dwordx2 s[16:17], s[4:5], 0x8
	;; [unrolled: 1-line block ×3, first 2 shown]
	s_waitcnt lgkmcnt(0)
	s_bitcmp1_b32 s21, 0
	s_cselect_b64 s[2:3], -1, 0
	s_xor_b64 s[0:1], s[2:3], -1
	s_and_b64 vcc, exec, s[2:3]
	s_cbranch_vccnz .LBB23_2
; %bb.1:
	s_load_dword s16, s[16:17], 0x0
.LBB23_2:
	s_andn2_b64 vcc, exec, s[0:1]
	s_cbranch_vccnz .LBB23_4
; %bb.3:
	s_load_dword s18, s[18:19], 0x0
.LBB23_4:
	s_waitcnt lgkmcnt(0)
	v_cmp_neq_f32_e64 s[0:1], s16, 0
	v_cmp_neq_f32_e64 s[2:3], s18, 1.0
	s_or_b64 s[0:1], s[0:1], s[2:3]
	s_andn2_b64 vcc, exec, s[0:1]
	s_cbranch_vccnz .LBB23_10
; %bb.5:
	s_load_dwordx2 s[8:9], s[4:5], 0x18
	s_load_dwordx2 s[0:1], s[4:5], 0x0
	v_lshrrev_b32_e32 v1, 5, v0
	v_lshl_or_b32 v16, s6, 2, v1
	s_mov_b64 s[2:3], 0
	s_waitcnt lgkmcnt(0)
	s_cmp_lg_u64 s[8:9], 0
	s_cbranch_scc0 .LBB23_11
; %bb.6:
	s_load_dword s6, s[4:5], 0x10
                                        ; implicit-def: $vgpr1
	s_waitcnt lgkmcnt(0)
	v_cmp_gt_i32_e32 vcc, s6, v16
	s_and_saveexec_b64 s[6:7], vcc
	s_xor_b64 s[6:7], exec, s[6:7]
	s_cbranch_execz .LBB23_8
; %bb.7:
	v_ashrrev_i32_e32 v17, 31, v16
	v_lshlrev_b64 v[2:3], 2, v[16:17]
	v_mov_b32_e32 v1, s9
	v_add_co_u32_e32 v2, vcc, s8, v2
	v_addc_co_u32_e32 v3, vcc, v1, v3, vcc
	global_load_dword v1, v[2:3], off
	s_mov_b64 s[2:3], exec
	s_waitcnt vmcnt(0)
	v_subrev_u32_e32 v1, s20, v1
.LBB23_8:
	s_or_b64 exec, exec, s[6:7]
	s_branch .LBB23_12
.LBB23_9:
	v_cmp_gt_i32_e32 vcc, s0, v16
	s_andn2_b64 s[2:3], s[2:3], exec
	s_and_b64 s[6:7], vcc, exec
	s_or_b64 s[2:3], s[2:3], s[6:7]
	s_and_saveexec_b64 s[6:7], s[2:3]
	s_cbranch_execnz .LBB23_13
.LBB23_10:
	s_endpgm
.LBB23_11:
                                        ; implicit-def: $vgpr1
	s_cbranch_execnz .LBB23_9
.LBB23_12:
	v_mov_b32_e32 v16, v1
	s_and_saveexec_b64 s[6:7], s[2:3]
	s_cbranch_execz .LBB23_10
.LBB23_13:
	s_load_dwordx8 s[8:15], s[4:5], 0x20
	v_ashrrev_i32_e32 v17, 31, v16
	v_lshlrev_b64 v[2:3], 3, v[16:17]
	v_and_b32_e32 v18, 31, v0
	s_mov_b32 s17, 0
	s_waitcnt lgkmcnt(0)
	v_mov_b32_e32 v1, s9
	v_add_co_u32_e32 v4, vcc, s8, v2
	v_addc_co_u32_e32 v5, vcc, v1, v3, vcc
	v_add_co_u32_e32 v1, vcc, 8, v4
	global_load_dwordx2 v[30:31], v[4:5], off
	v_addc_co_u32_e32 v4, vcc, 0, v5, vcc
	v_mov_b32_e32 v5, s11
	v_add_co_u32_e32 v2, vcc, s10, v2
	s_cmp_eq_u64 s[10:11], 0
	v_addc_co_u32_e32 v3, vcc, v5, v3, vcc
	s_cselect_b64 vcc, -1, 0
	v_cndmask_b32_e32 v3, v3, v4, vcc
	v_cndmask_b32_e32 v2, v2, v1, vcc
	global_load_dwordx2 v[2:3], v[2:3], off
	s_load_dwordx2 s[8:9], s[4:5], 0x40
	v_mov_b32_e32 v4, s15
	v_mov_b32_e32 v27, 0
	s_cmp_eq_u32 s1, 1
	s_waitcnt vmcnt(1)
	v_subrev_co_u32_e32 v0, vcc, s20, v30
	v_subbrev_co_u32_e32 v1, vcc, 0, v31, vcc
	v_add_co_u32_e32 v20, vcc, v0, v18
	v_addc_co_u32_e32 v21, vcc, 0, v1, vcc
	v_lshlrev_b64 v[0:1], 6, v[20:21]
	s_waitcnt vmcnt(0)
	v_subrev_co_u32_e32 v22, vcc, s20, v2
	v_subbrev_co_u32_e32 v23, vcc, 0, v3, vcc
	v_add_co_u32_e32 v24, vcc, s14, v0
	v_addc_co_u32_e32 v25, vcc, v4, v1, vcc
	v_cmp_lt_i64_e64 s[0:1], v[20:21], v[22:23]
	s_cbranch_scc1 .LBB23_25
; %bb.14:
	v_mov_b32_e32 v26, 0
	v_mov_b32_e32 v29, 0
	;; [unrolled: 1-line block ×3, first 2 shown]
	s_and_saveexec_b64 s[10:11], s[0:1]
	s_cbranch_execz .LBB23_24
; %bb.15:
	v_or_b32_e32 v0, 32, v18
	v_mov_b32_e32 v1, s17
	v_subrev_co_u32_e32 v0, vcc, s20, v0
	v_subb_co_u32_e32 v1, vcc, 0, v1, vcc
	v_add_co_u32_e32 v0, vcc, v0, v30
	v_addc_co_u32_e32 v1, vcc, v1, v31, vcc
	v_cmp_gt_i64_e32 vcc, v[0:1], v[22:23]
	v_cndmask_b32_e32 v1, v23, v1, vcc
	v_cndmask_b32_e32 v0, v22, v0, vcc
	v_mov_b32_e32 v4, s17
	v_sub_co_u32_e32 v5, vcc, s20, v18
	v_not_b32_e32 v3, v30
	v_subbrev_co_u32_e32 v4, vcc, 0, v4, vcc
	v_not_b32_e32 v2, v31
	v_add_co_u32_e32 v3, vcc, v5, v3
	v_addc_co_u32_e32 v2, vcc, v4, v2, vcc
	v_add_co_u32_e32 v0, vcc, v3, v0
	v_addc_co_u32_e32 v1, vcc, v2, v1, vcc
	v_lshrrev_b32_e32 v2, 5, v0
	v_add_u32_e32 v2, 1, v2
	v_and_b32_e32 v2, 3, v2
	s_mov_b32 s2, s17
	s_mov_b32 s3, s17
	v_cmp_ne_u32_e32 vcc, 0, v2
	v_pk_mov_b32 v[28:29], s[2:3], s[2:3] op_sel:[0,1]
	v_pk_mov_b32 v[26:27], s[2:3], s[2:3] op_sel:[0,1]
	;; [unrolled: 1-line block ×4, first 2 shown]
	s_and_saveexec_b64 s[6:7], vcc
	s_cbranch_execz .LBB23_19
; %bb.16:
	v_lshlrev_b64 v[4:5], 2, v[20:21]
	v_mov_b32_e32 v3, 0
	v_mov_b32_e32 v6, s13
	v_add_co_u32_e32 v4, vcc, s12, v4
	v_addc_co_u32_e32 v5, vcc, v6, v5, vcc
	v_lshlrev_b32_e32 v2, 4, v2
	s_mov_b64 s[14:15], 0
	s_waitcnt lgkmcnt(0)
	v_mov_b32_e32 v6, s9
	s_movk_i32 s19, 0x800
	v_pk_mov_b32 v[34:35], v[24:25], v[24:25] op_sel:[0,1]
	v_pk_mov_b32 v[32:33], v[20:21], v[20:21] op_sel:[0,1]
	v_mov_b32_e32 v26, v3
	v_mov_b32_e32 v27, v3
	;; [unrolled: 1-line block ×4, first 2 shown]
.LBB23_17:                              ; =>This Inner Loop Header: Depth=1
	global_load_dword v7, v[4:5], off
	global_load_dwordx4 v[8:11], v[34:35], off
	global_load_dwordx4 v[12:15], v[34:35], off offset:16
	global_load_dwordx4 v[36:39], v[34:35], off offset:48
	;; [unrolled: 1-line block ×3, first 2 shown]
	v_add_co_u32_e64 v32, s[2:3], 32, v32
	v_addc_co_u32_e64 v33, s[2:3], 0, v33, s[2:3]
	v_add_co_u32_e64 v2, s[2:3], -16, v2
	v_addc_co_u32_e64 v3, s[2:3], -1, v3, s[2:3]
	v_cmp_eq_u64_e64 s[2:3], 0, v[2:3]
	s_or_b64 s[14:15], s[2:3], s[14:15]
	s_waitcnt vmcnt(4)
	v_subrev_u32_e32 v7, s20, v7
	v_lshlrev_b32_e32 v44, 2, v7
	v_ashrrev_i32_e32 v45, 31, v44
	v_lshlrev_b64 v[44:45], 2, v[44:45]
	v_add_co_u32_e32 v44, vcc, s8, v44
	v_addc_co_u32_e32 v45, vcc, v6, v45, vcc
	global_load_dwordx4 v[44:47], v[44:45], off
	s_waitcnt vmcnt(4)
	v_mov_b32_e32 v48, v8
	s_waitcnt vmcnt(3)
	v_mov_b32_e32 v49, v12
	v_mov_b32_e32 v12, v9
	;; [unrolled: 1-line block ×5, first 2 shown]
	s_waitcnt vmcnt(1)
	v_mov_b32_e32 v10, v40
	v_mov_b32_e32 v11, v36
	v_add_co_u32_e32 v34, vcc, s19, v34
	v_mov_b32_e32 v36, v41
	v_addc_co_u32_e32 v35, vcc, 0, v35, vcc
	v_mov_b32_e32 v40, v42
	v_mov_b32_e32 v41, v38
	v_add_co_u32_e32 v4, vcc, 0x80, v4
	v_mov_b32_e32 v38, v43
	v_addc_co_u32_e32 v5, vcc, 0, v5, vcc
	s_waitcnt vmcnt(0)
	v_pk_fma_f32 v[28:29], v[48:49], v[44:45], v[28:29] op_sel_hi:[1,0,1]
	v_pk_fma_f32 v[10:11], v[10:11], v[44:45], v[26:27] op_sel_hi:[1,0,1]
	v_pk_fma_f32 v[12:13], v[12:13], v[44:45], v[28:29] op_sel:[0,1,0]
	v_pk_fma_f32 v[10:11], v[36:37], v[44:45], v[10:11] op_sel:[0,1,0]
	v_mov_b32_e32 v42, v47
	v_pk_fma_f32 v[8:9], v[8:9], v[46:47], v[12:13] op_sel_hi:[1,0,1]
	v_pk_fma_f32 v[10:11], v[40:41], v[46:47], v[10:11] op_sel_hi:[1,0,1]
	;; [unrolled: 1-line block ×4, first 2 shown]
	s_andn2_b64 exec, exec, s[14:15]
	s_cbranch_execnz .LBB23_17
; %bb.18:
	s_or_b64 exec, exec, s[14:15]
.LBB23_19:
	s_or_b64 exec, exec, s[6:7]
	s_mov_b64 s[2:3], 0x5f
	v_cmp_lt_u64_e32 vcc, s[2:3], v[0:1]
	s_and_saveexec_b64 s[14:15], vcc
	s_cbranch_execz .LBB23_23
; %bb.20:
	v_lshlrev_b64 v[0:1], 2, v[32:33]
	v_mov_b32_e32 v2, s13
	v_add_co_u32_e32 v0, vcc, s12, v0
	v_addc_co_u32_e32 v1, vcc, v1, v2, vcc
	v_add_co_u32_e32 v36, vcc, 0x100, v0
	v_addc_co_u32_e32 v37, vcc, 0, v1, vcc
	s_mov_b64 s[22:23], 0
	s_waitcnt lgkmcnt(0)
	v_mov_b32_e32 v17, s9
	s_movk_i32 s19, 0x1000
.LBB23_21:                              ; =>This Inner Loop Header: Depth=1
	global_load_dword v19, v[36:37], off offset:-256
	global_load_dwordx4 v[38:41], v[34:35], off
	global_load_dword v88, v[36:37], off offset:-128
	global_load_dword v89, v[36:37], off
	global_load_dword v90, v[36:37], off offset:128
	global_load_dwordx4 v[12:15], v[34:35], off offset:16
	global_load_dwordx4 v[8:11], v[34:35], off offset:48
	;; [unrolled: 1-line block ×7, first 2 shown]
	v_add_co_u32_e32 v32, vcc, 0x80, v32
	s_mov_b64 s[2:3], vcc
	v_add_co_u32_e32 v86, vcc, s19, v34
	v_addc_co_u32_e32 v87, vcc, 0, v35, vcc
	v_add_co_u32_e32 v36, vcc, 0x200, v36
	s_mov_b64 s[6:7], vcc
	global_load_dwordx4 v[54:57], v[86:87], off offset:48
	global_load_dwordx4 v[58:61], v[86:87], off offset:32
	global_load_dwordx4 v[62:65], v[86:87], off
	global_load_dwordx4 v[66:69], v[86:87], off offset:16
	global_load_dwordx4 v[70:73], v[86:87], off offset:2096
	;; [unrolled: 1-line block ×5, first 2 shown]
	v_addc_co_u32_e64 v33, vcc, 0, v33, s[2:3]
	v_add_co_u32_e32 v34, vcc, 0x2000, v34
	v_addc_co_u32_e32 v35, vcc, 0, v35, vcc
	v_addc_co_u32_e64 v37, s[2:3], 0, v37, s[6:7]
	v_cmp_ge_i64_e64 s[2:3], v[32:33], v[22:23]
	s_or_b64 s[22:23], s[2:3], s[22:23]
	s_waitcnt vmcnt(19)
	v_subrev_u32_e32 v19, s20, v19
	v_lshlrev_b32_e32 v86, 2, v19
	s_waitcnt vmcnt(18)
	v_mov_b32_e32 v102, v38
	s_waitcnt vmcnt(16)
	v_subrev_u32_e32 v87, s20, v89
	v_subrev_u32_e32 v38, s20, v88
	s_waitcnt vmcnt(15)
	v_subrev_u32_e32 v89, s20, v90
	v_lshlrev_b32_e32 v90, 2, v87
	v_ashrrev_i32_e32 v87, 31, v86
	v_lshlrev_b32_e32 v88, 2, v38
	v_lshlrev_b64 v[86:87], 2, v[86:87]
	v_lshlrev_b32_e32 v92, 2, v89
	v_ashrrev_i32_e32 v89, 31, v88
	v_add_co_u32_e32 v104, vcc, s8, v86
	v_lshlrev_b64 v[88:89], 2, v[88:89]
	v_addc_co_u32_e32 v105, vcc, v17, v87, vcc
	v_ashrrev_i32_e32 v91, 31, v90
	v_add_co_u32_e32 v106, vcc, s8, v88
	v_lshlrev_b64 v[90:91], 2, v[90:91]
	v_addc_co_u32_e32 v107, vcc, v17, v89, vcc
	;; [unrolled: 4-line block ×3, first 2 shown]
	v_add_co_u32_e32 v110, vcc, s8, v92
	v_addc_co_u32_e32 v111, vcc, v17, v93, vcc
	global_load_dwordx4 v[86:89], v[104:105], off
	global_load_dwordx4 v[90:93], v[106:107], off
	;; [unrolled: 1-line block ×4, first 2 shown]
	s_waitcnt vmcnt(18)
	v_mov_b32_e32 v103, v12
	v_mov_b32_e32 v12, v39
	s_waitcnt vmcnt(16)
	v_mov_b32_e32 v38, v42
	v_mov_b32_e32 v39, v8
	;; [unrolled: 1-line block ×9, first 2 shown]
	s_waitcnt vmcnt(12)
	v_mov_b32_e32 v40, v50
	v_mov_b32_e32 v41, v4
	;; [unrolled: 1-line block ×12, first 2 shown]
	s_waitcnt vmcnt(9)
	v_mov_b32_e32 v48, v62
	s_waitcnt vmcnt(4)
	v_mov_b32_e32 v62, v82
	v_mov_b32_e32 v82, v58
	;; [unrolled: 1-line block ×23, first 2 shown]
	s_waitcnt vmcnt(3)
	v_pk_fma_f32 v[28:29], v[102:103], v[86:87], v[28:29] op_sel_hi:[1,0,1]
	v_pk_fma_f32 v[26:27], v[38:39], v[86:87], v[26:27] op_sel_hi:[1,0,1]
	v_pk_fma_f32 v[12:13], v[12:13], v[86:87], v[28:29] op_sel:[0,1,0]
	v_pk_fma_f32 v[8:9], v[8:9], v[86:87], v[26:27] op_sel:[0,1,0]
	v_mov_b32_e32 v38, v89
	v_pk_fma_f32 v[12:13], v[42:43], v[88:89], v[12:13] op_sel_hi:[1,0,1]
	v_pk_fma_f32 v[8:9], v[104:105], v[88:89], v[8:9] op_sel_hi:[1,0,1]
	v_pk_fma_f32 v[12:13], v[14:15], v[38:39], v[12:13] op_sel_hi:[1,0,1]
	v_pk_fma_f32 v[8:9], v[10:11], v[38:39], v[8:9] op_sel_hi:[1,0,1]
	s_waitcnt vmcnt(2)
	v_pk_fma_f32 v[10:11], v[40:41], v[90:91], v[12:13] op_sel_hi:[1,0,1]
	v_pk_fma_f32 v[8:9], v[44:45], v[90:91], v[8:9] op_sel_hi:[1,0,1]
	v_pk_fma_f32 v[4:5], v[4:5], v[90:91], v[10:11] op_sel:[0,1,0]
	v_pk_fma_f32 v[0:1], v[0:1], v[90:91], v[8:9] op_sel:[0,1,0]
	v_mov_b32_e32 v76, v93
	v_pk_fma_f32 v[4:5], v[50:51], v[92:93], v[4:5] op_sel_hi:[1,0,1]
	v_pk_fma_f32 v[0:1], v[46:47], v[92:93], v[0:1] op_sel_hi:[1,0,1]
	v_pk_fma_f32 v[4:5], v[6:7], v[76:77], v[4:5] op_sel_hi:[1,0,1]
	v_pk_fma_f32 v[0:1], v[2:3], v[76:77], v[0:1] op_sel_hi:[1,0,1]
	;; [unrolled: 10-line block ×4, first 2 shown]
	s_andn2_b64 exec, exec, s[22:23]
	s_cbranch_execnz .LBB23_21
; %bb.22:
	s_or_b64 exec, exec, s[22:23]
.LBB23_23:
	s_or_b64 exec, exec, s[14:15]
.LBB23_24:
	s_or_b64 exec, exec, s[10:11]
	s_cbranch_execz .LBB23_26
	s_branch .LBB23_37
.LBB23_25:
                                        ; implicit-def: $vgpr27
                                        ; implicit-def: $vgpr29
.LBB23_26:
	s_mov_b32 s6, 0
	v_mov_b32_e32 v27, 0
	v_mov_b32_e32 v26, 0
	v_mov_b32_e32 v29, 0
	v_mov_b32_e32 v28, 0
	s_and_saveexec_b64 s[2:3], s[0:1]
	s_cbranch_execz .LBB23_36
; %bb.27:
	v_or_b32_e32 v0, 32, v18
	v_mov_b32_e32 v1, s17
	v_subrev_co_u32_e32 v0, vcc, s20, v0
	v_subb_co_u32_e32 v1, vcc, 0, v1, vcc
	v_add_co_u32_e32 v0, vcc, v0, v30
	v_addc_co_u32_e32 v1, vcc, v1, v31, vcc
	v_cmp_gt_i64_e32 vcc, v[0:1], v[22:23]
	v_cndmask_b32_e32 v1, v23, v1, vcc
	v_cndmask_b32_e32 v0, v22, v0, vcc
	v_mov_b32_e32 v4, s17
	v_sub_co_u32_e32 v5, vcc, s20, v18
	v_not_b32_e32 v3, v30
	v_subbrev_co_u32_e32 v4, vcc, 0, v4, vcc
	v_not_b32_e32 v2, v31
	v_add_co_u32_e32 v3, vcc, v5, v3
	v_addc_co_u32_e32 v2, vcc, v4, v2, vcc
	v_add_co_u32_e32 v0, vcc, v3, v0
	v_addc_co_u32_e32 v1, vcc, v2, v1, vcc
	v_lshrrev_b32_e32 v2, 5, v0
	v_add_u32_e32 v2, 1, v2
	v_and_b32_e32 v2, 3, v2
	s_mov_b32 s7, s6
	v_cmp_ne_u32_e32 vcc, 0, v2
	v_pk_mov_b32 v[28:29], s[6:7], s[6:7] op_sel:[0,1]
	v_pk_mov_b32 v[26:27], s[6:7], s[6:7] op_sel:[0,1]
	s_and_saveexec_b64 s[6:7], vcc
	s_cbranch_execz .LBB23_31
; %bb.28:
	v_lshlrev_b64 v[4:5], 2, v[20:21]
	v_mov_b32_e32 v3, 0
	v_mov_b32_e32 v6, s13
	v_add_co_u32_e32 v4, vcc, s12, v4
	v_addc_co_u32_e32 v5, vcc, v6, v5, vcc
	v_lshlrev_b32_e32 v2, 4, v2
	s_mov_b64 s[10:11], 0
	s_waitcnt lgkmcnt(0)
	v_mov_b32_e32 v6, s9
	s_movk_i32 s14, 0x800
	v_mov_b32_e32 v26, v3
	v_mov_b32_e32 v27, v3
	;; [unrolled: 1-line block ×4, first 2 shown]
.LBB23_29:                              ; =>This Inner Loop Header: Depth=1
	global_load_dword v7, v[4:5], off
	global_load_dwordx4 v[8:11], v[24:25], off offset:16
	global_load_dwordx4 v[12:15], v[24:25], off
	v_add_co_u32_e64 v20, s[0:1], 32, v20
	v_addc_co_u32_e64 v21, s[0:1], 0, v21, s[0:1]
	v_add_co_u32_e64 v2, s[0:1], -16, v2
	v_addc_co_u32_e64 v3, s[0:1], -1, v3, s[0:1]
	v_cmp_eq_u64_e64 s[0:1], 0, v[2:3]
	s_or_b64 s[10:11], s[0:1], s[10:11]
	s_waitcnt vmcnt(2)
	v_subrev_u32_e32 v7, s20, v7
	v_lshlrev_b32_e32 v30, 2, v7
	v_ashrrev_i32_e32 v31, 31, v30
	v_lshlrev_b64 v[30:31], 2, v[30:31]
	v_add_co_u32_e32 v42, vcc, s8, v30
	v_addc_co_u32_e32 v43, vcc, v6, v31, vcc
	global_load_dwordx4 v[30:33], v[42:43], off
	global_load_dwordx4 v[34:37], v[24:25], off offset:32
	global_load_dwordx4 v[38:41], v[24:25], off offset:48
	v_add_co_u32_e32 v24, vcc, s14, v24
	v_addc_co_u32_e32 v25, vcc, 0, v25, vcc
	v_add_co_u32_e32 v4, vcc, 0x80, v4
	v_addc_co_u32_e32 v5, vcc, 0, v5, vcc
	s_waitcnt vmcnt(2)
	v_pk_fma_f32 v[12:13], v[12:13], v[30:31], v[28:29] op_sel_hi:[1,0,1]
	v_pk_fma_f32 v[14:15], v[14:15], v[30:31], v[26:27] op_sel_hi:[1,0,1]
	v_pk_fma_f32 v[8:9], v[8:9], v[30:31], v[12:13] op_sel:[0,1,0]
	v_pk_fma_f32 v[10:11], v[10:11], v[30:31], v[14:15] op_sel:[0,1,0]
	v_mov_b32_e32 v26, v33
	s_waitcnt vmcnt(1)
	v_pk_fma_f32 v[8:9], v[34:35], v[32:33], v[8:9] op_sel_hi:[1,0,1]
	v_pk_fma_f32 v[10:11], v[36:37], v[32:33], v[10:11] op_sel_hi:[1,0,1]
	s_waitcnt vmcnt(0)
	v_pk_fma_f32 v[28:29], v[38:39], v[26:27], v[8:9] op_sel_hi:[1,0,1]
	v_pk_fma_f32 v[26:27], v[40:41], v[26:27], v[10:11] op_sel_hi:[1,0,1]
	s_andn2_b64 exec, exec, s[10:11]
	s_cbranch_execnz .LBB23_29
; %bb.30:
	s_or_b64 exec, exec, s[10:11]
.LBB23_31:
	s_or_b64 exec, exec, s[6:7]
	s_mov_b64 s[0:1], 0x5f
	v_cmp_lt_u64_e32 vcc, s[0:1], v[0:1]
	s_and_saveexec_b64 s[6:7], vcc
	s_cbranch_execz .LBB23_35
; %bb.32:
	v_lshlrev_b64 v[0:1], 2, v[20:21]
	v_mov_b32_e32 v2, s13
	v_add_co_u32_e32 v0, vcc, s12, v0
	v_addc_co_u32_e32 v1, vcc, v1, v2, vcc
	v_add_co_u32_e32 v0, vcc, 0x100, v0
	v_addc_co_u32_e32 v1, vcc, 0, v1, vcc
	s_mov_b64 s[10:11], 0
	s_waitcnt lgkmcnt(0)
	v_mov_b32_e32 v2, s9
	s_movk_i32 s9, 0x1000
.LBB23_33:                              ; =>This Inner Loop Header: Depth=1
	global_load_dword v3, v[0:1], off offset:-256
	global_load_dword v17, v[0:1], off offset:-128
	global_load_dword v19, v[0:1], off
	global_load_dword v74, v[0:1], off offset:128
	global_load_dwordx4 v[4:7], v[24:25], off offset:48
	global_load_dwordx4 v[8:11], v[24:25], off offset:32
	;; [unrolled: 1-line block ×3, first 2 shown]
	global_load_dwordx4 v[30:33], v[24:25], off
	global_load_dwordx4 v[34:37], v[24:25], off offset:2096
	global_load_dwordx4 v[38:41], v[24:25], off offset:2080
	;; [unrolled: 1-line block ×4, first 2 shown]
	v_add_co_u32_e32 v98, vcc, s9, v24
	v_addc_co_u32_e32 v99, vcc, 0, v25, vcc
	global_load_dwordx4 v[50:53], v[98:99], off offset:48
	global_load_dwordx4 v[54:57], v[98:99], off offset:32
	global_load_dwordx4 v[58:61], v[98:99], off
	global_load_dwordx4 v[62:65], v[98:99], off offset:16
	global_load_dwordx4 v[66:69], v[98:99], off offset:2064
	;; [unrolled: 1-line block ×3, first 2 shown]
	s_waitcnt vmcnt(17)
	v_subrev_u32_e32 v3, s20, v3
	s_waitcnt vmcnt(16)
	v_subrev_u32_e32 v17, s20, v17
	v_lshlrev_b32_e32 v76, 2, v17
	s_waitcnt vmcnt(14)
	v_subrev_u32_e32 v75, s20, v74
	v_lshlrev_b32_e32 v74, 2, v3
	v_lshlrev_b32_e32 v80, 2, v75
	v_ashrrev_i32_e32 v75, 31, v74
	v_lshlrev_b64 v[74:75], 2, v[74:75]
	v_subrev_u32_e32 v19, s20, v19
	v_ashrrev_i32_e32 v77, 31, v76
	v_add_co_u32_e32 v100, vcc, s8, v74
	v_lshlrev_b32_e32 v78, 2, v19
	v_lshlrev_b64 v[76:77], 2, v[76:77]
	v_addc_co_u32_e32 v101, vcc, v2, v75, vcc
	v_ashrrev_i32_e32 v79, 31, v78
	v_add_co_u32_e32 v102, vcc, s8, v76
	v_lshlrev_b64 v[78:79], 2, v[78:79]
	v_addc_co_u32_e32 v103, vcc, v2, v77, vcc
	v_ashrrev_i32_e32 v81, 31, v80
	v_add_co_u32_e32 v104, vcc, s8, v78
	v_lshlrev_b64 v[80:81], 2, v[80:81]
	v_addc_co_u32_e32 v105, vcc, v2, v79, vcc
	v_add_co_u32_e32 v106, vcc, s8, v80
	v_addc_co_u32_e32 v107, vcc, v2, v81, vcc
	global_load_dwordx4 v[74:77], v[100:101], off
	global_load_dwordx4 v[78:81], v[102:103], off
	global_load_dwordx4 v[82:85], v[104:105], off
	global_load_dwordx4 v[86:89], v[106:107], off
	global_load_dwordx4 v[90:93], v[98:99], off offset:2080
	global_load_dwordx4 v[94:97], v[98:99], off offset:2096
	v_add_co_u32_e32 v20, vcc, 0x80, v20
	v_addc_co_u32_e32 v21, vcc, 0, v21, vcc
	v_add_co_u32_e32 v0, vcc, 0x200, v0
	v_addc_co_u32_e32 v1, vcc, 0, v1, vcc
	v_cmp_ge_i64_e64 s[0:1], v[20:21], v[22:23]
	v_add_co_u32_e32 v24, vcc, 0x2000, v24
	v_addc_co_u32_e32 v25, vcc, 0, v25, vcc
	s_or_b64 s[10:11], s[0:1], s[10:11]
	s_waitcnt vmcnt(5)
	v_pk_fma_f32 v[28:29], v[30:31], v[74:75], v[28:29] op_sel_hi:[1,0,1]
	v_pk_fma_f32 v[26:27], v[32:33], v[74:75], v[26:27] op_sel_hi:[1,0,1]
	v_pk_fma_f32 v[12:13], v[12:13], v[74:75], v[28:29] op_sel:[0,1,0]
	v_pk_fma_f32 v[14:15], v[14:15], v[74:75], v[26:27] op_sel:[0,1,0]
	v_mov_b32_e32 v30, v77
	v_pk_fma_f32 v[8:9], v[8:9], v[76:77], v[12:13] op_sel_hi:[1,0,1]
	v_pk_fma_f32 v[10:11], v[10:11], v[76:77], v[14:15] op_sel_hi:[1,0,1]
	v_pk_fma_f32 v[4:5], v[4:5], v[30:31], v[8:9] op_sel_hi:[1,0,1]
	v_pk_fma_f32 v[6:7], v[6:7], v[30:31], v[10:11] op_sel_hi:[1,0,1]
	s_waitcnt vmcnt(4)
	v_pk_fma_f32 v[4:5], v[46:47], v[78:79], v[4:5] op_sel_hi:[1,0,1]
	v_pk_fma_f32 v[6:7], v[48:49], v[78:79], v[6:7] op_sel_hi:[1,0,1]
	v_pk_fma_f32 v[4:5], v[42:43], v[78:79], v[4:5] op_sel:[0,1,0]
	v_pk_fma_f32 v[6:7], v[44:45], v[78:79], v[6:7] op_sel:[0,1,0]
	v_mov_b32_e32 v32, v81
	v_pk_fma_f32 v[4:5], v[38:39], v[80:81], v[4:5] op_sel_hi:[1,0,1]
	v_pk_fma_f32 v[6:7], v[40:41], v[80:81], v[6:7] op_sel_hi:[1,0,1]
	v_pk_fma_f32 v[4:5], v[34:35], v[32:33], v[4:5] op_sel_hi:[1,0,1]
	v_pk_fma_f32 v[6:7], v[36:37], v[32:33], v[6:7] op_sel_hi:[1,0,1]
	s_waitcnt vmcnt(3)
	v_pk_fma_f32 v[4:5], v[58:59], v[82:83], v[4:5] op_sel_hi:[1,0,1]
	v_pk_fma_f32 v[6:7], v[60:61], v[82:83], v[6:7] op_sel_hi:[1,0,1]
	v_pk_fma_f32 v[4:5], v[62:63], v[82:83], v[4:5] op_sel:[0,1,0]
	v_pk_fma_f32 v[6:7], v[64:65], v[82:83], v[6:7] op_sel:[0,1,0]
	v_mov_b32_e32 v98, v85
	v_pk_fma_f32 v[4:5], v[54:55], v[84:85], v[4:5] op_sel_hi:[1,0,1]
	v_pk_fma_f32 v[6:7], v[56:57], v[84:85], v[6:7] op_sel_hi:[1,0,1]
	v_pk_fma_f32 v[4:5], v[50:51], v[98:99], v[4:5] op_sel_hi:[1,0,1]
	v_pk_fma_f32 v[6:7], v[52:53], v[98:99], v[6:7] op_sel_hi:[1,0,1]
	s_waitcnt vmcnt(2)
	v_pk_fma_f32 v[4:5], v[70:71], v[86:87], v[4:5] op_sel_hi:[1,0,1]
	v_pk_fma_f32 v[6:7], v[72:73], v[86:87], v[6:7] op_sel_hi:[1,0,1]
	v_pk_fma_f32 v[4:5], v[66:67], v[86:87], v[4:5] op_sel:[0,1,0]
	v_pk_fma_f32 v[6:7], v[68:69], v[86:87], v[6:7] op_sel:[0,1,0]
	v_mov_b32_e32 v100, v89
	s_waitcnt vmcnt(1)
	v_pk_fma_f32 v[4:5], v[90:91], v[88:89], v[4:5] op_sel_hi:[1,0,1]
	v_pk_fma_f32 v[6:7], v[92:93], v[88:89], v[6:7] op_sel_hi:[1,0,1]
	s_waitcnt vmcnt(0)
	v_pk_fma_f32 v[28:29], v[94:95], v[100:101], v[4:5] op_sel_hi:[1,0,1]
	v_pk_fma_f32 v[26:27], v[96:97], v[100:101], v[6:7] op_sel_hi:[1,0,1]
	s_andn2_b64 exec, exec, s[10:11]
	s_cbranch_execnz .LBB23_33
; %bb.34:
	s_or_b64 exec, exec, s[10:11]
.LBB23_35:
	s_or_b64 exec, exec, s[6:7]
.LBB23_36:
	s_or_b64 exec, exec, s[2:3]
.LBB23_37:
	v_mov_b32_dpp v0, v28 row_shr:1 row_mask:0xf bank_mask:0xf
	v_mov_b32_dpp v1, v29 row_shr:1 row_mask:0xf bank_mask:0xf
	;; [unrolled: 1-line block ×4, first 2 shown]
	v_pk_add_f32 v[0:1], v[28:29], v[0:1]
	v_pk_add_f32 v[4:5], v[26:27], v[4:5]
	v_cmp_eq_u32_e32 vcc, 31, v18
	v_mov_b32_dpp v2, v0 row_shr:2 row_mask:0xf bank_mask:0xf
	v_mov_b32_dpp v3, v1 row_shr:2 row_mask:0xf bank_mask:0xf
	v_mov_b32_dpp v6, v4 row_shr:2 row_mask:0xf bank_mask:0xf
	v_mov_b32_dpp v7, v5 row_shr:2 row_mask:0xf bank_mask:0xf
	v_pk_add_f32 v[0:1], v[0:1], v[2:3]
	v_pk_add_f32 v[4:5], v[4:5], v[6:7]
	s_nop 0
	v_mov_b32_dpp v2, v0 row_shr:4 row_mask:0xf bank_mask:0xe
	v_mov_b32_dpp v3, v1 row_shr:4 row_mask:0xf bank_mask:0xe
	v_mov_b32_dpp v6, v4 row_shr:4 row_mask:0xf bank_mask:0xe
	v_mov_b32_dpp v7, v5 row_shr:4 row_mask:0xf bank_mask:0xe
	v_pk_add_f32 v[0:1], v[0:1], v[2:3]
	v_pk_add_f32 v[4:5], v[4:5], v[6:7]
	s_nop 0
	;; [unrolled: 7-line block ×3, first 2 shown]
	v_mov_b32_dpp v2, v0 row_bcast:15 row_mask:0xa bank_mask:0xf
	v_mov_b32_dpp v3, v1 row_bcast:15 row_mask:0xa bank_mask:0xf
	;; [unrolled: 1-line block ×4, first 2 shown]
	s_and_b64 exec, exec, vcc
	s_cbranch_execz .LBB23_10
; %bb.38:
	s_load_dwordx2 s[0:1], s[4:5], 0x50
	v_cmp_eq_f32_e64 s[2:3], s18, 0
	v_pk_add_f32 v[2:3], v[0:1], v[2:3]
	v_pk_add_f32 v[0:1], v[4:5], v[6:7]
	s_and_b64 vcc, exec, s[2:3]
	v_lshlrev_b32_e32 v4, 2, v16
	s_cbranch_vccz .LBB23_40
; %bb.39:
	v_ashrrev_i32_e32 v5, 31, v4
	v_lshlrev_b64 v[6:7], 2, v[4:5]
	s_waitcnt lgkmcnt(0)
	v_mov_b32_e32 v5, s1
	v_add_co_u32_e32 v10, vcc, s0, v6
	v_addc_co_u32_e32 v11, vcc, v5, v7, vcc
	v_pk_mul_f32 v[6:7], s[16:17], v[2:3] op_sel_hi:[0,1]
	v_pk_mul_f32 v[8:9], s[16:17], v[0:1] op_sel_hi:[0,1]
	global_store_dwordx4 v[10:11], v[6:9], off
	s_cbranch_execnz .LBB23_10
	s_branch .LBB23_41
.LBB23_40:
.LBB23_41:
	v_ashrrev_i32_e32 v5, 31, v4
	v_lshlrev_b64 v[4:5], 2, v[4:5]
	s_waitcnt lgkmcnt(0)
	v_mov_b32_e32 v6, s1
	v_add_co_u32_e32 v8, vcc, s0, v4
	v_addc_co_u32_e32 v9, vcc, v6, v5, vcc
	global_load_dwordx4 v[4:7], v[8:9], off
	v_pk_mul_f32 v[2:3], s[16:17], v[2:3] op_sel_hi:[0,1]
	v_pk_mul_f32 v[10:11], s[16:17], v[0:1] op_sel_hi:[0,1]
	s_waitcnt vmcnt(0)
	v_pk_fma_f32 v[0:1], s[18:19], v[4:5], v[2:3] op_sel_hi:[0,1,1]
	v_pk_fma_f32 v[2:3], s[18:19], v[6:7], v[10:11] op_sel_hi:[0,1,1]
	global_store_dwordx4 v[8:9], v[0:3], off
	s_endpgm
	.section	.rodata,"a",@progbits
	.p2align	6, 0x0
	.amdhsa_kernel _ZN9rocsparseL18bsrxmvn_4x4_kernelILj128ELj32EflifffEEvT3_20rocsparse_direction_NS_24const_host_device_scalarIT1_EES1_PKS1_PKT2_SA_S7_PKT4_PKT5_S5_PT6_21rocsparse_index_base_b
		.amdhsa_group_segment_fixed_size 0
		.amdhsa_private_segment_fixed_size 0
		.amdhsa_kernarg_size 96
		.amdhsa_user_sgpr_count 6
		.amdhsa_user_sgpr_private_segment_buffer 1
		.amdhsa_user_sgpr_dispatch_ptr 0
		.amdhsa_user_sgpr_queue_ptr 0
		.amdhsa_user_sgpr_kernarg_segment_ptr 1
		.amdhsa_user_sgpr_dispatch_id 0
		.amdhsa_user_sgpr_flat_scratch_init 0
		.amdhsa_user_sgpr_kernarg_preload_length 0
		.amdhsa_user_sgpr_kernarg_preload_offset 0
		.amdhsa_user_sgpr_private_segment_size 0
		.amdhsa_uses_dynamic_stack 0
		.amdhsa_system_sgpr_private_segment_wavefront_offset 0
		.amdhsa_system_sgpr_workgroup_id_x 1
		.amdhsa_system_sgpr_workgroup_id_y 0
		.amdhsa_system_sgpr_workgroup_id_z 0
		.amdhsa_system_sgpr_workgroup_info 0
		.amdhsa_system_vgpr_workitem_id 0
		.amdhsa_next_free_vgpr 112
		.amdhsa_next_free_sgpr 24
		.amdhsa_accum_offset 112
		.amdhsa_reserve_vcc 1
		.amdhsa_reserve_flat_scratch 0
		.amdhsa_float_round_mode_32 0
		.amdhsa_float_round_mode_16_64 0
		.amdhsa_float_denorm_mode_32 3
		.amdhsa_float_denorm_mode_16_64 3
		.amdhsa_dx10_clamp 1
		.amdhsa_ieee_mode 1
		.amdhsa_fp16_overflow 0
		.amdhsa_tg_split 0
		.amdhsa_exception_fp_ieee_invalid_op 0
		.amdhsa_exception_fp_denorm_src 0
		.amdhsa_exception_fp_ieee_div_zero 0
		.amdhsa_exception_fp_ieee_overflow 0
		.amdhsa_exception_fp_ieee_underflow 0
		.amdhsa_exception_fp_ieee_inexact 0
		.amdhsa_exception_int_div_zero 0
	.end_amdhsa_kernel
	.section	.text._ZN9rocsparseL18bsrxmvn_4x4_kernelILj128ELj32EflifffEEvT3_20rocsparse_direction_NS_24const_host_device_scalarIT1_EES1_PKS1_PKT2_SA_S7_PKT4_PKT5_S5_PT6_21rocsparse_index_base_b,"axG",@progbits,_ZN9rocsparseL18bsrxmvn_4x4_kernelILj128ELj32EflifffEEvT3_20rocsparse_direction_NS_24const_host_device_scalarIT1_EES1_PKS1_PKT2_SA_S7_PKT4_PKT5_S5_PT6_21rocsparse_index_base_b,comdat
.Lfunc_end23:
	.size	_ZN9rocsparseL18bsrxmvn_4x4_kernelILj128ELj32EflifffEEvT3_20rocsparse_direction_NS_24const_host_device_scalarIT1_EES1_PKS1_PKT2_SA_S7_PKT4_PKT5_S5_PT6_21rocsparse_index_base_b, .Lfunc_end23-_ZN9rocsparseL18bsrxmvn_4x4_kernelILj128ELj32EflifffEEvT3_20rocsparse_direction_NS_24const_host_device_scalarIT1_EES1_PKS1_PKT2_SA_S7_PKT4_PKT5_S5_PT6_21rocsparse_index_base_b
                                        ; -- End function
	.section	.AMDGPU.csdata,"",@progbits
; Kernel info:
; codeLenInByte = 3596
; NumSgprs: 28
; NumVgprs: 112
; NumAgprs: 0
; TotalNumVgprs: 112
; ScratchSize: 0
; MemoryBound: 1
; FloatMode: 240
; IeeeMode: 1
; LDSByteSize: 0 bytes/workgroup (compile time only)
; SGPRBlocks: 3
; VGPRBlocks: 13
; NumSGPRsForWavesPerEU: 28
; NumVGPRsForWavesPerEU: 112
; AccumOffset: 112
; Occupancy: 4
; WaveLimiterHint : 1
; COMPUTE_PGM_RSRC2:SCRATCH_EN: 0
; COMPUTE_PGM_RSRC2:USER_SGPR: 6
; COMPUTE_PGM_RSRC2:TRAP_HANDLER: 0
; COMPUTE_PGM_RSRC2:TGID_X_EN: 1
; COMPUTE_PGM_RSRC2:TGID_Y_EN: 0
; COMPUTE_PGM_RSRC2:TGID_Z_EN: 0
; COMPUTE_PGM_RSRC2:TIDIG_COMP_CNT: 0
; COMPUTE_PGM_RSRC3_GFX90A:ACCUM_OFFSET: 27
; COMPUTE_PGM_RSRC3_GFX90A:TG_SPLIT: 0
	.section	.text._ZN9rocsparseL18bsrxmvn_4x4_kernelILj128ELj64EflifffEEvT3_20rocsparse_direction_NS_24const_host_device_scalarIT1_EES1_PKS1_PKT2_SA_S7_PKT4_PKT5_S5_PT6_21rocsparse_index_base_b,"axG",@progbits,_ZN9rocsparseL18bsrxmvn_4x4_kernelILj128ELj64EflifffEEvT3_20rocsparse_direction_NS_24const_host_device_scalarIT1_EES1_PKS1_PKT2_SA_S7_PKT4_PKT5_S5_PT6_21rocsparse_index_base_b,comdat
	.globl	_ZN9rocsparseL18bsrxmvn_4x4_kernelILj128ELj64EflifffEEvT3_20rocsparse_direction_NS_24const_host_device_scalarIT1_EES1_PKS1_PKT2_SA_S7_PKT4_PKT5_S5_PT6_21rocsparse_index_base_b ; -- Begin function _ZN9rocsparseL18bsrxmvn_4x4_kernelILj128ELj64EflifffEEvT3_20rocsparse_direction_NS_24const_host_device_scalarIT1_EES1_PKS1_PKT2_SA_S7_PKT4_PKT5_S5_PT6_21rocsparse_index_base_b
	.p2align	8
	.type	_ZN9rocsparseL18bsrxmvn_4x4_kernelILj128ELj64EflifffEEvT3_20rocsparse_direction_NS_24const_host_device_scalarIT1_EES1_PKS1_PKT2_SA_S7_PKT4_PKT5_S5_PT6_21rocsparse_index_base_b,@function
_ZN9rocsparseL18bsrxmvn_4x4_kernelILj128ELj64EflifffEEvT3_20rocsparse_direction_NS_24const_host_device_scalarIT1_EES1_PKS1_PKT2_SA_S7_PKT4_PKT5_S5_PT6_21rocsparse_index_base_b: ; @_ZN9rocsparseL18bsrxmvn_4x4_kernelILj128ELj64EflifffEEvT3_20rocsparse_direction_NS_24const_host_device_scalarIT1_EES1_PKS1_PKT2_SA_S7_PKT4_PKT5_S5_PT6_21rocsparse_index_base_b
; %bb.0:
	s_load_dwordx2 s[20:21], s[4:5], 0x58
	s_load_dwordx2 s[16:17], s[4:5], 0x8
	;; [unrolled: 1-line block ×3, first 2 shown]
	s_waitcnt lgkmcnt(0)
	s_bitcmp1_b32 s21, 0
	s_cselect_b64 s[2:3], -1, 0
	s_xor_b64 s[0:1], s[2:3], -1
	s_and_b64 vcc, exec, s[2:3]
	s_cbranch_vccnz .LBB24_2
; %bb.1:
	s_load_dword s16, s[16:17], 0x0
.LBB24_2:
	s_andn2_b64 vcc, exec, s[0:1]
	s_cbranch_vccnz .LBB24_4
; %bb.3:
	s_load_dword s18, s[18:19], 0x0
.LBB24_4:
	s_waitcnt lgkmcnt(0)
	v_cmp_neq_f32_e64 s[0:1], s16, 0
	v_cmp_neq_f32_e64 s[2:3], s18, 1.0
	s_or_b64 s[0:1], s[0:1], s[2:3]
	s_andn2_b64 vcc, exec, s[0:1]
	s_cbranch_vccnz .LBB24_10
; %bb.5:
	s_load_dwordx2 s[8:9], s[4:5], 0x18
	s_load_dwordx2 s[0:1], s[4:5], 0x0
	v_lshrrev_b32_e32 v1, 6, v0
	v_lshl_or_b32 v8, s6, 1, v1
	s_mov_b64 s[2:3], 0
	s_waitcnt lgkmcnt(0)
	s_cmp_lg_u64 s[8:9], 0
	s_cbranch_scc0 .LBB24_11
; %bb.6:
	s_load_dword s6, s[4:5], 0x10
                                        ; implicit-def: $vgpr1
	s_waitcnt lgkmcnt(0)
	v_cmp_gt_i32_e32 vcc, s6, v8
	s_and_saveexec_b64 s[6:7], vcc
	s_xor_b64 s[6:7], exec, s[6:7]
	s_cbranch_execz .LBB24_8
; %bb.7:
	v_ashrrev_i32_e32 v9, 31, v8
	v_lshlrev_b64 v[2:3], 2, v[8:9]
	v_mov_b32_e32 v1, s9
	v_add_co_u32_e32 v2, vcc, s8, v2
	v_addc_co_u32_e32 v3, vcc, v1, v3, vcc
	global_load_dword v1, v[2:3], off
	s_mov_b64 s[2:3], exec
	s_waitcnt vmcnt(0)
	v_subrev_u32_e32 v1, s20, v1
.LBB24_8:
	s_or_b64 exec, exec, s[6:7]
	s_branch .LBB24_12
.LBB24_9:
	v_cmp_gt_i32_e32 vcc, s0, v8
	s_andn2_b64 s[2:3], s[2:3], exec
	s_and_b64 s[6:7], vcc, exec
	s_or_b64 s[2:3], s[2:3], s[6:7]
	s_and_saveexec_b64 s[6:7], s[2:3]
	s_cbranch_execnz .LBB24_13
.LBB24_10:
	s_endpgm
.LBB24_11:
                                        ; implicit-def: $vgpr1
	s_cbranch_execnz .LBB24_9
.LBB24_12:
	v_mov_b32_e32 v8, v1
	s_and_saveexec_b64 s[6:7], s[2:3]
	s_cbranch_execz .LBB24_10
.LBB24_13:
	s_load_dwordx8 s[8:15], s[4:5], 0x20
	v_ashrrev_i32_e32 v9, 31, v8
	v_lshlrev_b64 v[2:3], 3, v[8:9]
	v_and_b32_e32 v10, 63, v0
	s_mov_b32 s17, 0
	s_waitcnt lgkmcnt(0)
	v_mov_b32_e32 v1, s9
	v_add_co_u32_e32 v4, vcc, s8, v2
	v_addc_co_u32_e32 v5, vcc, v1, v3, vcc
	v_add_co_u32_e32 v1, vcc, 8, v4
	global_load_dwordx2 v[22:23], v[4:5], off
	v_addc_co_u32_e32 v4, vcc, 0, v5, vcc
	v_mov_b32_e32 v5, s11
	v_add_co_u32_e32 v2, vcc, s10, v2
	s_cmp_eq_u64 s[10:11], 0
	v_addc_co_u32_e32 v3, vcc, v5, v3, vcc
	s_cselect_b64 vcc, -1, 0
	v_cndmask_b32_e32 v3, v3, v4, vcc
	v_cndmask_b32_e32 v2, v2, v1, vcc
	global_load_dwordx2 v[2:3], v[2:3], off
	s_load_dwordx2 s[8:9], s[4:5], 0x40
	v_mov_b32_e32 v4, s15
	v_mov_b32_e32 v19, 0
	s_cmp_eq_u32 s1, 1
	s_waitcnt vmcnt(1)
	v_subrev_co_u32_e32 v0, vcc, s20, v22
	v_subbrev_co_u32_e32 v1, vcc, 0, v23, vcc
	v_add_co_u32_e32 v12, vcc, v0, v10
	v_addc_co_u32_e32 v13, vcc, 0, v1, vcc
	v_lshlrev_b64 v[0:1], 6, v[12:13]
	s_waitcnt vmcnt(0)
	v_subrev_co_u32_e32 v14, vcc, s20, v2
	v_subbrev_co_u32_e32 v15, vcc, 0, v3, vcc
	v_add_co_u32_e32 v16, vcc, s14, v0
	v_addc_co_u32_e32 v17, vcc, v4, v1, vcc
	v_cmp_lt_i64_e64 s[0:1], v[12:13], v[14:15]
	s_cbranch_scc1 .LBB24_25
; %bb.14:
	v_mov_b32_e32 v18, 0
	v_mov_b32_e32 v21, 0
	;; [unrolled: 1-line block ×3, first 2 shown]
	s_and_saveexec_b64 s[10:11], s[0:1]
	s_cbranch_execz .LBB24_24
; %bb.15:
	v_or_b32_e32 v0, 64, v10
	v_mov_b32_e32 v1, s17
	v_subrev_co_u32_e32 v0, vcc, s20, v0
	v_subb_co_u32_e32 v1, vcc, 0, v1, vcc
	v_add_co_u32_e32 v0, vcc, v0, v22
	v_addc_co_u32_e32 v1, vcc, v1, v23, vcc
	v_cmp_gt_i64_e32 vcc, v[0:1], v[14:15]
	v_cndmask_b32_e32 v1, v15, v1, vcc
	v_cndmask_b32_e32 v0, v14, v0, vcc
	v_mov_b32_e32 v4, s17
	v_sub_co_u32_e32 v5, vcc, s20, v10
	v_not_b32_e32 v3, v22
	v_subbrev_co_u32_e32 v4, vcc, 0, v4, vcc
	v_not_b32_e32 v2, v23
	v_add_co_u32_e32 v3, vcc, v5, v3
	v_addc_co_u32_e32 v2, vcc, v4, v2, vcc
	v_add_co_u32_e32 v0, vcc, v3, v0
	v_addc_co_u32_e32 v1, vcc, v2, v1, vcc
	v_lshrrev_b32_e32 v2, 6, v0
	v_add_u32_e32 v2, 1, v2
	v_and_b32_e32 v2, 3, v2
	s_mov_b32 s2, s17
	s_mov_b32 s3, s17
	v_cmp_ne_u32_e32 vcc, 0, v2
	v_pk_mov_b32 v[20:21], s[2:3], s[2:3] op_sel:[0,1]
	v_pk_mov_b32 v[18:19], s[2:3], s[2:3] op_sel:[0,1]
	;; [unrolled: 1-line block ×4, first 2 shown]
	s_and_saveexec_b64 s[6:7], vcc
	s_cbranch_execz .LBB24_19
; %bb.16:
	v_lshlrev_b64 v[4:5], 2, v[12:13]
	v_mov_b32_e32 v3, 0
	v_mov_b32_e32 v6, s13
	v_add_co_u32_e32 v4, vcc, s12, v4
	v_addc_co_u32_e32 v5, vcc, v6, v5, vcc
	v_lshlrev_b32_e32 v2, 4, v2
	s_mov_b64 s[14:15], 0
	s_waitcnt lgkmcnt(0)
	v_mov_b32_e32 v6, s9
	s_movk_i32 s19, 0x1000
	v_pk_mov_b32 v[26:27], v[16:17], v[16:17] op_sel:[0,1]
	v_pk_mov_b32 v[24:25], v[12:13], v[12:13] op_sel:[0,1]
	v_mov_b32_e32 v18, v3
	v_mov_b32_e32 v19, v3
	v_mov_b32_e32 v20, v3
	v_mov_b32_e32 v21, v3
.LBB24_17:                              ; =>This Inner Loop Header: Depth=1
	global_load_dword v7, v[4:5], off
	global_load_dwordx4 v[28:31], v[26:27], off
	global_load_dwordx4 v[32:35], v[26:27], off offset:16
	global_load_dwordx4 v[36:39], v[26:27], off offset:48
	global_load_dwordx4 v[40:43], v[26:27], off offset:32
	v_add_co_u32_e64 v24, s[2:3], 64, v24
	v_addc_co_u32_e64 v25, s[2:3], 0, v25, s[2:3]
	v_add_co_u32_e64 v2, s[2:3], -16, v2
	v_addc_co_u32_e64 v3, s[2:3], -1, v3, s[2:3]
	v_cmp_eq_u64_e64 s[2:3], 0, v[2:3]
	s_or_b64 s[14:15], s[2:3], s[14:15]
	s_waitcnt vmcnt(4)
	v_subrev_u32_e32 v7, s20, v7
	v_lshlrev_b32_e32 v44, 2, v7
	v_ashrrev_i32_e32 v45, 31, v44
	v_lshlrev_b64 v[44:45], 2, v[44:45]
	v_add_co_u32_e32 v44, vcc, s8, v44
	v_addc_co_u32_e32 v45, vcc, v6, v45, vcc
	global_load_dwordx4 v[44:47], v[44:45], off
	s_waitcnt vmcnt(4)
	v_mov_b32_e32 v48, v28
	s_waitcnt vmcnt(3)
	v_mov_b32_e32 v49, v32
	v_mov_b32_e32 v32, v29
	;; [unrolled: 1-line block ×5, first 2 shown]
	s_waitcnt vmcnt(1)
	v_mov_b32_e32 v30, v40
	v_mov_b32_e32 v31, v36
	v_add_co_u32_e32 v26, vcc, s19, v26
	v_mov_b32_e32 v36, v41
	v_addc_co_u32_e32 v27, vcc, 0, v27, vcc
	v_mov_b32_e32 v40, v42
	v_mov_b32_e32 v41, v38
	v_add_co_u32_e32 v4, vcc, 0x100, v4
	v_mov_b32_e32 v38, v43
	v_addc_co_u32_e32 v5, vcc, 0, v5, vcc
	s_waitcnt vmcnt(0)
	v_pk_fma_f32 v[20:21], v[48:49], v[44:45], v[20:21] op_sel_hi:[1,0,1]
	v_pk_fma_f32 v[18:19], v[30:31], v[44:45], v[18:19] op_sel_hi:[1,0,1]
	v_pk_fma_f32 v[20:21], v[32:33], v[44:45], v[20:21] op_sel:[0,1,0]
	v_pk_fma_f32 v[18:19], v[36:37], v[44:45], v[18:19] op_sel:[0,1,0]
	v_mov_b32_e32 v42, v47
	v_pk_fma_f32 v[20:21], v[28:29], v[46:47], v[20:21] op_sel_hi:[1,0,1]
	v_pk_fma_f32 v[18:19], v[40:41], v[46:47], v[18:19] op_sel_hi:[1,0,1]
	;; [unrolled: 1-line block ×4, first 2 shown]
	s_andn2_b64 exec, exec, s[14:15]
	s_cbranch_execnz .LBB24_17
; %bb.18:
	s_or_b64 exec, exec, s[14:15]
.LBB24_19:
	s_or_b64 exec, exec, s[6:7]
	s_mov_b64 s[2:3], 0xbf
	v_cmp_lt_u64_e32 vcc, s[2:3], v[0:1]
	s_and_saveexec_b64 s[14:15], vcc
	s_cbranch_execz .LBB24_23
; %bb.20:
	v_lshlrev_b64 v[0:1], 2, v[24:25]
	v_mov_b32_e32 v2, s13
	v_add_co_u32_e32 v0, vcc, s12, v0
	v_addc_co_u32_e32 v1, vcc, v1, v2, vcc
	v_add_co_u32_e32 v28, vcc, 0x200, v0
	v_addc_co_u32_e32 v29, vcc, 0, v1, vcc
	s_mov_b64 s[22:23], 0
	s_waitcnt lgkmcnt(0)
	v_mov_b32_e32 v9, s9
	s_movk_i32 s19, 0x1000
	s_movk_i32 s21, 0x2000
	;; [unrolled: 1-line block ×3, first 2 shown]
.LBB24_21:                              ; =>This Inner Loop Header: Depth=1
	global_load_dword v11, v[28:29], off offset:-512
	global_load_dwordx4 v[30:33], v[26:27], off
	global_load_dword v92, v[28:29], off offset:-256
	global_load_dword v93, v[28:29], off
	global_load_dword v94, v[28:29], off offset:256
	global_load_dwordx4 v[0:3], v[26:27], off offset:16
	global_load_dwordx4 v[34:37], v[26:27], off offset:32
	;; [unrolled: 1-line block ×3, first 2 shown]
	v_add_co_u32_e32 v24, vcc, 0x100, v24
	s_mov_b64 s[2:3], vcc
	v_add_co_u32_e32 v86, vcc, s19, v26
	v_addc_co_u32_e32 v87, vcc, 0, v27, vcc
	v_add_co_u32_e32 v88, vcc, s21, v26
	v_addc_co_u32_e32 v89, vcc, 0, v27, vcc
	;; [unrolled: 2-line block ×3, first 2 shown]
	v_add_co_u32_e32 v28, vcc, 0x400, v28
	s_mov_b64 s[6:7], vcc
	global_load_dwordx4 v[38:41], v[86:87], off offset:48
	global_load_dwordx4 v[42:45], v[86:87], off offset:32
	;; [unrolled: 1-line block ×3, first 2 shown]
	global_load_dwordx4 v[50:53], v[88:89], off offset:-4096
	global_load_dwordx4 v[54:57], v[88:89], off
	global_load_dwordx4 v[58:61], v[88:89], off offset:48
	global_load_dwordx4 v[62:65], v[88:89], off offset:32
	;; [unrolled: 1-line block ×5, first 2 shown]
	global_load_dwordx4 v[78:81], v[90:91], off
	global_load_dwordx4 v[82:85], v[90:91], off offset:16
	v_addc_co_u32_e64 v25, vcc, 0, v25, s[2:3]
	v_add_co_u32_e32 v26, vcc, 0x4000, v26
	v_addc_co_u32_e32 v27, vcc, 0, v27, vcc
	v_addc_co_u32_e64 v29, s[2:3], 0, v29, s[6:7]
	v_cmp_ge_i64_e64 s[2:3], v[24:25], v[14:15]
	s_or_b64 s[22:23], s[2:3], s[22:23]
	s_waitcnt vmcnt(19)
	v_subrev_u32_e32 v11, s20, v11
	v_lshlrev_b32_e32 v86, 2, v11
	s_waitcnt vmcnt(18)
	v_mov_b32_e32 v102, v30
	s_waitcnt vmcnt(16)
	v_subrev_u32_e32 v87, s20, v93
	v_subrev_u32_e32 v30, s20, v92
	v_lshlrev_b32_e32 v90, 2, v87
	v_ashrrev_i32_e32 v87, 31, v86
	s_waitcnt vmcnt(15)
	v_subrev_u32_e32 v89, s20, v94
	v_lshlrev_b32_e32 v88, 2, v30
	v_lshlrev_b64 v[86:87], 2, v[86:87]
	v_lshlrev_b32_e32 v92, 2, v89
	v_ashrrev_i32_e32 v89, 31, v88
	v_add_co_u32_e32 v104, vcc, s8, v86
	v_lshlrev_b64 v[88:89], 2, v[88:89]
	v_addc_co_u32_e32 v105, vcc, v9, v87, vcc
	v_ashrrev_i32_e32 v91, 31, v90
	v_add_co_u32_e32 v106, vcc, s8, v88
	v_lshlrev_b64 v[90:91], 2, v[90:91]
	v_addc_co_u32_e32 v107, vcc, v9, v89, vcc
	;; [unrolled: 4-line block ×3, first 2 shown]
	v_add_co_u32_e32 v110, vcc, s8, v92
	v_addc_co_u32_e32 v111, vcc, v9, v93, vcc
	global_load_dwordx4 v[86:89], v[104:105], off
	global_load_dwordx4 v[90:93], v[106:107], off
	;; [unrolled: 1-line block ×4, first 2 shown]
	s_waitcnt vmcnt(18)
	v_mov_b32_e32 v103, v0
	s_waitcnt vmcnt(17)
	v_mov_b32_e32 v104, v34
	;; [unrolled: 2-line block ×3, first 2 shown]
	v_mov_b32_e32 v0, v31
	v_mov_b32_e32 v4, v35
	;; [unrolled: 1-line block ×8, first 2 shown]
	s_waitcnt vmcnt(12)
	v_mov_b32_e32 v36, v52
	s_waitcnt vmcnt(11)
	v_mov_b32_e32 v52, v56
	v_mov_b32_e32 v56, v42
	;; [unrolled: 1-line block ×3, first 2 shown]
	s_waitcnt vmcnt(9)
	v_mov_b32_e32 v44, v62
	v_mov_b32_e32 v62, v64
	s_waitcnt vmcnt(6)
	v_mov_b32_e32 v64, v74
	v_mov_b32_e32 v74, v76
	;; [unrolled: 1-line block ×13, first 2 shown]
	s_waitcnt vmcnt(5)
	v_mov_b32_e32 v54, v78
	v_mov_b32_e32 v78, v80
	;; [unrolled: 1-line block ×9, first 2 shown]
	s_waitcnt vmcnt(4)
	v_mov_b32_e32 v55, v82
	v_mov_b32_e32 v65, v70
	;; [unrolled: 1-line block ×8, first 2 shown]
	s_waitcnt vmcnt(3)
	v_pk_fma_f32 v[20:21], v[102:103], v[86:87], v[20:21] op_sel_hi:[1,0,1]
	v_pk_fma_f32 v[18:19], v[104:105], v[86:87], v[18:19] op_sel_hi:[1,0,1]
	v_pk_fma_f32 v[0:1], v[0:1], v[86:87], v[20:21] op_sel:[0,1,0]
	v_pk_fma_f32 v[4:5], v[4:5], v[86:87], v[18:19] op_sel:[0,1,0]
	v_mov_b32_e32 v76, v89
	v_pk_fma_f32 v[0:1], v[30:31], v[88:89], v[0:1] op_sel_hi:[1,0,1]
	v_pk_fma_f32 v[4:5], v[34:35], v[88:89], v[4:5] op_sel_hi:[1,0,1]
	v_pk_fma_f32 v[0:1], v[2:3], v[76:77], v[0:1] op_sel_hi:[1,0,1]
	v_pk_fma_f32 v[2:3], v[6:7], v[76:77], v[4:5] op_sel_hi:[1,0,1]
	s_waitcnt vmcnt(2)
	v_pk_fma_f32 v[0:1], v[32:33], v[90:91], v[0:1] op_sel_hi:[1,0,1]
	v_pk_fma_f32 v[2:3], v[56:57], v[90:91], v[2:3] op_sel_hi:[1,0,1]
	v_pk_fma_f32 v[0:1], v[46:47], v[90:91], v[0:1] op_sel:[0,1,0]
	v_pk_fma_f32 v[2:3], v[38:39], v[90:91], v[2:3] op_sel:[0,1,0]
	v_mov_b32_e32 v80, v93
	v_pk_fma_f32 v[0:1], v[36:37], v[92:93], v[0:1] op_sel_hi:[1,0,1]
	v_pk_fma_f32 v[2:3], v[42:43], v[92:93], v[2:3] op_sel_hi:[1,0,1]
	v_pk_fma_f32 v[0:1], v[48:49], v[80:81], v[0:1] op_sel_hi:[1,0,1]
	v_pk_fma_f32 v[2:3], v[40:41], v[80:81], v[2:3] op_sel_hi:[1,0,1]
	;; [unrolled: 10-line block ×4, first 2 shown]
	s_andn2_b64 exec, exec, s[22:23]
	s_cbranch_execnz .LBB24_21
; %bb.22:
	s_or_b64 exec, exec, s[22:23]
.LBB24_23:
	s_or_b64 exec, exec, s[14:15]
.LBB24_24:
	s_or_b64 exec, exec, s[10:11]
	s_cbranch_execz .LBB24_26
	s_branch .LBB24_37
.LBB24_25:
                                        ; implicit-def: $vgpr19
                                        ; implicit-def: $vgpr21
.LBB24_26:
	s_mov_b32 s6, 0
	v_mov_b32_e32 v19, 0
	v_mov_b32_e32 v18, 0
	;; [unrolled: 1-line block ×4, first 2 shown]
	s_and_saveexec_b64 s[2:3], s[0:1]
	s_cbranch_execz .LBB24_36
; %bb.27:
	v_or_b32_e32 v0, 64, v10
	v_mov_b32_e32 v1, s17
	v_subrev_co_u32_e32 v0, vcc, s20, v0
	v_subb_co_u32_e32 v1, vcc, 0, v1, vcc
	v_add_co_u32_e32 v0, vcc, v0, v22
	v_addc_co_u32_e32 v1, vcc, v1, v23, vcc
	v_cmp_gt_i64_e32 vcc, v[0:1], v[14:15]
	v_cndmask_b32_e32 v1, v15, v1, vcc
	v_cndmask_b32_e32 v0, v14, v0, vcc
	v_mov_b32_e32 v4, s17
	v_sub_co_u32_e32 v5, vcc, s20, v10
	v_not_b32_e32 v3, v22
	v_subbrev_co_u32_e32 v4, vcc, 0, v4, vcc
	v_not_b32_e32 v2, v23
	v_add_co_u32_e32 v3, vcc, v5, v3
	v_addc_co_u32_e32 v2, vcc, v4, v2, vcc
	v_add_co_u32_e32 v0, vcc, v3, v0
	v_addc_co_u32_e32 v1, vcc, v2, v1, vcc
	v_lshrrev_b32_e32 v2, 6, v0
	v_add_u32_e32 v2, 1, v2
	v_and_b32_e32 v2, 3, v2
	s_mov_b32 s7, s6
	v_cmp_ne_u32_e32 vcc, 0, v2
	v_pk_mov_b32 v[20:21], s[6:7], s[6:7] op_sel:[0,1]
	v_pk_mov_b32 v[18:19], s[6:7], s[6:7] op_sel:[0,1]
	s_and_saveexec_b64 s[6:7], vcc
	s_cbranch_execz .LBB24_31
; %bb.28:
	v_lshlrev_b64 v[4:5], 2, v[12:13]
	v_mov_b32_e32 v3, 0
	v_mov_b32_e32 v6, s13
	v_add_co_u32_e32 v4, vcc, s12, v4
	v_addc_co_u32_e32 v5, vcc, v6, v5, vcc
	v_lshlrev_b32_e32 v2, 4, v2
	s_mov_b64 s[10:11], 0
	s_waitcnt lgkmcnt(0)
	v_mov_b32_e32 v6, s9
	s_movk_i32 s14, 0x1000
	v_mov_b32_e32 v18, v3
	v_mov_b32_e32 v19, v3
	;; [unrolled: 1-line block ×4, first 2 shown]
.LBB24_29:                              ; =>This Inner Loop Header: Depth=1
	global_load_dword v7, v[4:5], off
	global_load_dwordx4 v[22:25], v[16:17], off offset:16
	global_load_dwordx4 v[26:29], v[16:17], off
	v_add_co_u32_e64 v12, s[0:1], 64, v12
	v_addc_co_u32_e64 v13, s[0:1], 0, v13, s[0:1]
	v_add_co_u32_e64 v2, s[0:1], -16, v2
	v_addc_co_u32_e64 v3, s[0:1], -1, v3, s[0:1]
	v_cmp_eq_u64_e64 s[0:1], 0, v[2:3]
	s_or_b64 s[10:11], s[0:1], s[10:11]
	s_waitcnt vmcnt(2)
	v_subrev_u32_e32 v7, s20, v7
	v_lshlrev_b32_e32 v30, 2, v7
	v_ashrrev_i32_e32 v31, 31, v30
	v_lshlrev_b64 v[30:31], 2, v[30:31]
	v_add_co_u32_e32 v42, vcc, s8, v30
	v_addc_co_u32_e32 v43, vcc, v6, v31, vcc
	global_load_dwordx4 v[30:33], v[42:43], off
	global_load_dwordx4 v[34:37], v[16:17], off offset:32
	global_load_dwordx4 v[38:41], v[16:17], off offset:48
	v_add_co_u32_e32 v16, vcc, s14, v16
	v_addc_co_u32_e32 v17, vcc, 0, v17, vcc
	v_add_co_u32_e32 v4, vcc, 0x100, v4
	v_addc_co_u32_e32 v5, vcc, 0, v5, vcc
	s_waitcnt vmcnt(2)
	v_pk_fma_f32 v[20:21], v[26:27], v[30:31], v[20:21] op_sel_hi:[1,0,1]
	v_pk_fma_f32 v[18:19], v[28:29], v[30:31], v[18:19] op_sel_hi:[1,0,1]
	v_pk_fma_f32 v[20:21], v[22:23], v[30:31], v[20:21] op_sel:[0,1,0]
	v_pk_fma_f32 v[18:19], v[24:25], v[30:31], v[18:19] op_sel:[0,1,0]
	v_mov_b32_e32 v26, v33
	s_waitcnt vmcnt(1)
	v_pk_fma_f32 v[20:21], v[34:35], v[32:33], v[20:21] op_sel_hi:[1,0,1]
	v_pk_fma_f32 v[18:19], v[36:37], v[32:33], v[18:19] op_sel_hi:[1,0,1]
	s_waitcnt vmcnt(0)
	v_pk_fma_f32 v[20:21], v[38:39], v[26:27], v[20:21] op_sel_hi:[1,0,1]
	v_pk_fma_f32 v[18:19], v[40:41], v[26:27], v[18:19] op_sel_hi:[1,0,1]
	s_andn2_b64 exec, exec, s[10:11]
	s_cbranch_execnz .LBB24_29
; %bb.30:
	s_or_b64 exec, exec, s[10:11]
.LBB24_31:
	s_or_b64 exec, exec, s[6:7]
	s_mov_b64 s[0:1], 0xbf
	v_cmp_lt_u64_e32 vcc, s[0:1], v[0:1]
	s_and_saveexec_b64 s[6:7], vcc
	s_cbranch_execz .LBB24_35
; %bb.32:
	v_lshlrev_b64 v[0:1], 2, v[12:13]
	v_mov_b32_e32 v2, s13
	v_add_co_u32_e32 v0, vcc, s12, v0
	v_addc_co_u32_e32 v1, vcc, v1, v2, vcc
	v_add_co_u32_e32 v0, vcc, 0x200, v0
	v_addc_co_u32_e32 v1, vcc, 0, v1, vcc
	s_mov_b64 s[10:11], 0
	s_waitcnt lgkmcnt(0)
	v_mov_b32_e32 v2, s9
	s_movk_i32 s9, 0x1000
	s_movk_i32 s12, 0x2000
	;; [unrolled: 1-line block ×3, first 2 shown]
.LBB24_33:                              ; =>This Inner Loop Header: Depth=1
	global_load_dword v3, v[0:1], off offset:-512
	global_load_dword v9, v[0:1], off offset:-256
	global_load_dword v11, v[0:1], off
	global_load_dword v78, v[0:1], off offset:256
	global_load_dwordx4 v[4:7], v[16:17], off offset:48
	global_load_dwordx4 v[22:25], v[16:17], off offset:32
	;; [unrolled: 1-line block ×3, first 2 shown]
	global_load_dwordx4 v[30:33], v[16:17], off
	v_add_co_u32_e32 v74, vcc, s9, v16
	v_addc_co_u32_e32 v75, vcc, 0, v17, vcc
	v_add_co_u32_e32 v76, vcc, s12, v16
	v_addc_co_u32_e32 v77, vcc, 0, v17, vcc
	v_add_co_u32_e32 v98, vcc, s13, v16
	v_addc_co_u32_e32 v99, vcc, 0, v17, vcc
	global_load_dwordx4 v[34:37], v[76:77], off offset:-4096
	global_load_dwordx4 v[38:41], v[74:75], off offset:32
	global_load_dwordx4 v[42:45], v[74:75], off offset:16
	;; [unrolled: 1-line block ×4, first 2 shown]
	global_load_dwordx4 v[54:57], v[76:77], off
	global_load_dwordx4 v[58:61], v[76:77], off offset:16
	global_load_dwordx4 v[62:65], v[74:75], off offset:48
	global_load_dwordx4 v[66:69], v[98:99], off
	global_load_dwordx4 v[70:73], v[98:99], off offset:16
	s_waitcnt vmcnt(17)
	v_subrev_u32_e32 v3, s20, v3
	v_lshlrev_b32_e32 v74, 2, v3
	s_waitcnt vmcnt(16)
	v_subrev_u32_e32 v9, s20, v9
	s_waitcnt vmcnt(14)
	v_subrev_u32_e32 v75, s20, v78
	v_lshlrev_b32_e32 v80, 2, v75
	v_ashrrev_i32_e32 v75, 31, v74
	v_lshlrev_b32_e32 v76, 2, v9
	v_lshlrev_b64 v[74:75], 2, v[74:75]
	v_subrev_u32_e32 v11, s20, v11
	v_ashrrev_i32_e32 v77, 31, v76
	v_add_co_u32_e32 v100, vcc, s8, v74
	v_lshlrev_b32_e32 v78, 2, v11
	v_lshlrev_b64 v[76:77], 2, v[76:77]
	v_addc_co_u32_e32 v101, vcc, v2, v75, vcc
	v_ashrrev_i32_e32 v79, 31, v78
	v_add_co_u32_e32 v102, vcc, s8, v76
	v_lshlrev_b64 v[78:79], 2, v[78:79]
	v_addc_co_u32_e32 v103, vcc, v2, v77, vcc
	v_ashrrev_i32_e32 v81, 31, v80
	v_add_co_u32_e32 v104, vcc, s8, v78
	v_lshlrev_b64 v[80:81], 2, v[80:81]
	v_addc_co_u32_e32 v105, vcc, v2, v79, vcc
	v_add_co_u32_e32 v106, vcc, s8, v80
	v_addc_co_u32_e32 v107, vcc, v2, v81, vcc
	global_load_dwordx4 v[74:77], v[100:101], off
	global_load_dwordx4 v[78:81], v[102:103], off
	;; [unrolled: 1-line block ×4, first 2 shown]
	global_load_dwordx4 v[90:93], v[98:99], off offset:32
	global_load_dwordx4 v[94:97], v[98:99], off offset:48
	v_add_co_u32_e32 v12, vcc, 0x100, v12
	v_addc_co_u32_e32 v13, vcc, 0, v13, vcc
	v_add_co_u32_e32 v0, vcc, 0x400, v0
	v_addc_co_u32_e32 v1, vcc, 0, v1, vcc
	v_cmp_ge_i64_e64 s[0:1], v[12:13], v[14:15]
	v_add_co_u32_e32 v16, vcc, 0x4000, v16
	v_addc_co_u32_e32 v17, vcc, 0, v17, vcc
	s_or_b64 s[10:11], s[0:1], s[10:11]
	s_waitcnt vmcnt(5)
	v_pk_fma_f32 v[20:21], v[30:31], v[74:75], v[20:21] op_sel_hi:[1,0,1]
	v_pk_fma_f32 v[18:19], v[32:33], v[74:75], v[18:19] op_sel_hi:[1,0,1]
	v_pk_fma_f32 v[20:21], v[26:27], v[74:75], v[20:21] op_sel:[0,1,0]
	v_pk_fma_f32 v[18:19], v[28:29], v[74:75], v[18:19] op_sel:[0,1,0]
	v_mov_b32_e32 v30, v77
	v_pk_fma_f32 v[20:21], v[22:23], v[76:77], v[20:21] op_sel_hi:[1,0,1]
	v_pk_fma_f32 v[18:19], v[24:25], v[76:77], v[18:19] op_sel_hi:[1,0,1]
	v_pk_fma_f32 v[4:5], v[4:5], v[30:31], v[20:21] op_sel_hi:[1,0,1]
	v_pk_fma_f32 v[6:7], v[6:7], v[30:31], v[18:19] op_sel_hi:[1,0,1]
	s_waitcnt vmcnt(4)
	v_pk_fma_f32 v[4:5], v[34:35], v[78:79], v[4:5] op_sel_hi:[1,0,1]
	v_pk_fma_f32 v[6:7], v[36:37], v[78:79], v[6:7] op_sel_hi:[1,0,1]
	v_pk_fma_f32 v[4:5], v[42:43], v[78:79], v[4:5] op_sel:[0,1,0]
	v_pk_fma_f32 v[6:7], v[44:45], v[78:79], v[6:7] op_sel:[0,1,0]
	v_mov_b32_e32 v32, v81
	v_pk_fma_f32 v[4:5], v[38:39], v[80:81], v[4:5] op_sel_hi:[1,0,1]
	v_pk_fma_f32 v[6:7], v[40:41], v[80:81], v[6:7] op_sel_hi:[1,0,1]
	v_pk_fma_f32 v[4:5], v[62:63], v[32:33], v[4:5] op_sel_hi:[1,0,1]
	v_pk_fma_f32 v[6:7], v[64:65], v[32:33], v[6:7] op_sel_hi:[1,0,1]
	;; [unrolled: 10-line block ×3, first 2 shown]
	s_waitcnt vmcnt(2)
	v_pk_fma_f32 v[4:5], v[66:67], v[86:87], v[4:5] op_sel_hi:[1,0,1]
	v_pk_fma_f32 v[6:7], v[68:69], v[86:87], v[6:7] op_sel_hi:[1,0,1]
	v_pk_fma_f32 v[4:5], v[70:71], v[86:87], v[4:5] op_sel:[0,1,0]
	v_pk_fma_f32 v[6:7], v[72:73], v[86:87], v[6:7] op_sel:[0,1,0]
	v_mov_b32_e32 v100, v89
	s_waitcnt vmcnt(1)
	v_pk_fma_f32 v[4:5], v[90:91], v[88:89], v[4:5] op_sel_hi:[1,0,1]
	v_pk_fma_f32 v[6:7], v[92:93], v[88:89], v[6:7] op_sel_hi:[1,0,1]
	s_waitcnt vmcnt(0)
	v_pk_fma_f32 v[20:21], v[94:95], v[100:101], v[4:5] op_sel_hi:[1,0,1]
	v_pk_fma_f32 v[18:19], v[96:97], v[100:101], v[6:7] op_sel_hi:[1,0,1]
	s_andn2_b64 exec, exec, s[10:11]
	s_cbranch_execnz .LBB24_33
; %bb.34:
	s_or_b64 exec, exec, s[10:11]
.LBB24_35:
	s_or_b64 exec, exec, s[6:7]
.LBB24_36:
	s_or_b64 exec, exec, s[2:3]
.LBB24_37:
	v_mov_b32_dpp v0, v20 row_shr:1 row_mask:0xf bank_mask:0xf
	v_mov_b32_dpp v1, v21 row_shr:1 row_mask:0xf bank_mask:0xf
	;; [unrolled: 1-line block ×4, first 2 shown]
	v_pk_add_f32 v[0:1], v[20:21], v[0:1]
	v_pk_add_f32 v[4:5], v[18:19], v[4:5]
	v_cmp_eq_u32_e32 vcc, 63, v10
	v_mov_b32_dpp v2, v0 row_shr:2 row_mask:0xf bank_mask:0xf
	v_mov_b32_dpp v3, v1 row_shr:2 row_mask:0xf bank_mask:0xf
	v_mov_b32_dpp v6, v4 row_shr:2 row_mask:0xf bank_mask:0xf
	v_mov_b32_dpp v7, v5 row_shr:2 row_mask:0xf bank_mask:0xf
	v_pk_add_f32 v[0:1], v[0:1], v[2:3]
	v_pk_add_f32 v[4:5], v[4:5], v[6:7]
	s_nop 0
	v_mov_b32_dpp v2, v0 row_shr:4 row_mask:0xf bank_mask:0xe
	v_mov_b32_dpp v3, v1 row_shr:4 row_mask:0xf bank_mask:0xe
	v_mov_b32_dpp v6, v4 row_shr:4 row_mask:0xf bank_mask:0xe
	v_mov_b32_dpp v7, v5 row_shr:4 row_mask:0xf bank_mask:0xe
	v_pk_add_f32 v[0:1], v[0:1], v[2:3]
	v_pk_add_f32 v[4:5], v[4:5], v[6:7]
	s_nop 0
	;; [unrolled: 7-line block ×3, first 2 shown]
	v_mov_b32_dpp v2, v0 row_bcast:15 row_mask:0xa bank_mask:0xf
	v_mov_b32_dpp v3, v1 row_bcast:15 row_mask:0xa bank_mask:0xf
	v_mov_b32_dpp v6, v4 row_bcast:15 row_mask:0xa bank_mask:0xf
	v_mov_b32_dpp v7, v5 row_bcast:15 row_mask:0xa bank_mask:0xf
	v_pk_add_f32 v[0:1], v[0:1], v[2:3]
	v_pk_add_f32 v[4:5], v[4:5], v[6:7]
	s_nop 0
	v_mov_b32_dpp v2, v0 row_bcast:31 row_mask:0xc bank_mask:0xf
	v_mov_b32_dpp v3, v1 row_bcast:31 row_mask:0xc bank_mask:0xf
	;; [unrolled: 1-line block ×4, first 2 shown]
	s_and_b64 exec, exec, vcc
	s_cbranch_execz .LBB24_10
; %bb.38:
	s_load_dwordx2 s[0:1], s[4:5], 0x50
	v_cmp_eq_f32_e64 s[2:3], s18, 0
	v_pk_add_f32 v[2:3], v[0:1], v[2:3]
	v_pk_add_f32 v[0:1], v[4:5], v[6:7]
	s_and_b64 vcc, exec, s[2:3]
	v_lshlrev_b32_e32 v4, 2, v8
	s_cbranch_vccz .LBB24_40
; %bb.39:
	v_ashrrev_i32_e32 v5, 31, v4
	v_lshlrev_b64 v[6:7], 2, v[4:5]
	s_waitcnt lgkmcnt(0)
	v_mov_b32_e32 v5, s1
	v_add_co_u32_e32 v10, vcc, s0, v6
	v_addc_co_u32_e32 v11, vcc, v5, v7, vcc
	v_pk_mul_f32 v[6:7], s[16:17], v[2:3] op_sel_hi:[0,1]
	v_pk_mul_f32 v[8:9], s[16:17], v[0:1] op_sel_hi:[0,1]
	global_store_dwordx4 v[10:11], v[6:9], off
	s_cbranch_execnz .LBB24_10
	s_branch .LBB24_41
.LBB24_40:
.LBB24_41:
	v_ashrrev_i32_e32 v5, 31, v4
	v_lshlrev_b64 v[4:5], 2, v[4:5]
	s_waitcnt lgkmcnt(0)
	v_mov_b32_e32 v6, s1
	v_add_co_u32_e32 v8, vcc, s0, v4
	v_addc_co_u32_e32 v9, vcc, v6, v5, vcc
	global_load_dwordx4 v[4:7], v[8:9], off
	v_pk_mul_f32 v[2:3], s[16:17], v[2:3] op_sel_hi:[0,1]
	v_pk_mul_f32 v[10:11], s[16:17], v[0:1] op_sel_hi:[0,1]
	s_waitcnt vmcnt(0)
	v_pk_fma_f32 v[0:1], s[18:19], v[4:5], v[2:3] op_sel_hi:[0,1,1]
	v_pk_fma_f32 v[2:3], s[18:19], v[6:7], v[10:11] op_sel_hi:[0,1,1]
	global_store_dwordx4 v[8:9], v[0:3], off
	s_endpgm
	.section	.rodata,"a",@progbits
	.p2align	6, 0x0
	.amdhsa_kernel _ZN9rocsparseL18bsrxmvn_4x4_kernelILj128ELj64EflifffEEvT3_20rocsparse_direction_NS_24const_host_device_scalarIT1_EES1_PKS1_PKT2_SA_S7_PKT4_PKT5_S5_PT6_21rocsparse_index_base_b
		.amdhsa_group_segment_fixed_size 0
		.amdhsa_private_segment_fixed_size 0
		.amdhsa_kernarg_size 96
		.amdhsa_user_sgpr_count 6
		.amdhsa_user_sgpr_private_segment_buffer 1
		.amdhsa_user_sgpr_dispatch_ptr 0
		.amdhsa_user_sgpr_queue_ptr 0
		.amdhsa_user_sgpr_kernarg_segment_ptr 1
		.amdhsa_user_sgpr_dispatch_id 0
		.amdhsa_user_sgpr_flat_scratch_init 0
		.amdhsa_user_sgpr_kernarg_preload_length 0
		.amdhsa_user_sgpr_kernarg_preload_offset 0
		.amdhsa_user_sgpr_private_segment_size 0
		.amdhsa_uses_dynamic_stack 0
		.amdhsa_system_sgpr_private_segment_wavefront_offset 0
		.amdhsa_system_sgpr_workgroup_id_x 1
		.amdhsa_system_sgpr_workgroup_id_y 0
		.amdhsa_system_sgpr_workgroup_id_z 0
		.amdhsa_system_sgpr_workgroup_info 0
		.amdhsa_system_vgpr_workitem_id 0
		.amdhsa_next_free_vgpr 112
		.amdhsa_next_free_sgpr 25
		.amdhsa_accum_offset 112
		.amdhsa_reserve_vcc 1
		.amdhsa_reserve_flat_scratch 0
		.amdhsa_float_round_mode_32 0
		.amdhsa_float_round_mode_16_64 0
		.amdhsa_float_denorm_mode_32 3
		.amdhsa_float_denorm_mode_16_64 3
		.amdhsa_dx10_clamp 1
		.amdhsa_ieee_mode 1
		.amdhsa_fp16_overflow 0
		.amdhsa_tg_split 0
		.amdhsa_exception_fp_ieee_invalid_op 0
		.amdhsa_exception_fp_denorm_src 0
		.amdhsa_exception_fp_ieee_div_zero 0
		.amdhsa_exception_fp_ieee_overflow 0
		.amdhsa_exception_fp_ieee_underflow 0
		.amdhsa_exception_fp_ieee_inexact 0
		.amdhsa_exception_int_div_zero 0
	.end_amdhsa_kernel
	.section	.text._ZN9rocsparseL18bsrxmvn_4x4_kernelILj128ELj64EflifffEEvT3_20rocsparse_direction_NS_24const_host_device_scalarIT1_EES1_PKS1_PKT2_SA_S7_PKT4_PKT5_S5_PT6_21rocsparse_index_base_b,"axG",@progbits,_ZN9rocsparseL18bsrxmvn_4x4_kernelILj128ELj64EflifffEEvT3_20rocsparse_direction_NS_24const_host_device_scalarIT1_EES1_PKS1_PKT2_SA_S7_PKT4_PKT5_S5_PT6_21rocsparse_index_base_b,comdat
.Lfunc_end24:
	.size	_ZN9rocsparseL18bsrxmvn_4x4_kernelILj128ELj64EflifffEEvT3_20rocsparse_direction_NS_24const_host_device_scalarIT1_EES1_PKS1_PKT2_SA_S7_PKT4_PKT5_S5_PT6_21rocsparse_index_base_b, .Lfunc_end24-_ZN9rocsparseL18bsrxmvn_4x4_kernelILj128ELj64EflifffEEvT3_20rocsparse_direction_NS_24const_host_device_scalarIT1_EES1_PKS1_PKT2_SA_S7_PKT4_PKT5_S5_PT6_21rocsparse_index_base_b
                                        ; -- End function
	.section	.AMDGPU.csdata,"",@progbits
; Kernel info:
; codeLenInByte = 3712
; NumSgprs: 29
; NumVgprs: 112
; NumAgprs: 0
; TotalNumVgprs: 112
; ScratchSize: 0
; MemoryBound: 1
; FloatMode: 240
; IeeeMode: 1
; LDSByteSize: 0 bytes/workgroup (compile time only)
; SGPRBlocks: 3
; VGPRBlocks: 13
; NumSGPRsForWavesPerEU: 29
; NumVGPRsForWavesPerEU: 112
; AccumOffset: 112
; Occupancy: 4
; WaveLimiterHint : 1
; COMPUTE_PGM_RSRC2:SCRATCH_EN: 0
; COMPUTE_PGM_RSRC2:USER_SGPR: 6
; COMPUTE_PGM_RSRC2:TRAP_HANDLER: 0
; COMPUTE_PGM_RSRC2:TGID_X_EN: 1
; COMPUTE_PGM_RSRC2:TGID_Y_EN: 0
; COMPUTE_PGM_RSRC2:TGID_Z_EN: 0
; COMPUTE_PGM_RSRC2:TIDIG_COMP_CNT: 0
; COMPUTE_PGM_RSRC3_GFX90A:ACCUM_OFFSET: 27
; COMPUTE_PGM_RSRC3_GFX90A:TG_SPLIT: 0
	.section	.text._ZN9rocsparseL18bsrxmvn_4x4_kernelILj128ELj4EdlidddEEvT3_20rocsparse_direction_NS_24const_host_device_scalarIT1_EES1_PKS1_PKT2_SA_S7_PKT4_PKT5_S5_PT6_21rocsparse_index_base_b,"axG",@progbits,_ZN9rocsparseL18bsrxmvn_4x4_kernelILj128ELj4EdlidddEEvT3_20rocsparse_direction_NS_24const_host_device_scalarIT1_EES1_PKS1_PKT2_SA_S7_PKT4_PKT5_S5_PT6_21rocsparse_index_base_b,comdat
	.globl	_ZN9rocsparseL18bsrxmvn_4x4_kernelILj128ELj4EdlidddEEvT3_20rocsparse_direction_NS_24const_host_device_scalarIT1_EES1_PKS1_PKT2_SA_S7_PKT4_PKT5_S5_PT6_21rocsparse_index_base_b ; -- Begin function _ZN9rocsparseL18bsrxmvn_4x4_kernelILj128ELj4EdlidddEEvT3_20rocsparse_direction_NS_24const_host_device_scalarIT1_EES1_PKS1_PKT2_SA_S7_PKT4_PKT5_S5_PT6_21rocsparse_index_base_b
	.p2align	8
	.type	_ZN9rocsparseL18bsrxmvn_4x4_kernelILj128ELj4EdlidddEEvT3_20rocsparse_direction_NS_24const_host_device_scalarIT1_EES1_PKS1_PKT2_SA_S7_PKT4_PKT5_S5_PT6_21rocsparse_index_base_b,@function
_ZN9rocsparseL18bsrxmvn_4x4_kernelILj128ELj4EdlidddEEvT3_20rocsparse_direction_NS_24const_host_device_scalarIT1_EES1_PKS1_PKT2_SA_S7_PKT4_PKT5_S5_PT6_21rocsparse_index_base_b: ; @_ZN9rocsparseL18bsrxmvn_4x4_kernelILj128ELj4EdlidddEEvT3_20rocsparse_direction_NS_24const_host_device_scalarIT1_EES1_PKS1_PKT2_SA_S7_PKT4_PKT5_S5_PT6_21rocsparse_index_base_b
; %bb.0:
	s_load_dwordx2 s[16:17], s[4:5], 0x58
	s_load_dwordx2 s[8:9], s[4:5], 0x8
	s_load_dwordx2 s[0:1], s[4:5], 0x48
	s_waitcnt lgkmcnt(0)
	s_bitcmp1_b32 s17, 0
	s_cselect_b64 s[10:11], -1, 0
	s_xor_b64 s[2:3], s[10:11], -1
	s_and_b64 vcc, exec, s[10:11]
	v_pk_mov_b32 v[58:59], s[8:9], s[8:9] op_sel:[0,1]
	s_cbranch_vccnz .LBB25_2
; %bb.1:
	v_pk_mov_b32 v[2:3], s[8:9], s[8:9] op_sel:[0,1]
	flat_load_dwordx2 v[58:59], v[2:3]
.LBB25_2:
	s_andn2_b64 vcc, exec, s[2:3]
	v_pk_mov_b32 v[56:57], s[0:1], s[0:1] op_sel:[0,1]
	s_cbranch_vccnz .LBB25_4
; %bb.3:
	v_pk_mov_b32 v[2:3], s[0:1], s[0:1] op_sel:[0,1]
	flat_load_dwordx2 v[56:57], v[2:3]
.LBB25_4:
	s_waitcnt vmcnt(0) lgkmcnt(0)
	v_cmp_neq_f64_e32 vcc, 0, v[58:59]
	v_cmp_neq_f64_e64 s[0:1], 1.0, v[56:57]
	s_mov_b64 s[2:3], 0
	s_or_b64 s[0:1], vcc, s[0:1]
	s_and_saveexec_b64 s[8:9], s[0:1]
	s_cbranch_execz .LBB25_10
; %bb.5:
	s_load_dwordx2 s[8:9], s[4:5], 0x18
	s_load_dwordx2 s[0:1], s[4:5], 0x0
	v_lshrrev_b32_e32 v1, 2, v0
	v_lshl_or_b32 v60, s6, 5, v1
	s_mov_b64 s[6:7], 0
	s_waitcnt lgkmcnt(0)
	s_cmp_lg_u64 s[8:9], 0
	s_cbranch_scc0 .LBB25_11
; %bb.6:
	s_load_dword s2, s[4:5], 0x10
                                        ; implicit-def: $vgpr1
	s_waitcnt lgkmcnt(0)
	v_cmp_gt_i32_e32 vcc, s2, v60
	s_and_saveexec_b64 s[2:3], vcc
	s_xor_b64 s[2:3], exec, s[2:3]
	s_cbranch_execz .LBB25_8
; %bb.7:
	v_ashrrev_i32_e32 v61, 31, v60
	v_lshlrev_b64 v[2:3], 2, v[60:61]
	v_mov_b32_e32 v1, s9
	v_add_co_u32_e32 v2, vcc, s8, v2
	v_addc_co_u32_e32 v3, vcc, v1, v3, vcc
	global_load_dword v1, v[2:3], off
	s_mov_b64 s[6:7], exec
	s_waitcnt vmcnt(0)
	v_subrev_u32_e32 v1, s16, v1
.LBB25_8:
	s_or_b64 exec, exec, s[2:3]
	s_mov_b64 s[2:3], s[6:7]
	s_branch .LBB25_12
.LBB25_9:
	v_cmp_gt_i32_e32 vcc, s0, v60
	s_andn2_b64 s[2:3], s[2:3], exec
	s_and_b64 s[6:7], vcc, exec
	s_or_b64 s[2:3], s[2:3], s[6:7]
	s_and_b64 exec, exec, s[2:3]
	s_cbranch_execnz .LBB25_13
.LBB25_10:
	s_endpgm
.LBB25_11:
                                        ; implicit-def: $vgpr1
	s_cbranch_execnz .LBB25_9
.LBB25_12:
	v_mov_b32_e32 v60, v1
	s_and_b64 exec, exec, s[2:3]
	s_cbranch_execz .LBB25_10
.LBB25_13:
	s_load_dwordx8 s[8:15], s[4:5], 0x20
	v_ashrrev_i32_e32 v61, 31, v60
	v_lshlrev_b64 v[2:3], 3, v[60:61]
	v_and_b32_e32 v62, 3, v0
	s_mov_b32 s17, 0
	s_waitcnt lgkmcnt(0)
	v_mov_b32_e32 v1, s9
	v_add_co_u32_e32 v4, vcc, s8, v2
	v_addc_co_u32_e32 v5, vcc, v1, v3, vcc
	v_add_co_u32_e32 v1, vcc, 8, v4
	global_load_dwordx2 v[78:79], v[4:5], off
	v_addc_co_u32_e32 v4, vcc, 0, v5, vcc
	v_mov_b32_e32 v5, s11
	v_add_co_u32_e32 v2, vcc, s10, v2
	s_cmp_eq_u64 s[10:11], 0
	v_addc_co_u32_e32 v3, vcc, v5, v3, vcc
	s_cselect_b64 vcc, -1, 0
	v_cndmask_b32_e32 v3, v3, v4, vcc
	v_cndmask_b32_e32 v2, v2, v1, vcc
	global_load_dwordx2 v[2:3], v[2:3], off
	s_load_dwordx2 s[8:9], s[4:5], 0x40
	v_mov_b32_e32 v4, s15
	s_cmp_eq_u32 s1, 1
	s_waitcnt vmcnt(1)
	v_subrev_co_u32_e32 v0, vcc, s16, v78
	v_subbrev_co_u32_e32 v1, vcc, 0, v79, vcc
	v_add_co_u32_e32 v64, vcc, v0, v62
	v_addc_co_u32_e32 v65, vcc, 0, v1, vcc
	v_lshlrev_b64 v[0:1], 7, v[64:65]
	s_waitcnt vmcnt(0)
	v_subrev_co_u32_e32 v66, vcc, s16, v2
	v_subbrev_co_u32_e32 v67, vcc, 0, v3, vcc
	v_add_co_u32_e32 v68, vcc, s14, v0
	v_addc_co_u32_e32 v69, vcc, v4, v1, vcc
	v_cmp_lt_i64_e64 s[0:1], v[64:65], v[66:67]
	s_cbranch_scc1 .LBB25_25
; %bb.14:
	v_pk_mov_b32 v[70:71], 0, 0
	s_mov_b64 s[10:11], 0
	v_pk_mov_b32 v[72:73], v[70:71], v[70:71] op_sel:[0,1]
	v_pk_mov_b32 v[74:75], v[70:71], v[70:71] op_sel:[0,1]
	;; [unrolled: 1-line block ×3, first 2 shown]
	s_and_saveexec_b64 s[14:15], s[0:1]
	s_cbranch_execz .LBB25_24
; %bb.15:
	v_or_b32_e32 v0, 4, v62
	v_mov_b32_e32 v1, s17
	v_subrev_co_u32_e32 v0, vcc, s16, v0
	v_subb_co_u32_e32 v1, vcc, 0, v1, vcc
	v_add_co_u32_e32 v0, vcc, v0, v78
	v_addc_co_u32_e32 v1, vcc, v1, v79, vcc
	v_cmp_gt_i64_e32 vcc, v[0:1], v[66:67]
	v_cndmask_b32_e32 v1, v67, v1, vcc
	v_cndmask_b32_e32 v0, v66, v0, vcc
	v_mov_b32_e32 v4, s17
	v_sub_co_u32_e32 v5, vcc, s16, v62
	v_not_b32_e32 v3, v78
	v_subbrev_co_u32_e32 v4, vcc, 0, v4, vcc
	v_not_b32_e32 v2, v79
	v_add_co_u32_e32 v3, vcc, v5, v3
	v_addc_co_u32_e32 v2, vcc, v4, v2, vcc
	v_add_co_u32_e32 v0, vcc, v3, v0
	v_addc_co_u32_e32 v1, vcc, v2, v1, vcc
	v_lshrrev_b32_e32 v2, 2, v0
	v_add_u32_e32 v2, 1, v2
	v_and_b32_e32 v2, 3, v2
	v_pk_mov_b32 v[76:77], 0, 0
	v_cmp_ne_u32_e32 vcc, 0, v2
	s_mov_b64 s[18:19], 0
	v_pk_mov_b32 v[74:75], v[76:77], v[76:77] op_sel:[0,1]
	v_pk_mov_b32 v[72:73], v[76:77], v[76:77] op_sel:[0,1]
	;; [unrolled: 1-line block ×5, first 2 shown]
	s_and_saveexec_b64 s[6:7], vcc
	s_cbranch_execz .LBB25_19
; %bb.16:
	v_lshlrev_b64 v[4:5], 2, v[64:65]
	v_mov_b32_e32 v6, s13
	v_add_co_u32_e32 v4, vcc, s12, v4
	v_pk_mov_b32 v[70:71], 0, 0
	v_mov_b32_e32 v3, 0
	v_addc_co_u32_e32 v5, vcc, v6, v5, vcc
	v_lshlrev_b32_e32 v2, 5, v2
	s_movk_i32 s20, 0x200
	s_waitcnt lgkmcnt(0)
	v_mov_b32_e32 v6, s9
	v_pk_mov_b32 v[82:83], v[68:69], v[68:69] op_sel:[0,1]
	v_pk_mov_b32 v[80:81], v[64:65], v[64:65] op_sel:[0,1]
	;; [unrolled: 1-line block ×5, first 2 shown]
.LBB25_17:                              ; =>This Inner Loop Header: Depth=1
	global_load_dword v7, v[4:5], off
	global_load_dwordx4 v[8:11], v[82:83], off offset:48
	global_load_dwordx4 v[12:15], v[82:83], off offset:32
	global_load_dwordx4 v[16:19], v[82:83], off offset:16
	global_load_dwordx4 v[20:23], v[82:83], off
	global_load_dwordx4 v[24:27], v[82:83], off offset:112
	global_load_dwordx4 v[28:31], v[82:83], off offset:96
	;; [unrolled: 1-line block ×4, first 2 shown]
	v_add_co_u32_e64 v80, s[2:3], 4, v80
	v_addc_co_u32_e64 v81, s[2:3], 0, v81, s[2:3]
	v_add_co_u32_e64 v4, s[2:3], 16, v4
	v_addc_co_u32_e64 v5, s[2:3], 0, v5, s[2:3]
	s_waitcnt vmcnt(8)
	v_subrev_u32_e32 v7, s16, v7
	v_lshlrev_b32_e32 v40, 2, v7
	v_ashrrev_i32_e32 v41, 31, v40
	v_lshlrev_b64 v[40:41], 3, v[40:41]
	v_add_co_u32_e32 v48, vcc, s8, v40
	v_addc_co_u32_e32 v49, vcc, v6, v41, vcc
	global_load_dwordx4 v[40:43], v[48:49], off
	global_load_dwordx4 v[44:47], v[48:49], off offset:16
	v_add_co_u32_e32 v82, vcc, s20, v82
	v_addc_co_u32_e32 v83, vcc, 0, v83, vcc
	v_add_co_u32_e32 v2, vcc, 0xffffffe0, v2
	v_addc_co_u32_e32 v3, vcc, -1, v3, vcc
	v_cmp_eq_u64_e32 vcc, 0, v[2:3]
	s_or_b64 s[18:19], vcc, s[18:19]
	s_waitcnt vmcnt(1)
	v_fmac_f64_e32 v[76:77], v[20:21], v[40:41]
	v_fmac_f64_e32 v[74:75], v[12:13], v[40:41]
	;; [unrolled: 1-line block ×8, first 2 shown]
	s_waitcnt vmcnt(0)
	v_fmac_f64_e32 v[76:77], v[16:17], v[44:45]
	v_fmac_f64_e32 v[74:75], v[8:9], v[44:45]
	;; [unrolled: 1-line block ×8, first 2 shown]
	s_andn2_b64 exec, exec, s[18:19]
	s_cbranch_execnz .LBB25_17
; %bb.18:
	s_or_b64 exec, exec, s[18:19]
.LBB25_19:
	s_or_b64 exec, exec, s[6:7]
	v_cmp_lt_u64_e32 vcc, 11, v[0:1]
	s_and_saveexec_b64 s[18:19], vcc
	s_cbranch_execz .LBB25_23
; %bb.20:
	v_lshlrev_b64 v[0:1], 2, v[80:81]
	v_mov_b32_e32 v2, s13
	v_add_co_u32_e32 v0, vcc, s12, v0
	v_addc_co_u32_e32 v1, vcc, v1, v2, vcc
	v_add_co_u32_e32 v84, vcc, 32, v0
	v_addc_co_u32_e32 v85, vcc, 0, v1, vcc
	s_mov_b64 s[20:21], 0
	s_waitcnt lgkmcnt(0)
	v_mov_b32_e32 v61, s9
	s_movk_i32 s22, 0x800
.LBB25_21:                              ; =>This Inner Loop Header: Depth=1
	global_load_dword v63, v[84:85], off offset:-32
	global_load_dwordx4 v[4:7], v[82:83], off offset:48
	global_load_dwordx4 v[16:19], v[82:83], off offset:32
	;; [unrolled: 1-line block ×3, first 2 shown]
	global_load_dwordx4 v[86:89], v[82:83], off
	global_load_dwordx4 v[28:31], v[82:83], off offset:112
	global_load_dwordx4 v[32:35], v[82:83], off offset:96
	;; [unrolled: 1-line block ×11, first 2 shown]
	s_waitcnt vmcnt(15)
	v_subrev_u32_e32 v63, s16, v63
	v_lshlrev_b32_e32 v90, 2, v63
	v_ashrrev_i32_e32 v91, 31, v90
	v_lshlrev_b64 v[90:91], 3, v[90:91]
	v_add_co_u32_e32 v94, vcc, s8, v90
	v_addc_co_u32_e32 v95, vcc, v61, v91, vcc
	global_load_dwordx4 v[90:93], v[94:95], off
	s_waitcnt vmcnt(0)
	v_fmac_f64_e32 v[76:77], v[86:87], v[90:91]
	v_fmac_f64_e32 v[74:75], v[16:17], v[90:91]
	;; [unrolled: 1-line block ×5, first 2 shown]
	global_load_dwordx4 v[86:89], v[82:83], off offset:576
	global_load_dword v63, v[84:85], off offset:-16
	global_load_dword v100, v[84:85], off
	v_fmac_f64_e32 v[74:75], v[18:19], v[92:93]
	global_load_dword v101, v[84:85], off offset:16
	v_fmac_f64_e32 v[72:73], v[46:47], v[92:93]
	global_load_dwordx4 v[16:19], v[82:83], off offset:1072
	v_fmac_f64_e32 v[70:71], v[34:35], v[92:93]
	global_load_dwordx4 v[90:93], v[82:83], off offset:1056
	global_load_dwordx4 v[32:35], v[82:83], off offset:1040
	;; [unrolled: 1-line block ×3, first 2 shown]
	v_add_co_u32_e64 v84, s[6:7], 64, v84
	global_load_dwordx4 v[94:97], v[82:83], off offset:1024
	s_waitcnt vmcnt(1)
	v_fmac_f64_e32 v[72:73], v[36:37], v[44:45]
	v_subrev_u32_e32 v36, s16, v63
	v_lshlrev_b32_e32 v36, 2, v36
	v_ashrrev_i32_e32 v37, 31, v36
	v_lshlrev_b64 v[36:37], 3, v[36:37]
	v_add_co_u32_e32 v98, vcc, s8, v36
	v_fmac_f64_e32 v[76:77], v[8:9], v[44:45]
	v_fmac_f64_e32 v[74:75], v[4:5], v[44:45]
	;; [unrolled: 1-line block ×3, first 2 shown]
	v_addc_co_u32_e32 v99, vcc, v61, v37, vcc
	v_fmac_f64_e32 v[76:77], v[10:11], v[46:47]
	v_fmac_f64_e32 v[74:75], v[6:7], v[46:47]
	;; [unrolled: 1-line block ×4, first 2 shown]
	global_load_dwordx4 v[44:47], v[98:99], off
	global_load_dwordx4 v[4:7], v[82:83], off offset:1136
	global_load_dwordx4 v[8:11], v[82:83], off offset:1120
	;; [unrolled: 1-line block ×4, first 2 shown]
	s_waitcnt vmcnt(4)
	v_fmac_f64_e32 v[76:77], v[48:49], v[44:45]
	v_fmac_f64_e32 v[74:75], v[40:41], v[44:45]
	;; [unrolled: 1-line block ×5, first 2 shown]
	global_load_dwordx4 v[48:51], v[82:83], off offset:1088
	v_fmac_f64_e32 v[74:75], v[42:43], v[46:47]
	v_fmac_f64_e32 v[72:73], v[88:89], v[46:47]
	global_load_dwordx4 v[40:43], v[82:83], off offset:1568
	v_fmac_f64_e32 v[70:71], v[54:55], v[46:47]
	global_load_dwordx4 v[44:47], v[82:83], off offset:1552
	global_load_dwordx4 v[52:55], v[98:99], off offset:16
	;; [unrolled: 1-line block ×3, first 2 shown]
	s_waitcnt vmcnt(1)
	v_fmac_f64_e32 v[76:77], v[24:25], v[52:53]
	v_fmac_f64_e32 v[74:75], v[0:1], v[52:53]
	;; [unrolled: 1-line block ×4, first 2 shown]
	v_subrev_u32_e32 v52, s16, v100
	v_subrev_u32_e32 v53, s16, v101
	v_lshlrev_b32_e32 v52, 2, v52
	v_fmac_f64_e32 v[76:77], v[26:27], v[54:55]
	v_fmac_f64_e32 v[74:75], v[2:3], v[54:55]
	;; [unrolled: 1-line block ×4, first 2 shown]
	v_lshlrev_b32_e32 v54, 2, v53
	v_ashrrev_i32_e32 v53, 31, v52
	v_ashrrev_i32_e32 v55, 31, v54
	v_lshlrev_b64 v[52:53], 3, v[52:53]
	v_lshlrev_b64 v[54:55], 3, v[54:55]
	v_add_co_u32_e32 v98, vcc, s8, v52
	v_add_co_u32_e64 v100, s[2:3], s8, v54
	v_addc_co_u32_e32 v99, vcc, v61, v53, vcc
	v_addc_co_u32_e64 v101, vcc, v61, v55, s[2:3]
	global_load_dwordx4 v[52:55], v[98:99], off
	global_load_dwordx4 v[24:27], v[82:83], off offset:1536
	global_load_dwordx4 v[20:23], v[82:83], off offset:1632
	;; [unrolled: 1-line block ×4, first 2 shown]
	v_add_co_u32_e32 v82, vcc, s22, v82
	v_add_co_u32_e64 v80, s[2:3], 16, v80
	v_addc_co_u32_e64 v81, s[2:3], 0, v81, s[2:3]
	v_addc_co_u32_e32 v83, vcc, 0, v83, vcc
	v_cmp_ge_i64_e32 vcc, v[80:81], v[66:67]
	v_addc_co_u32_e64 v85, s[2:3], 0, v85, s[6:7]
	s_or_b64 s[20:21], vcc, s[20:21]
	s_waitcnt vmcnt(4)
	v_fmac_f64_e32 v[74:75], v[90:91], v[52:53]
	v_fmac_f64_e32 v[74:75], v[92:93], v[54:55]
	global_load_dwordx4 v[90:93], v[98:99], off offset:16
	v_fmac_f64_e32 v[76:77], v[94:95], v[52:53]
	v_fmac_f64_e32 v[72:73], v[48:49], v[52:53]
	;; [unrolled: 1-line block ×4, first 2 shown]
	global_load_dwordx4 v[48:51], v[100:101], off
	global_load_dwordx4 v[94:97], v[100:101], off offset:16
	v_fmac_f64_e32 v[70:71], v[8:9], v[52:53]
	v_fmac_f64_e32 v[70:71], v[10:11], v[54:55]
	s_waitcnt vmcnt(2)
	v_fmac_f64_e32 v[76:77], v[32:33], v[90:91]
	v_fmac_f64_e32 v[74:75], v[16:17], v[90:91]
	v_fmac_f64_e32 v[72:73], v[28:29], v[90:91]
	v_fmac_f64_e32 v[70:71], v[4:5], v[90:91]
	v_fmac_f64_e32 v[76:77], v[34:35], v[92:93]
	v_fmac_f64_e32 v[74:75], v[18:19], v[92:93]
	v_fmac_f64_e32 v[72:73], v[30:31], v[92:93]
	v_fmac_f64_e32 v[70:71], v[6:7], v[92:93]
	s_waitcnt vmcnt(1)
	v_fmac_f64_e32 v[76:77], v[24:25], v[48:49]
	v_fmac_f64_e32 v[74:75], v[40:41], v[48:49]
	v_fmac_f64_e32 v[72:73], v[86:87], v[48:49]
	v_fmac_f64_e32 v[70:71], v[20:21], v[48:49]
	v_fmac_f64_e32 v[76:77], v[26:27], v[50:51]
	v_fmac_f64_e32 v[74:75], v[42:43], v[50:51]
	;; [unrolled: 9-line block ×3, first 2 shown]
	v_fmac_f64_e32 v[72:73], v[14:15], v[96:97]
	v_fmac_f64_e32 v[70:71], v[2:3], v[96:97]
	s_andn2_b64 exec, exec, s[20:21]
	s_cbranch_execnz .LBB25_21
; %bb.22:
	s_or_b64 exec, exec, s[20:21]
.LBB25_23:
	s_or_b64 exec, exec, s[18:19]
.LBB25_24:
	s_or_b64 exec, exec, s[14:15]
	s_andn2_b64 vcc, exec, s[10:11]
	s_cbranch_vccz .LBB25_26
	s_branch .LBB25_37
.LBB25_25:
                                        ; implicit-def: $vgpr70_vgpr71
                                        ; implicit-def: $vgpr72_vgpr73
                                        ; implicit-def: $vgpr74_vgpr75
                                        ; implicit-def: $vgpr76_vgpr77
.LBB25_26:
	v_pk_mov_b32 v[70:71], 0, 0
	v_pk_mov_b32 v[72:73], v[70:71], v[70:71] op_sel:[0,1]
	v_pk_mov_b32 v[74:75], v[70:71], v[70:71] op_sel:[0,1]
	;; [unrolled: 1-line block ×3, first 2 shown]
	s_and_saveexec_b64 s[2:3], s[0:1]
	s_cbranch_execz .LBB25_36
; %bb.27:
	v_or_b32_e32 v0, 4, v62
	v_mov_b32_e32 v1, s17
	v_subrev_co_u32_e32 v0, vcc, s16, v0
	v_subb_co_u32_e32 v1, vcc, 0, v1, vcc
	v_add_co_u32_e32 v0, vcc, v0, v78
	v_addc_co_u32_e32 v1, vcc, v1, v79, vcc
	v_cmp_gt_i64_e32 vcc, v[0:1], v[66:67]
	v_cndmask_b32_e32 v1, v67, v1, vcc
	v_cndmask_b32_e32 v0, v66, v0, vcc
	v_mov_b32_e32 v4, s17
	v_sub_co_u32_e32 v5, vcc, s16, v62
	v_not_b32_e32 v3, v78
	v_subbrev_co_u32_e32 v4, vcc, 0, v4, vcc
	v_not_b32_e32 v2, v79
	v_add_co_u32_e32 v3, vcc, v5, v3
	v_addc_co_u32_e32 v2, vcc, v4, v2, vcc
	v_add_co_u32_e32 v0, vcc, v3, v0
	v_addc_co_u32_e32 v1, vcc, v2, v1, vcc
	v_lshrrev_b32_e32 v2, 2, v0
	v_add_u32_e32 v2, 1, v2
	v_and_b32_e32 v2, 3, v2
	v_pk_mov_b32 v[76:77], 0, 0
	v_cmp_ne_u32_e32 vcc, 0, v2
	s_mov_b64 s[10:11], 0
	v_pk_mov_b32 v[74:75], v[76:77], v[76:77] op_sel:[0,1]
	v_pk_mov_b32 v[72:73], v[76:77], v[76:77] op_sel:[0,1]
	;; [unrolled: 1-line block ×3, first 2 shown]
	s_and_saveexec_b64 s[6:7], vcc
	s_cbranch_execz .LBB25_31
; %bb.28:
	v_lshlrev_b64 v[4:5], 2, v[64:65]
	v_mov_b32_e32 v6, s13
	v_add_co_u32_e32 v4, vcc, s12, v4
	v_pk_mov_b32 v[70:71], 0, 0
	v_mov_b32_e32 v3, 0
	v_addc_co_u32_e32 v5, vcc, v6, v5, vcc
	v_lshlrev_b32_e32 v2, 5, v2
	s_movk_i32 s14, 0x200
	s_waitcnt lgkmcnt(0)
	v_mov_b32_e32 v6, s9
	v_pk_mov_b32 v[72:73], v[70:71], v[70:71] op_sel:[0,1]
	v_pk_mov_b32 v[74:75], v[70:71], v[70:71] op_sel:[0,1]
	;; [unrolled: 1-line block ×3, first 2 shown]
.LBB25_29:                              ; =>This Inner Loop Header: Depth=1
	global_load_dword v7, v[4:5], off
	global_load_dwordx4 v[8:11], v[68:69], off offset:48
	global_load_dwordx4 v[12:15], v[68:69], off offset:32
	;; [unrolled: 1-line block ×3, first 2 shown]
	global_load_dwordx4 v[20:23], v[68:69], off
	global_load_dwordx4 v[24:27], v[68:69], off offset:80
	global_load_dwordx4 v[28:31], v[68:69], off offset:64
	v_add_co_u32_e64 v64, s[0:1], 4, v64
	v_addc_co_u32_e64 v65, s[0:1], 0, v65, s[0:1]
	v_add_co_u32_e64 v4, s[0:1], 16, v4
	v_addc_co_u32_e64 v5, s[0:1], 0, v5, s[0:1]
	s_waitcnt vmcnt(6)
	v_subrev_u32_e32 v7, s16, v7
	v_lshlrev_b32_e32 v32, 2, v7
	v_ashrrev_i32_e32 v33, 31, v32
	v_lshlrev_b64 v[32:33], 3, v[32:33]
	v_add_co_u32_e32 v48, vcc, s8, v32
	v_addc_co_u32_e32 v49, vcc, v6, v33, vcc
	global_load_dwordx4 v[32:35], v[48:49], off
	global_load_dwordx4 v[36:39], v[48:49], off offset:16
	global_load_dwordx4 v[40:43], v[68:69], off offset:96
	;; [unrolled: 1-line block ×3, first 2 shown]
	v_add_co_u32_e32 v68, vcc, s14, v68
	v_addc_co_u32_e32 v69, vcc, 0, v69, vcc
	v_add_co_u32_e32 v2, vcc, 0xffffffe0, v2
	v_addc_co_u32_e32 v3, vcc, -1, v3, vcc
	v_cmp_eq_u64_e32 vcc, 0, v[2:3]
	s_or_b64 s[10:11], vcc, s[10:11]
	s_waitcnt vmcnt(3)
	v_fmac_f64_e32 v[76:77], v[20:21], v[32:33]
	v_fmac_f64_e32 v[74:75], v[22:23], v[32:33]
	;; [unrolled: 1-line block ×8, first 2 shown]
	s_waitcnt vmcnt(2)
	v_fmac_f64_e32 v[76:77], v[28:29], v[36:37]
	v_fmac_f64_e32 v[74:75], v[30:31], v[36:37]
	;; [unrolled: 1-line block ×4, first 2 shown]
	s_waitcnt vmcnt(1)
	v_fmac_f64_e32 v[76:77], v[40:41], v[38:39]
	v_fmac_f64_e32 v[74:75], v[42:43], v[38:39]
	s_waitcnt vmcnt(0)
	v_fmac_f64_e32 v[72:73], v[44:45], v[38:39]
	v_fmac_f64_e32 v[70:71], v[46:47], v[38:39]
	s_andn2_b64 exec, exec, s[10:11]
	s_cbranch_execnz .LBB25_29
; %bb.30:
	s_or_b64 exec, exec, s[10:11]
.LBB25_31:
	s_or_b64 exec, exec, s[6:7]
	v_cmp_lt_u64_e32 vcc, 11, v[0:1]
	s_and_saveexec_b64 s[6:7], vcc
	s_cbranch_execz .LBB25_35
; %bb.32:
	v_lshlrev_b64 v[0:1], 2, v[64:65]
	v_mov_b32_e32 v2, s13
	v_add_co_u32_e32 v0, vcc, s12, v0
	v_addc_co_u32_e32 v1, vcc, v1, v2, vcc
	v_add_co_u32_e32 v48, vcc, 32, v0
	v_addc_co_u32_e32 v49, vcc, 0, v1, vcc
	s_mov_b64 s[10:11], 0
	s_waitcnt lgkmcnt(0)
	v_mov_b32_e32 v50, s9
	s_movk_i32 s9, 0x800
.LBB25_33:                              ; =>This Inner Loop Header: Depth=1
	global_load_dword v51, v[48:49], off offset:-32
	global_load_dwordx4 v[0:3], v[68:69], off offset:48
	global_load_dwordx4 v[4:7], v[68:69], off offset:32
	;; [unrolled: 1-line block ×3, first 2 shown]
	global_load_dwordx4 v[12:15], v[68:69], off
	global_load_dwordx4 v[16:19], v[68:69], off offset:112
	global_load_dwordx4 v[20:23], v[68:69], off offset:96
	;; [unrolled: 1-line block ×8, first 2 shown]
	global_load_dword v61, v[48:49], off offset:-16
	global_load_dword v63, v[48:49], off
	global_load_dword v102, v[48:49], off offset:16
	global_load_dwordx4 v[78:81], v[68:69], off offset:624
	global_load_dwordx4 v[82:85], v[68:69], off offset:608
	;; [unrolled: 1-line block ×3, first 2 shown]
	v_add_co_u32_e64 v64, s[0:1], 16, v64
	v_addc_co_u32_e64 v65, s[0:1], 0, v65, s[0:1]
	v_add_co_u32_e64 v48, s[0:1], 64, v48
	v_addc_co_u32_e64 v49, s[0:1], 0, v49, s[0:1]
	s_waitcnt vmcnt(18)
	v_subrev_u32_e32 v51, s16, v51
	v_lshlrev_b32_e32 v52, 2, v51
	v_ashrrev_i32_e32 v53, 31, v52
	v_lshlrev_b64 v[52:53], 3, v[52:53]
	v_add_co_u32_e32 v94, vcc, s8, v52
	v_addc_co_u32_e32 v95, vcc, v50, v53, vcc
	global_load_dwordx4 v[52:55], v[94:95], off
	s_waitcnt vmcnt(0)
	v_fmac_f64_e32 v[76:77], v[12:13], v[52:53]
	v_fmac_f64_e32 v[74:75], v[14:15], v[52:53]
	;; [unrolled: 1-line block ×8, first 2 shown]
	global_load_dwordx4 v[52:55], v[68:69], off offset:576
	global_load_dwordx4 v[90:93], v[68:69], off offset:1072
	;; [unrolled: 1-line block ×5, first 2 shown]
	s_waitcnt vmcnt(2)
	v_fmac_f64_e32 v[76:77], v[32:33], v[0:1]
	v_fmac_f64_e32 v[74:75], v[34:35], v[0:1]
	;; [unrolled: 1-line block ×4, first 2 shown]
	v_subrev_u32_e32 v0, s16, v61
	v_lshlrev_b32_e32 v0, 2, v0
	v_ashrrev_i32_e32 v1, 31, v0
	v_lshlrev_b64 v[0:1], 3, v[0:1]
	v_fmac_f64_e32 v[72:73], v[16:17], v[2:3]
	v_add_co_u32_e32 v16, vcc, s8, v0
	v_addc_co_u32_e32 v17, vcc, v50, v1, vcc
	global_load_dwordx4 v[10:13], v[16:17], off
	v_fmac_f64_e32 v[76:77], v[20:21], v[2:3]
	v_fmac_f64_e32 v[74:75], v[22:23], v[2:3]
	;; [unrolled: 1-line block ×3, first 2 shown]
	global_load_dwordx4 v[32:35], v[68:69], off offset:1056
	global_load_dwordx4 v[94:97], v[68:69], off offset:1040
	;; [unrolled: 1-line block ×3, first 2 shown]
	s_waitcnt vmcnt(3)
	v_fmac_f64_e32 v[76:77], v[44:45], v[10:11]
	v_fmac_f64_e32 v[74:75], v[46:47], v[10:11]
	;; [unrolled: 1-line block ×6, first 2 shown]
	global_load_dwordx4 v[8:11], v[68:69], off offset:1104
	v_fmac_f64_e32 v[72:73], v[28:29], v[12:13]
	v_fmac_f64_e32 v[70:71], v[30:31], v[12:13]
	global_load_dwordx4 v[28:31], v[68:69], off offset:1088
	global_load_dwordx4 v[12:15], v[68:69], off offset:1584
	;; [unrolled: 1-line block ×3, first 2 shown]
	v_subrev_u32_e32 v40, s16, v63
	v_lshlrev_b32_e32 v40, 2, v40
	v_ashrrev_i32_e32 v41, 31, v40
	v_lshlrev_b64 v[40:41], 3, v[40:41]
	global_load_dwordx4 v[24:27], v[68:69], off offset:1552
	global_load_dwordx4 v[36:39], v[68:69], off offset:1536
	;; [unrolled: 1-line block ×4, first 2 shown]
	s_waitcnt vmcnt(4)
	v_fmac_f64_e32 v[72:73], v[86:87], v[20:21]
	v_fmac_f64_e32 v[72:73], v[78:79], v[22:23]
	v_add_co_u32_e32 v78, vcc, s8, v40
	v_addc_co_u32_e32 v79, vcc, v50, v41, vcc
	global_load_dwordx4 v[40:43], v[78:79], off
	v_fmac_f64_e32 v[76:77], v[52:53], v[20:21]
	v_fmac_f64_e32 v[74:75], v[54:55], v[20:21]
	global_load_dwordx4 v[52:55], v[68:69], off offset:1600
	v_fmac_f64_e32 v[70:71], v[88:89], v[20:21]
	v_fmac_f64_e32 v[76:77], v[82:83], v[22:23]
	v_fmac_f64_e32 v[74:75], v[84:85], v[22:23]
	v_fmac_f64_e32 v[70:71], v[80:81], v[22:23]
	global_load_dwordx4 v[20:23], v[68:69], off offset:1632
	s_waitcnt vmcnt(2)
	v_fmac_f64_e32 v[76:77], v[98:99], v[40:41]
	v_fmac_f64_e32 v[74:75], v[100:101], v[40:41]
	;; [unrolled: 1-line block ×4, first 2 shown]
	v_subrev_u32_e32 v40, s16, v102
	v_fmac_f64_e32 v[76:77], v[32:33], v[42:43]
	v_lshlrev_b32_e32 v32, 2, v40
	v_ashrrev_i32_e32 v33, 31, v32
	v_lshlrev_b64 v[32:33], 3, v[32:33]
	v_add_co_u32_e32 v82, vcc, s8, v32
	v_fmac_f64_e32 v[74:75], v[34:35], v[42:43]
	v_addc_co_u32_e32 v83, vcc, v50, v33, vcc
	global_load_dwordx4 v[32:35], v[78:79], off offset:16
	v_fmac_f64_e32 v[72:73], v[90:91], v[42:43]
	v_fmac_f64_e32 v[70:71], v[92:93], v[42:43]
	global_load_dwordx4 v[40:43], v[82:83], off
	global_load_dwordx4 v[78:81], v[82:83], off offset:16
	s_waitcnt vmcnt(2)
	v_fmac_f64_e32 v[76:77], v[28:29], v[32:33]
	v_fmac_f64_e32 v[74:75], v[30:31], v[32:33]
	global_load_dwordx4 v[28:31], v[68:69], off offset:1648
	v_fmac_f64_e32 v[72:73], v[8:9], v[32:33]
	v_fmac_f64_e32 v[70:71], v[10:11], v[32:33]
	;; [unrolled: 1-line block ×6, first 2 shown]
	v_add_co_u32_e32 v68, vcc, s9, v68
	s_waitcnt vmcnt(2)
	v_fmac_f64_e32 v[76:77], v[36:37], v[40:41]
	v_fmac_f64_e32 v[74:75], v[38:39], v[40:41]
	;; [unrolled: 1-line block ×4, first 2 shown]
	v_addc_co_u32_e32 v69, vcc, 0, v69, vcc
	v_fmac_f64_e32 v[76:77], v[16:17], v[42:43]
	v_fmac_f64_e32 v[74:75], v[18:19], v[42:43]
	;; [unrolled: 1-line block ×4, first 2 shown]
	v_cmp_ge_i64_e32 vcc, v[64:65], v[66:67]
	s_waitcnt vmcnt(1)
	v_fmac_f64_e32 v[76:77], v[52:53], v[78:79]
	v_fmac_f64_e32 v[74:75], v[54:55], v[78:79]
	;; [unrolled: 1-line block ×4, first 2 shown]
	s_or_b64 s[10:11], vcc, s[10:11]
	v_fmac_f64_e32 v[76:77], v[20:21], v[80:81]
	v_fmac_f64_e32 v[74:75], v[22:23], v[80:81]
	s_waitcnt vmcnt(0)
	v_fmac_f64_e32 v[72:73], v[28:29], v[80:81]
	v_fmac_f64_e32 v[70:71], v[30:31], v[80:81]
	s_andn2_b64 exec, exec, s[10:11]
	s_cbranch_execnz .LBB25_33
; %bb.34:
	s_or_b64 exec, exec, s[10:11]
.LBB25_35:
	s_or_b64 exec, exec, s[6:7]
.LBB25_36:
	s_or_b64 exec, exec, s[2:3]
.LBB25_37:
	v_mov_b32_dpp v0, v76 row_shr:1 row_mask:0xf bank_mask:0xf
	v_mov_b32_dpp v1, v77 row_shr:1 row_mask:0xf bank_mask:0xf
	;; [unrolled: 1-line block ×8, first 2 shown]
	v_add_f64 v[0:1], v[76:77], v[0:1]
	v_add_f64 v[4:5], v[74:75], v[4:5]
	;; [unrolled: 1-line block ×4, first 2 shown]
	v_mov_b32_dpp v2, v0 row_shr:2 row_mask:0xf bank_mask:0xf
	v_mov_b32_dpp v3, v1 row_shr:2 row_mask:0xf bank_mask:0xf
	;; [unrolled: 1-line block ×8, first 2 shown]
	v_cmp_eq_u32_e32 vcc, 3, v62
	s_and_b64 exec, exec, vcc
	s_cbranch_execz .LBB25_10
; %bb.38:
	s_load_dwordx2 s[0:1], s[4:5], 0x50
	v_add_f64 v[0:1], v[0:1], v[2:3]
	v_add_f64 v[2:3], v[4:5], v[6:7]
	;; [unrolled: 1-line block ×4, first 2 shown]
	v_cmp_eq_f64_e32 vcc, 0, v[56:57]
	v_mul_f64 v[4:5], v[58:59], v[0:1]
	v_mul_f64 v[6:7], v[58:59], v[2:3]
	;; [unrolled: 1-line block ×4, first 2 shown]
	v_lshlrev_b32_e32 v8, 2, v60
	s_and_saveexec_b64 s[2:3], vcc
	s_xor_b64 s[2:3], exec, s[2:3]
	s_cbranch_execz .LBB25_40
; %bb.39:
	v_ashrrev_i32_e32 v9, 31, v8
	v_lshlrev_b64 v[8:9], 3, v[8:9]
	s_waitcnt lgkmcnt(0)
	v_mov_b32_e32 v10, s1
	v_add_co_u32_e32 v8, vcc, s0, v8
	v_addc_co_u32_e32 v9, vcc, v10, v9, vcc
	global_store_dwordx4 v[8:9], v[4:7], off
	global_store_dwordx4 v[8:9], v[0:3], off offset:16
                                        ; implicit-def: $vgpr8
                                        ; implicit-def: $vgpr56_vgpr57
                                        ; implicit-def: $vgpr4_vgpr5
                                        ; implicit-def: $vgpr0_vgpr1
.LBB25_40:
	s_andn2_saveexec_b64 s[2:3], s[2:3]
	s_cbranch_execz .LBB25_10
; %bb.41:
	v_ashrrev_i32_e32 v9, 31, v8
	v_lshlrev_b64 v[8:9], 3, v[8:9]
	s_waitcnt lgkmcnt(0)
	v_mov_b32_e32 v10, s1
	v_add_co_u32_e32 v16, vcc, s0, v8
	v_addc_co_u32_e32 v17, vcc, v10, v9, vcc
	global_load_dwordx4 v[8:11], v[16:17], off
	global_load_dwordx4 v[12:15], v[16:17], off offset:16
	s_waitcnt vmcnt(1)
	v_fmac_f64_e32 v[4:5], v[56:57], v[8:9]
	v_fmac_f64_e32 v[6:7], v[56:57], v[10:11]
	s_waitcnt vmcnt(0)
	v_fmac_f64_e32 v[0:1], v[56:57], v[12:13]
	v_fmac_f64_e32 v[2:3], v[56:57], v[14:15]
	global_store_dwordx4 v[16:17], v[4:7], off
	global_store_dwordx4 v[16:17], v[0:3], off offset:16
	s_endpgm
	.section	.rodata,"a",@progbits
	.p2align	6, 0x0
	.amdhsa_kernel _ZN9rocsparseL18bsrxmvn_4x4_kernelILj128ELj4EdlidddEEvT3_20rocsparse_direction_NS_24const_host_device_scalarIT1_EES1_PKS1_PKT2_SA_S7_PKT4_PKT5_S5_PT6_21rocsparse_index_base_b
		.amdhsa_group_segment_fixed_size 0
		.amdhsa_private_segment_fixed_size 0
		.amdhsa_kernarg_size 96
		.amdhsa_user_sgpr_count 6
		.amdhsa_user_sgpr_private_segment_buffer 1
		.amdhsa_user_sgpr_dispatch_ptr 0
		.amdhsa_user_sgpr_queue_ptr 0
		.amdhsa_user_sgpr_kernarg_segment_ptr 1
		.amdhsa_user_sgpr_dispatch_id 0
		.amdhsa_user_sgpr_flat_scratch_init 0
		.amdhsa_user_sgpr_kernarg_preload_length 0
		.amdhsa_user_sgpr_kernarg_preload_offset 0
		.amdhsa_user_sgpr_private_segment_size 0
		.amdhsa_uses_dynamic_stack 0
		.amdhsa_system_sgpr_private_segment_wavefront_offset 0
		.amdhsa_system_sgpr_workgroup_id_x 1
		.amdhsa_system_sgpr_workgroup_id_y 0
		.amdhsa_system_sgpr_workgroup_id_z 0
		.amdhsa_system_sgpr_workgroup_info 0
		.amdhsa_system_vgpr_workitem_id 0
		.amdhsa_next_free_vgpr 103
		.amdhsa_next_free_sgpr 23
		.amdhsa_accum_offset 104
		.amdhsa_reserve_vcc 1
		.amdhsa_reserve_flat_scratch 0
		.amdhsa_float_round_mode_32 0
		.amdhsa_float_round_mode_16_64 0
		.amdhsa_float_denorm_mode_32 3
		.amdhsa_float_denorm_mode_16_64 3
		.amdhsa_dx10_clamp 1
		.amdhsa_ieee_mode 1
		.amdhsa_fp16_overflow 0
		.amdhsa_tg_split 0
		.amdhsa_exception_fp_ieee_invalid_op 0
		.amdhsa_exception_fp_denorm_src 0
		.amdhsa_exception_fp_ieee_div_zero 0
		.amdhsa_exception_fp_ieee_overflow 0
		.amdhsa_exception_fp_ieee_underflow 0
		.amdhsa_exception_fp_ieee_inexact 0
		.amdhsa_exception_int_div_zero 0
	.end_amdhsa_kernel
	.section	.text._ZN9rocsparseL18bsrxmvn_4x4_kernelILj128ELj4EdlidddEEvT3_20rocsparse_direction_NS_24const_host_device_scalarIT1_EES1_PKS1_PKT2_SA_S7_PKT4_PKT5_S5_PT6_21rocsparse_index_base_b,"axG",@progbits,_ZN9rocsparseL18bsrxmvn_4x4_kernelILj128ELj4EdlidddEEvT3_20rocsparse_direction_NS_24const_host_device_scalarIT1_EES1_PKS1_PKT2_SA_S7_PKT4_PKT5_S5_PT6_21rocsparse_index_base_b,comdat
.Lfunc_end25:
	.size	_ZN9rocsparseL18bsrxmvn_4x4_kernelILj128ELj4EdlidddEEvT3_20rocsparse_direction_NS_24const_host_device_scalarIT1_EES1_PKS1_PKT2_SA_S7_PKT4_PKT5_S5_PT6_21rocsparse_index_base_b, .Lfunc_end25-_ZN9rocsparseL18bsrxmvn_4x4_kernelILj128ELj4EdlidddEEvT3_20rocsparse_direction_NS_24const_host_device_scalarIT1_EES1_PKS1_PKT2_SA_S7_PKT4_PKT5_S5_PT6_21rocsparse_index_base_b
                                        ; -- End function
	.section	.AMDGPU.csdata,"",@progbits
; Kernel info:
; codeLenInByte = 3736
; NumSgprs: 27
; NumVgprs: 103
; NumAgprs: 0
; TotalNumVgprs: 103
; ScratchSize: 0
; MemoryBound: 1
; FloatMode: 240
; IeeeMode: 1
; LDSByteSize: 0 bytes/workgroup (compile time only)
; SGPRBlocks: 3
; VGPRBlocks: 12
; NumSGPRsForWavesPerEU: 27
; NumVGPRsForWavesPerEU: 103
; AccumOffset: 104
; Occupancy: 4
; WaveLimiterHint : 1
; COMPUTE_PGM_RSRC2:SCRATCH_EN: 0
; COMPUTE_PGM_RSRC2:USER_SGPR: 6
; COMPUTE_PGM_RSRC2:TRAP_HANDLER: 0
; COMPUTE_PGM_RSRC2:TGID_X_EN: 1
; COMPUTE_PGM_RSRC2:TGID_Y_EN: 0
; COMPUTE_PGM_RSRC2:TGID_Z_EN: 0
; COMPUTE_PGM_RSRC2:TIDIG_COMP_CNT: 0
; COMPUTE_PGM_RSRC3_GFX90A:ACCUM_OFFSET: 25
; COMPUTE_PGM_RSRC3_GFX90A:TG_SPLIT: 0
	.section	.text._ZN9rocsparseL18bsrxmvn_4x4_kernelILj128ELj8EdlidddEEvT3_20rocsparse_direction_NS_24const_host_device_scalarIT1_EES1_PKS1_PKT2_SA_S7_PKT4_PKT5_S5_PT6_21rocsparse_index_base_b,"axG",@progbits,_ZN9rocsparseL18bsrxmvn_4x4_kernelILj128ELj8EdlidddEEvT3_20rocsparse_direction_NS_24const_host_device_scalarIT1_EES1_PKS1_PKT2_SA_S7_PKT4_PKT5_S5_PT6_21rocsparse_index_base_b,comdat
	.globl	_ZN9rocsparseL18bsrxmvn_4x4_kernelILj128ELj8EdlidddEEvT3_20rocsparse_direction_NS_24const_host_device_scalarIT1_EES1_PKS1_PKT2_SA_S7_PKT4_PKT5_S5_PT6_21rocsparse_index_base_b ; -- Begin function _ZN9rocsparseL18bsrxmvn_4x4_kernelILj128ELj8EdlidddEEvT3_20rocsparse_direction_NS_24const_host_device_scalarIT1_EES1_PKS1_PKT2_SA_S7_PKT4_PKT5_S5_PT6_21rocsparse_index_base_b
	.p2align	8
	.type	_ZN9rocsparseL18bsrxmvn_4x4_kernelILj128ELj8EdlidddEEvT3_20rocsparse_direction_NS_24const_host_device_scalarIT1_EES1_PKS1_PKT2_SA_S7_PKT4_PKT5_S5_PT6_21rocsparse_index_base_b,@function
_ZN9rocsparseL18bsrxmvn_4x4_kernelILj128ELj8EdlidddEEvT3_20rocsparse_direction_NS_24const_host_device_scalarIT1_EES1_PKS1_PKT2_SA_S7_PKT4_PKT5_S5_PT6_21rocsparse_index_base_b: ; @_ZN9rocsparseL18bsrxmvn_4x4_kernelILj128ELj8EdlidddEEvT3_20rocsparse_direction_NS_24const_host_device_scalarIT1_EES1_PKS1_PKT2_SA_S7_PKT4_PKT5_S5_PT6_21rocsparse_index_base_b
; %bb.0:
	s_load_dwordx2 s[16:17], s[4:5], 0x58
	s_load_dwordx2 s[8:9], s[4:5], 0x8
	;; [unrolled: 1-line block ×3, first 2 shown]
	s_waitcnt lgkmcnt(0)
	s_bitcmp1_b32 s17, 0
	s_cselect_b64 s[10:11], -1, 0
	s_xor_b64 s[2:3], s[10:11], -1
	s_and_b64 vcc, exec, s[10:11]
	v_pk_mov_b32 v[58:59], s[8:9], s[8:9] op_sel:[0,1]
	s_cbranch_vccnz .LBB26_2
; %bb.1:
	v_pk_mov_b32 v[2:3], s[8:9], s[8:9] op_sel:[0,1]
	flat_load_dwordx2 v[58:59], v[2:3]
.LBB26_2:
	s_andn2_b64 vcc, exec, s[2:3]
	v_pk_mov_b32 v[56:57], s[0:1], s[0:1] op_sel:[0,1]
	s_cbranch_vccnz .LBB26_4
; %bb.3:
	v_pk_mov_b32 v[2:3], s[0:1], s[0:1] op_sel:[0,1]
	flat_load_dwordx2 v[56:57], v[2:3]
.LBB26_4:
	s_waitcnt vmcnt(0) lgkmcnt(0)
	v_cmp_neq_f64_e32 vcc, 0, v[58:59]
	v_cmp_neq_f64_e64 s[0:1], 1.0, v[56:57]
	s_mov_b64 s[2:3], 0
	s_or_b64 s[0:1], vcc, s[0:1]
	s_and_saveexec_b64 s[8:9], s[0:1]
	s_cbranch_execz .LBB26_10
; %bb.5:
	s_load_dwordx2 s[8:9], s[4:5], 0x18
	s_load_dwordx2 s[0:1], s[4:5], 0x0
	v_lshrrev_b32_e32 v1, 3, v0
	v_lshl_or_b32 v60, s6, 4, v1
	s_mov_b64 s[6:7], 0
	s_waitcnt lgkmcnt(0)
	s_cmp_lg_u64 s[8:9], 0
	s_cbranch_scc0 .LBB26_11
; %bb.6:
	s_load_dword s2, s[4:5], 0x10
                                        ; implicit-def: $vgpr1
	s_waitcnt lgkmcnt(0)
	v_cmp_gt_i32_e32 vcc, s2, v60
	s_and_saveexec_b64 s[2:3], vcc
	s_xor_b64 s[2:3], exec, s[2:3]
	s_cbranch_execz .LBB26_8
; %bb.7:
	v_ashrrev_i32_e32 v61, 31, v60
	v_lshlrev_b64 v[2:3], 2, v[60:61]
	v_mov_b32_e32 v1, s9
	v_add_co_u32_e32 v2, vcc, s8, v2
	v_addc_co_u32_e32 v3, vcc, v1, v3, vcc
	global_load_dword v1, v[2:3], off
	s_mov_b64 s[6:7], exec
	s_waitcnt vmcnt(0)
	v_subrev_u32_e32 v1, s16, v1
.LBB26_8:
	s_or_b64 exec, exec, s[2:3]
	s_mov_b64 s[2:3], s[6:7]
	s_branch .LBB26_12
.LBB26_9:
	v_cmp_gt_i32_e32 vcc, s0, v60
	s_andn2_b64 s[2:3], s[2:3], exec
	s_and_b64 s[6:7], vcc, exec
	s_or_b64 s[2:3], s[2:3], s[6:7]
	s_and_b64 exec, exec, s[2:3]
	s_cbranch_execnz .LBB26_13
.LBB26_10:
	s_endpgm
.LBB26_11:
                                        ; implicit-def: $vgpr1
	s_cbranch_execnz .LBB26_9
.LBB26_12:
	v_mov_b32_e32 v60, v1
	s_and_b64 exec, exec, s[2:3]
	s_cbranch_execz .LBB26_10
.LBB26_13:
	s_load_dwordx8 s[8:15], s[4:5], 0x20
	v_ashrrev_i32_e32 v61, 31, v60
	v_lshlrev_b64 v[2:3], 3, v[60:61]
	v_and_b32_e32 v62, 7, v0
	s_load_dwordx2 s[6:7], s[4:5], 0x40
	s_waitcnt lgkmcnt(0)
	v_mov_b32_e32 v1, s9
	v_add_co_u32_e32 v4, vcc, s8, v2
	v_addc_co_u32_e32 v5, vcc, v1, v3, vcc
	v_add_co_u32_e32 v1, vcc, 8, v4
	global_load_dwordx2 v[78:79], v[4:5], off
	v_addc_co_u32_e32 v4, vcc, 0, v5, vcc
	v_mov_b32_e32 v5, s11
	v_add_co_u32_e32 v2, vcc, s10, v2
	s_cmp_eq_u64 s[10:11], 0
	v_addc_co_u32_e32 v3, vcc, v5, v3, vcc
	s_cselect_b64 vcc, -1, 0
	v_cndmask_b32_e32 v3, v3, v4, vcc
	v_cndmask_b32_e32 v2, v2, v1, vcc
	global_load_dwordx2 v[2:3], v[2:3], off
	v_mov_b32_e32 v4, s15
	s_mov_b32 s17, 0
	s_cmp_eq_u32 s1, 1
	s_waitcnt vmcnt(1)
	v_subrev_co_u32_e32 v0, vcc, s16, v78
	v_subbrev_co_u32_e32 v1, vcc, 0, v79, vcc
	v_add_co_u32_e32 v64, vcc, v0, v62
	v_addc_co_u32_e32 v65, vcc, 0, v1, vcc
	v_lshlrev_b64 v[0:1], 7, v[64:65]
	s_waitcnt vmcnt(0)
	v_subrev_co_u32_e32 v66, vcc, s16, v2
	v_subbrev_co_u32_e32 v67, vcc, 0, v3, vcc
	v_add_co_u32_e32 v68, vcc, s14, v0
	v_addc_co_u32_e32 v69, vcc, v4, v1, vcc
	v_cmp_lt_i64_e64 s[0:1], v[64:65], v[66:67]
	s_cbranch_scc1 .LBB26_25
; %bb.14:
	v_pk_mov_b32 v[70:71], 0, 0
	s_mov_b64 s[8:9], 0
	v_pk_mov_b32 v[72:73], v[70:71], v[70:71] op_sel:[0,1]
	v_pk_mov_b32 v[74:75], v[70:71], v[70:71] op_sel:[0,1]
	;; [unrolled: 1-line block ×3, first 2 shown]
	s_and_saveexec_b64 s[10:11], s[0:1]
	s_cbranch_execz .LBB26_24
; %bb.15:
	v_or_b32_e32 v0, 8, v62
	v_mov_b32_e32 v1, s17
	v_subrev_co_u32_e32 v0, vcc, s16, v0
	v_subb_co_u32_e32 v1, vcc, 0, v1, vcc
	v_add_co_u32_e32 v0, vcc, v0, v78
	v_addc_co_u32_e32 v1, vcc, v1, v79, vcc
	v_cmp_gt_i64_e32 vcc, v[0:1], v[66:67]
	v_cndmask_b32_e32 v1, v67, v1, vcc
	v_cndmask_b32_e32 v0, v66, v0, vcc
	v_mov_b32_e32 v4, s17
	v_sub_co_u32_e32 v5, vcc, s16, v62
	v_not_b32_e32 v3, v78
	v_subbrev_co_u32_e32 v4, vcc, 0, v4, vcc
	v_not_b32_e32 v2, v79
	v_add_co_u32_e32 v3, vcc, v5, v3
	v_addc_co_u32_e32 v2, vcc, v4, v2, vcc
	v_add_co_u32_e32 v0, vcc, v3, v0
	v_addc_co_u32_e32 v1, vcc, v2, v1, vcc
	v_lshrrev_b32_e32 v2, 3, v0
	v_add_u32_e32 v2, 1, v2
	v_and_b32_e32 v2, 3, v2
	v_pk_mov_b32 v[76:77], 0, 0
	v_cmp_ne_u32_e32 vcc, 0, v2
	s_mov_b64 s[18:19], 0
	v_pk_mov_b32 v[74:75], v[76:77], v[76:77] op_sel:[0,1]
	v_pk_mov_b32 v[72:73], v[76:77], v[76:77] op_sel:[0,1]
	;; [unrolled: 1-line block ×5, first 2 shown]
	s_and_saveexec_b64 s[14:15], vcc
	s_cbranch_execz .LBB26_19
; %bb.16:
	v_lshlrev_b64 v[4:5], 2, v[64:65]
	v_mov_b32_e32 v6, s13
	v_add_co_u32_e32 v4, vcc, s12, v4
	v_pk_mov_b32 v[70:71], 0, 0
	v_mov_b32_e32 v3, 0
	v_addc_co_u32_e32 v5, vcc, v6, v5, vcc
	v_lshlrev_b32_e32 v2, 5, v2
	s_movk_i32 s20, 0x400
	v_mov_b32_e32 v6, s7
	v_pk_mov_b32 v[82:83], v[68:69], v[68:69] op_sel:[0,1]
	v_pk_mov_b32 v[80:81], v[64:65], v[64:65] op_sel:[0,1]
	;; [unrolled: 1-line block ×5, first 2 shown]
.LBB26_17:                              ; =>This Inner Loop Header: Depth=1
	global_load_dword v7, v[4:5], off
	global_load_dwordx4 v[8:11], v[82:83], off offset:48
	global_load_dwordx4 v[12:15], v[82:83], off offset:32
	;; [unrolled: 1-line block ×3, first 2 shown]
	global_load_dwordx4 v[20:23], v[82:83], off
	global_load_dwordx4 v[24:27], v[82:83], off offset:112
	global_load_dwordx4 v[28:31], v[82:83], off offset:96
	;; [unrolled: 1-line block ×4, first 2 shown]
	v_add_co_u32_e64 v80, s[2:3], 8, v80
	v_addc_co_u32_e64 v81, s[2:3], 0, v81, s[2:3]
	v_add_co_u32_e64 v4, s[2:3], 32, v4
	v_addc_co_u32_e64 v5, s[2:3], 0, v5, s[2:3]
	s_waitcnt vmcnt(8)
	v_subrev_u32_e32 v7, s16, v7
	v_lshlrev_b32_e32 v40, 2, v7
	v_ashrrev_i32_e32 v41, 31, v40
	v_lshlrev_b64 v[40:41], 3, v[40:41]
	v_add_co_u32_e32 v48, vcc, s6, v40
	v_addc_co_u32_e32 v49, vcc, v6, v41, vcc
	global_load_dwordx4 v[40:43], v[48:49], off
	global_load_dwordx4 v[44:47], v[48:49], off offset:16
	v_add_co_u32_e32 v82, vcc, s20, v82
	v_addc_co_u32_e32 v83, vcc, 0, v83, vcc
	v_add_co_u32_e32 v2, vcc, 0xffffffe0, v2
	v_addc_co_u32_e32 v3, vcc, -1, v3, vcc
	v_cmp_eq_u64_e32 vcc, 0, v[2:3]
	s_or_b64 s[18:19], vcc, s[18:19]
	s_waitcnt vmcnt(1)
	v_fmac_f64_e32 v[76:77], v[20:21], v[40:41]
	v_fmac_f64_e32 v[74:75], v[12:13], v[40:41]
	v_fmac_f64_e32 v[72:73], v[36:37], v[40:41]
	v_fmac_f64_e32 v[70:71], v[28:29], v[40:41]
	v_fmac_f64_e32 v[76:77], v[22:23], v[42:43]
	v_fmac_f64_e32 v[74:75], v[14:15], v[42:43]
	v_fmac_f64_e32 v[72:73], v[38:39], v[42:43]
	v_fmac_f64_e32 v[70:71], v[30:31], v[42:43]
	s_waitcnt vmcnt(0)
	v_fmac_f64_e32 v[76:77], v[16:17], v[44:45]
	v_fmac_f64_e32 v[74:75], v[8:9], v[44:45]
	;; [unrolled: 1-line block ×8, first 2 shown]
	s_andn2_b64 exec, exec, s[18:19]
	s_cbranch_execnz .LBB26_17
; %bb.18:
	s_or_b64 exec, exec, s[18:19]
.LBB26_19:
	s_or_b64 exec, exec, s[14:15]
	v_cmp_lt_u64_e32 vcc, 23, v[0:1]
	s_and_saveexec_b64 s[14:15], vcc
	s_cbranch_execz .LBB26_23
; %bb.20:
	v_lshlrev_b64 v[0:1], 2, v[80:81]
	v_mov_b32_e32 v2, s13
	v_add_co_u32_e32 v0, vcc, s12, v0
	v_addc_co_u32_e32 v1, vcc, v1, v2, vcc
	v_add_co_u32_e32 v84, vcc, 64, v0
	v_addc_co_u32_e32 v85, vcc, 0, v1, vcc
	s_mov_b64 s[18:19], 0
	v_mov_b32_e32 v61, s7
	s_movk_i32 s20, 0x1000
.LBB26_21:                              ; =>This Inner Loop Header: Depth=1
	global_load_dword v63, v[84:85], off offset:-64
	global_load_dwordx4 v[4:7], v[82:83], off offset:48
	global_load_dwordx4 v[16:19], v[82:83], off offset:32
	;; [unrolled: 1-line block ×3, first 2 shown]
	global_load_dwordx4 v[86:89], v[82:83], off
	global_load_dwordx4 v[28:31], v[82:83], off offset:112
	global_load_dwordx4 v[32:35], v[82:83], off offset:96
	;; [unrolled: 1-line block ×11, first 2 shown]
	s_waitcnt vmcnt(15)
	v_subrev_u32_e32 v63, s16, v63
	v_lshlrev_b32_e32 v90, 2, v63
	v_ashrrev_i32_e32 v91, 31, v90
	v_lshlrev_b64 v[90:91], 3, v[90:91]
	v_add_co_u32_e32 v94, vcc, s6, v90
	v_addc_co_u32_e32 v95, vcc, v61, v91, vcc
	global_load_dwordx4 v[90:93], v[94:95], off
	s_waitcnt vmcnt(0)
	v_fmac_f64_e32 v[76:77], v[86:87], v[90:91]
	v_fmac_f64_e32 v[74:75], v[16:17], v[90:91]
	;; [unrolled: 1-line block ×5, first 2 shown]
	global_load_dwordx4 v[86:89], v[82:83], off offset:1088
	global_load_dword v63, v[84:85], off offset:-32
	global_load_dword v100, v[84:85], off
	v_fmac_f64_e32 v[74:75], v[18:19], v[92:93]
	global_load_dword v101, v[84:85], off offset:32
	v_fmac_f64_e32 v[72:73], v[46:47], v[92:93]
	global_load_dwordx4 v[16:19], v[82:83], off offset:2096
	v_fmac_f64_e32 v[70:71], v[34:35], v[92:93]
	global_load_dwordx4 v[90:93], v[82:83], off offset:2080
	global_load_dwordx4 v[32:35], v[82:83], off offset:2064
	;; [unrolled: 1-line block ×3, first 2 shown]
	s_waitcnt vmcnt(0)
	v_fmac_f64_e32 v[72:73], v[36:37], v[44:45]
	v_subrev_u32_e32 v36, s16, v63
	v_lshlrev_b32_e32 v36, 2, v36
	v_ashrrev_i32_e32 v37, 31, v36
	v_lshlrev_b64 v[36:37], 3, v[36:37]
	v_add_co_u32_e32 v98, vcc, s6, v36
	v_fmac_f64_e32 v[76:77], v[8:9], v[44:45]
	v_fmac_f64_e32 v[74:75], v[4:5], v[44:45]
	;; [unrolled: 1-line block ×3, first 2 shown]
	v_addc_co_u32_e32 v99, vcc, v61, v37, vcc
	v_fmac_f64_e32 v[76:77], v[10:11], v[46:47]
	v_fmac_f64_e32 v[74:75], v[6:7], v[46:47]
	;; [unrolled: 1-line block ×4, first 2 shown]
	global_load_dwordx4 v[44:47], v[98:99], off
	global_load_dwordx4 v[94:97], v[82:83], off offset:2048
	global_load_dwordx4 v[4:7], v[82:83], off offset:2160
	;; [unrolled: 1-line block ×5, first 2 shown]
	s_waitcnt vmcnt(5)
	v_fmac_f64_e32 v[76:77], v[48:49], v[44:45]
	v_fmac_f64_e32 v[74:75], v[40:41], v[44:45]
	;; [unrolled: 1-line block ×5, first 2 shown]
	global_load_dwordx4 v[48:51], v[82:83], off offset:2112
	v_fmac_f64_e32 v[74:75], v[42:43], v[46:47]
	v_fmac_f64_e32 v[72:73], v[88:89], v[46:47]
	global_load_dwordx4 v[40:43], v[82:83], off offset:3104
	v_fmac_f64_e32 v[70:71], v[54:55], v[46:47]
	global_load_dwordx4 v[44:47], v[82:83], off offset:3088
	global_load_dwordx4 v[52:55], v[98:99], off offset:16
	;; [unrolled: 1-line block ×3, first 2 shown]
	s_waitcnt vmcnt(1)
	v_fmac_f64_e32 v[76:77], v[24:25], v[52:53]
	v_fmac_f64_e32 v[74:75], v[0:1], v[52:53]
	;; [unrolled: 1-line block ×4, first 2 shown]
	v_subrev_u32_e32 v52, s16, v100
	v_subrev_u32_e32 v53, s16, v101
	v_lshlrev_b32_e32 v52, 2, v52
	v_fmac_f64_e32 v[76:77], v[26:27], v[54:55]
	v_fmac_f64_e32 v[74:75], v[2:3], v[54:55]
	;; [unrolled: 1-line block ×4, first 2 shown]
	v_lshlrev_b32_e32 v54, 2, v53
	v_ashrrev_i32_e32 v53, 31, v52
	v_ashrrev_i32_e32 v55, 31, v54
	v_lshlrev_b64 v[52:53], 3, v[52:53]
	v_lshlrev_b64 v[54:55], 3, v[54:55]
	v_add_co_u32_e32 v98, vcc, s6, v52
	v_add_co_u32_e64 v100, s[2:3], s6, v54
	v_addc_co_u32_e32 v99, vcc, v61, v53, vcc
	v_addc_co_u32_e64 v101, vcc, v61, v55, s[2:3]
	global_load_dwordx4 v[52:55], v[98:99], off
	global_load_dwordx4 v[24:27], v[82:83], off offset:3072
	global_load_dwordx4 v[20:23], v[82:83], off offset:3168
	;; [unrolled: 1-line block ×4, first 2 shown]
	v_add_co_u32_e32 v82, vcc, s20, v82
	s_mov_b64 s[2:3], vcc
	v_add_co_u32_e32 v80, vcc, 32, v80
	v_addc_co_u32_e32 v81, vcc, 0, v81, vcc
	v_addc_co_u32_e64 v83, s[2:3], 0, v83, s[2:3]
	v_add_co_u32_e32 v84, vcc, 0x80, v84
	v_cmp_ge_i64_e64 s[2:3], v[80:81], v[66:67]
	v_addc_co_u32_e32 v85, vcc, 0, v85, vcc
	s_or_b64 s[18:19], s[2:3], s[18:19]
	s_waitcnt vmcnt(4)
	v_fmac_f64_e32 v[74:75], v[90:91], v[52:53]
	v_fmac_f64_e32 v[74:75], v[92:93], v[54:55]
	global_load_dwordx4 v[90:93], v[98:99], off offset:16
	v_fmac_f64_e32 v[76:77], v[94:95], v[52:53]
	v_fmac_f64_e32 v[72:73], v[48:49], v[52:53]
	;; [unrolled: 1-line block ×4, first 2 shown]
	global_load_dwordx4 v[48:51], v[100:101], off
	global_load_dwordx4 v[94:97], v[100:101], off offset:16
	v_fmac_f64_e32 v[70:71], v[8:9], v[52:53]
	v_fmac_f64_e32 v[70:71], v[10:11], v[54:55]
	s_waitcnt vmcnt(2)
	v_fmac_f64_e32 v[76:77], v[32:33], v[90:91]
	v_fmac_f64_e32 v[74:75], v[16:17], v[90:91]
	v_fmac_f64_e32 v[72:73], v[28:29], v[90:91]
	v_fmac_f64_e32 v[70:71], v[4:5], v[90:91]
	v_fmac_f64_e32 v[76:77], v[34:35], v[92:93]
	v_fmac_f64_e32 v[74:75], v[18:19], v[92:93]
	v_fmac_f64_e32 v[72:73], v[30:31], v[92:93]
	v_fmac_f64_e32 v[70:71], v[6:7], v[92:93]
	s_waitcnt vmcnt(1)
	v_fmac_f64_e32 v[76:77], v[24:25], v[48:49]
	v_fmac_f64_e32 v[74:75], v[40:41], v[48:49]
	v_fmac_f64_e32 v[72:73], v[86:87], v[48:49]
	v_fmac_f64_e32 v[70:71], v[20:21], v[48:49]
	v_fmac_f64_e32 v[76:77], v[26:27], v[50:51]
	v_fmac_f64_e32 v[74:75], v[42:43], v[50:51]
	;; [unrolled: 9-line block ×3, first 2 shown]
	v_fmac_f64_e32 v[72:73], v[14:15], v[96:97]
	v_fmac_f64_e32 v[70:71], v[2:3], v[96:97]
	s_andn2_b64 exec, exec, s[18:19]
	s_cbranch_execnz .LBB26_21
; %bb.22:
	s_or_b64 exec, exec, s[18:19]
.LBB26_23:
	s_or_b64 exec, exec, s[14:15]
.LBB26_24:
	s_or_b64 exec, exec, s[10:11]
	s_andn2_b64 vcc, exec, s[8:9]
	s_cbranch_vccz .LBB26_26
	s_branch .LBB26_37
.LBB26_25:
                                        ; implicit-def: $vgpr70_vgpr71
                                        ; implicit-def: $vgpr72_vgpr73
                                        ; implicit-def: $vgpr74_vgpr75
                                        ; implicit-def: $vgpr76_vgpr77
.LBB26_26:
	v_pk_mov_b32 v[70:71], 0, 0
	v_pk_mov_b32 v[72:73], v[70:71], v[70:71] op_sel:[0,1]
	v_pk_mov_b32 v[74:75], v[70:71], v[70:71] op_sel:[0,1]
	;; [unrolled: 1-line block ×3, first 2 shown]
	s_and_saveexec_b64 s[2:3], s[0:1]
	s_cbranch_execz .LBB26_36
; %bb.27:
	v_or_b32_e32 v0, 8, v62
	v_mov_b32_e32 v1, s17
	v_subrev_co_u32_e32 v0, vcc, s16, v0
	v_subb_co_u32_e32 v1, vcc, 0, v1, vcc
	v_add_co_u32_e32 v0, vcc, v0, v78
	v_addc_co_u32_e32 v1, vcc, v1, v79, vcc
	v_cmp_gt_i64_e32 vcc, v[0:1], v[66:67]
	v_cndmask_b32_e32 v1, v67, v1, vcc
	v_cndmask_b32_e32 v0, v66, v0, vcc
	v_mov_b32_e32 v4, s17
	v_sub_co_u32_e32 v5, vcc, s16, v62
	v_not_b32_e32 v3, v78
	v_subbrev_co_u32_e32 v4, vcc, 0, v4, vcc
	v_not_b32_e32 v2, v79
	v_add_co_u32_e32 v3, vcc, v5, v3
	v_addc_co_u32_e32 v2, vcc, v4, v2, vcc
	v_add_co_u32_e32 v0, vcc, v3, v0
	v_addc_co_u32_e32 v1, vcc, v2, v1, vcc
	v_lshrrev_b32_e32 v2, 3, v0
	v_add_u32_e32 v2, 1, v2
	v_and_b32_e32 v2, 3, v2
	v_pk_mov_b32 v[76:77], 0, 0
	v_cmp_ne_u32_e32 vcc, 0, v2
	s_mov_b64 s[10:11], 0
	v_pk_mov_b32 v[74:75], v[76:77], v[76:77] op_sel:[0,1]
	v_pk_mov_b32 v[72:73], v[76:77], v[76:77] op_sel:[0,1]
	;; [unrolled: 1-line block ×3, first 2 shown]
	s_and_saveexec_b64 s[8:9], vcc
	s_cbranch_execz .LBB26_31
; %bb.28:
	v_lshlrev_b64 v[4:5], 2, v[64:65]
	v_mov_b32_e32 v6, s13
	v_add_co_u32_e32 v4, vcc, s12, v4
	v_pk_mov_b32 v[70:71], 0, 0
	v_mov_b32_e32 v3, 0
	v_addc_co_u32_e32 v5, vcc, v6, v5, vcc
	v_lshlrev_b32_e32 v2, 5, v2
	s_movk_i32 s14, 0x400
	v_mov_b32_e32 v6, s7
	v_pk_mov_b32 v[72:73], v[70:71], v[70:71] op_sel:[0,1]
	v_pk_mov_b32 v[74:75], v[70:71], v[70:71] op_sel:[0,1]
	;; [unrolled: 1-line block ×3, first 2 shown]
.LBB26_29:                              ; =>This Inner Loop Header: Depth=1
	global_load_dword v7, v[4:5], off
	global_load_dwordx4 v[8:11], v[68:69], off offset:48
	global_load_dwordx4 v[12:15], v[68:69], off offset:32
	global_load_dwordx4 v[16:19], v[68:69], off offset:16
	global_load_dwordx4 v[20:23], v[68:69], off
	global_load_dwordx4 v[24:27], v[68:69], off offset:80
	global_load_dwordx4 v[28:31], v[68:69], off offset:64
	v_add_co_u32_e64 v64, s[0:1], 8, v64
	v_addc_co_u32_e64 v65, s[0:1], 0, v65, s[0:1]
	v_add_co_u32_e64 v4, s[0:1], 32, v4
	v_addc_co_u32_e64 v5, s[0:1], 0, v5, s[0:1]
	s_waitcnt vmcnt(6)
	v_subrev_u32_e32 v7, s16, v7
	v_lshlrev_b32_e32 v32, 2, v7
	v_ashrrev_i32_e32 v33, 31, v32
	v_lshlrev_b64 v[32:33], 3, v[32:33]
	v_add_co_u32_e32 v48, vcc, s6, v32
	v_addc_co_u32_e32 v49, vcc, v6, v33, vcc
	global_load_dwordx4 v[32:35], v[48:49], off
	global_load_dwordx4 v[36:39], v[48:49], off offset:16
	global_load_dwordx4 v[40:43], v[68:69], off offset:96
	;; [unrolled: 1-line block ×3, first 2 shown]
	v_add_co_u32_e32 v68, vcc, s14, v68
	v_addc_co_u32_e32 v69, vcc, 0, v69, vcc
	v_add_co_u32_e32 v2, vcc, 0xffffffe0, v2
	v_addc_co_u32_e32 v3, vcc, -1, v3, vcc
	v_cmp_eq_u64_e32 vcc, 0, v[2:3]
	s_or_b64 s[10:11], vcc, s[10:11]
	s_waitcnt vmcnt(3)
	v_fmac_f64_e32 v[76:77], v[20:21], v[32:33]
	v_fmac_f64_e32 v[74:75], v[22:23], v[32:33]
	;; [unrolled: 1-line block ×8, first 2 shown]
	s_waitcnt vmcnt(2)
	v_fmac_f64_e32 v[76:77], v[28:29], v[36:37]
	v_fmac_f64_e32 v[74:75], v[30:31], v[36:37]
	;; [unrolled: 1-line block ×4, first 2 shown]
	s_waitcnt vmcnt(1)
	v_fmac_f64_e32 v[76:77], v[40:41], v[38:39]
	v_fmac_f64_e32 v[74:75], v[42:43], v[38:39]
	s_waitcnt vmcnt(0)
	v_fmac_f64_e32 v[72:73], v[44:45], v[38:39]
	v_fmac_f64_e32 v[70:71], v[46:47], v[38:39]
	s_andn2_b64 exec, exec, s[10:11]
	s_cbranch_execnz .LBB26_29
; %bb.30:
	s_or_b64 exec, exec, s[10:11]
.LBB26_31:
	s_or_b64 exec, exec, s[8:9]
	v_cmp_lt_u64_e32 vcc, 23, v[0:1]
	s_and_saveexec_b64 s[8:9], vcc
	s_cbranch_execz .LBB26_35
; %bb.32:
	v_lshlrev_b64 v[0:1], 2, v[64:65]
	v_mov_b32_e32 v2, s13
	v_add_co_u32_e32 v0, vcc, s12, v0
	v_addc_co_u32_e32 v1, vcc, v1, v2, vcc
	v_add_co_u32_e32 v48, vcc, 64, v0
	v_addc_co_u32_e32 v49, vcc, 0, v1, vcc
	s_mov_b64 s[10:11], 0
	v_mov_b32_e32 v50, s7
	s_movk_i32 s7, 0x1000
.LBB26_33:                              ; =>This Inner Loop Header: Depth=1
	global_load_dword v51, v[48:49], off offset:-64
	global_load_dwordx4 v[0:3], v[68:69], off offset:48
	global_load_dwordx4 v[4:7], v[68:69], off offset:32
	;; [unrolled: 1-line block ×3, first 2 shown]
	global_load_dwordx4 v[12:15], v[68:69], off
	global_load_dwordx4 v[16:19], v[68:69], off offset:112
	global_load_dwordx4 v[20:23], v[68:69], off offset:96
	;; [unrolled: 1-line block ×8, first 2 shown]
	global_load_dword v61, v[48:49], off offset:-32
	global_load_dword v63, v[48:49], off
	global_load_dword v102, v[48:49], off offset:32
	global_load_dwordx4 v[78:81], v[68:69], off offset:1136
	global_load_dwordx4 v[82:85], v[68:69], off offset:1120
	;; [unrolled: 1-line block ×3, first 2 shown]
	v_add_co_u32_e64 v64, s[0:1], 32, v64
	v_addc_co_u32_e64 v65, s[0:1], 0, v65, s[0:1]
	v_cmp_ge_i64_e64 s[0:1], v[64:65], v[66:67]
	s_or_b64 s[10:11], s[0:1], s[10:11]
	s_waitcnt vmcnt(18)
	v_subrev_u32_e32 v51, s16, v51
	v_lshlrev_b32_e32 v52, 2, v51
	v_ashrrev_i32_e32 v53, 31, v52
	v_lshlrev_b64 v[52:53], 3, v[52:53]
	v_add_co_u32_e32 v94, vcc, s6, v52
	v_addc_co_u32_e32 v95, vcc, v50, v53, vcc
	global_load_dwordx4 v[52:55], v[94:95], off
	s_waitcnt vmcnt(0)
	v_fmac_f64_e32 v[76:77], v[12:13], v[52:53]
	v_fmac_f64_e32 v[74:75], v[14:15], v[52:53]
	;; [unrolled: 1-line block ×8, first 2 shown]
	global_load_dwordx4 v[52:55], v[68:69], off offset:1088
	global_load_dwordx4 v[90:93], v[68:69], off offset:2096
	;; [unrolled: 1-line block ×5, first 2 shown]
	s_waitcnt vmcnt(2)
	v_fmac_f64_e32 v[76:77], v[32:33], v[0:1]
	v_fmac_f64_e32 v[74:75], v[34:35], v[0:1]
	;; [unrolled: 1-line block ×4, first 2 shown]
	v_subrev_u32_e32 v0, s16, v61
	v_lshlrev_b32_e32 v0, 2, v0
	v_ashrrev_i32_e32 v1, 31, v0
	v_lshlrev_b64 v[0:1], 3, v[0:1]
	v_fmac_f64_e32 v[72:73], v[16:17], v[2:3]
	v_add_co_u32_e32 v16, vcc, s6, v0
	v_addc_co_u32_e32 v17, vcc, v50, v1, vcc
	global_load_dwordx4 v[10:13], v[16:17], off
	v_fmac_f64_e32 v[76:77], v[20:21], v[2:3]
	v_fmac_f64_e32 v[74:75], v[22:23], v[2:3]
	v_fmac_f64_e32 v[70:71], v[18:19], v[2:3]
	global_load_dwordx4 v[32:35], v[68:69], off offset:2080
	global_load_dwordx4 v[94:97], v[68:69], off offset:2064
	;; [unrolled: 1-line block ×3, first 2 shown]
	s_waitcnt vmcnt(3)
	v_fmac_f64_e32 v[76:77], v[44:45], v[10:11]
	v_fmac_f64_e32 v[74:75], v[46:47], v[10:11]
	;; [unrolled: 1-line block ×6, first 2 shown]
	global_load_dwordx4 v[8:11], v[68:69], off offset:2128
	v_fmac_f64_e32 v[72:73], v[28:29], v[12:13]
	v_fmac_f64_e32 v[70:71], v[30:31], v[12:13]
	global_load_dwordx4 v[36:39], v[68:69], off offset:2112
	global_load_dwordx4 v[12:15], v[68:69], off offset:3120
	;; [unrolled: 1-line block ×3, first 2 shown]
	v_subrev_u32_e32 v40, s16, v63
	v_lshlrev_b32_e32 v40, 2, v40
	v_ashrrev_i32_e32 v41, 31, v40
	v_lshlrev_b64 v[40:41], 3, v[40:41]
	global_load_dwordx4 v[24:27], v[68:69], off offset:3088
	global_load_dwordx4 v[28:31], v[68:69], off offset:3072
	;; [unrolled: 1-line block ×4, first 2 shown]
	s_waitcnt vmcnt(4)
	v_fmac_f64_e32 v[72:73], v[86:87], v[20:21]
	v_fmac_f64_e32 v[72:73], v[78:79], v[22:23]
	v_add_co_u32_e32 v78, vcc, s6, v40
	v_addc_co_u32_e32 v79, vcc, v50, v41, vcc
	global_load_dwordx4 v[40:43], v[78:79], off
	v_fmac_f64_e32 v[76:77], v[52:53], v[20:21]
	v_fmac_f64_e32 v[74:75], v[54:55], v[20:21]
	global_load_dwordx4 v[52:55], v[68:69], off offset:3136
	v_fmac_f64_e32 v[70:71], v[88:89], v[20:21]
	v_fmac_f64_e32 v[76:77], v[82:83], v[22:23]
	;; [unrolled: 1-line block ×4, first 2 shown]
	global_load_dwordx4 v[20:23], v[68:69], off offset:3168
	s_waitcnt vmcnt(2)
	v_fmac_f64_e32 v[76:77], v[98:99], v[40:41]
	v_fmac_f64_e32 v[74:75], v[100:101], v[40:41]
	;; [unrolled: 1-line block ×4, first 2 shown]
	v_subrev_u32_e32 v40, s16, v102
	v_fmac_f64_e32 v[76:77], v[32:33], v[42:43]
	v_lshlrev_b32_e32 v32, 2, v40
	v_ashrrev_i32_e32 v33, 31, v32
	v_lshlrev_b64 v[32:33], 3, v[32:33]
	v_add_co_u32_e32 v82, vcc, s6, v32
	v_fmac_f64_e32 v[74:75], v[34:35], v[42:43]
	v_addc_co_u32_e32 v83, vcc, v50, v33, vcc
	global_load_dwordx4 v[32:35], v[78:79], off offset:16
	v_fmac_f64_e32 v[72:73], v[90:91], v[42:43]
	v_fmac_f64_e32 v[70:71], v[92:93], v[42:43]
	global_load_dwordx4 v[40:43], v[82:83], off
	global_load_dwordx4 v[78:81], v[82:83], off offset:16
	s_waitcnt vmcnt(2)
	v_fmac_f64_e32 v[76:77], v[36:37], v[32:33]
	v_fmac_f64_e32 v[74:75], v[38:39], v[32:33]
	global_load_dwordx4 v[36:39], v[68:69], off offset:3184
	v_fmac_f64_e32 v[72:73], v[8:9], v[32:33]
	v_fmac_f64_e32 v[70:71], v[10:11], v[32:33]
	;; [unrolled: 1-line block ×6, first 2 shown]
	v_add_co_u32_e32 v68, vcc, s7, v68
	s_waitcnt vmcnt(2)
	v_fmac_f64_e32 v[76:77], v[28:29], v[40:41]
	v_fmac_f64_e32 v[74:75], v[30:31], v[40:41]
	;; [unrolled: 1-line block ×4, first 2 shown]
	v_addc_co_u32_e32 v69, vcc, 0, v69, vcc
	v_fmac_f64_e32 v[76:77], v[16:17], v[42:43]
	v_fmac_f64_e32 v[74:75], v[18:19], v[42:43]
	;; [unrolled: 1-line block ×4, first 2 shown]
	v_add_co_u32_e32 v48, vcc, 0x80, v48
	s_waitcnt vmcnt(1)
	v_fmac_f64_e32 v[76:77], v[52:53], v[78:79]
	v_fmac_f64_e32 v[74:75], v[54:55], v[78:79]
	;; [unrolled: 1-line block ×4, first 2 shown]
	v_addc_co_u32_e32 v49, vcc, 0, v49, vcc
	v_fmac_f64_e32 v[76:77], v[20:21], v[80:81]
	v_fmac_f64_e32 v[74:75], v[22:23], v[80:81]
	s_waitcnt vmcnt(0)
	v_fmac_f64_e32 v[72:73], v[36:37], v[80:81]
	v_fmac_f64_e32 v[70:71], v[38:39], v[80:81]
	s_andn2_b64 exec, exec, s[10:11]
	s_cbranch_execnz .LBB26_33
; %bb.34:
	s_or_b64 exec, exec, s[10:11]
.LBB26_35:
	s_or_b64 exec, exec, s[8:9]
.LBB26_36:
	s_or_b64 exec, exec, s[2:3]
.LBB26_37:
	v_mov_b32_dpp v0, v76 row_shr:1 row_mask:0xf bank_mask:0xf
	v_mov_b32_dpp v1, v77 row_shr:1 row_mask:0xf bank_mask:0xf
	;; [unrolled: 1-line block ×8, first 2 shown]
	v_add_f64 v[0:1], v[76:77], v[0:1]
	v_add_f64 v[4:5], v[74:75], v[4:5]
	;; [unrolled: 1-line block ×4, first 2 shown]
	v_mov_b32_dpp v2, v0 row_shr:2 row_mask:0xf bank_mask:0xf
	v_mov_b32_dpp v3, v1 row_shr:2 row_mask:0xf bank_mask:0xf
	;; [unrolled: 1-line block ×8, first 2 shown]
	v_add_f64 v[0:1], v[0:1], v[2:3]
	v_add_f64 v[4:5], v[4:5], v[6:7]
	;; [unrolled: 1-line block ×4, first 2 shown]
	v_mov_b32_dpp v2, v0 row_shr:4 row_mask:0xf bank_mask:0xe
	v_mov_b32_dpp v3, v1 row_shr:4 row_mask:0xf bank_mask:0xe
	;; [unrolled: 1-line block ×8, first 2 shown]
	v_cmp_eq_u32_e32 vcc, 7, v62
	s_and_b64 exec, exec, vcc
	s_cbranch_execz .LBB26_10
; %bb.38:
	s_load_dwordx2 s[0:1], s[4:5], 0x50
	v_add_f64 v[0:1], v[0:1], v[2:3]
	v_add_f64 v[2:3], v[4:5], v[6:7]
	v_add_f64 v[8:9], v[8:9], v[10:11]
	v_add_f64 v[10:11], v[12:13], v[14:15]
	v_cmp_eq_f64_e32 vcc, 0, v[56:57]
	v_mul_f64 v[4:5], v[58:59], v[0:1]
	v_mul_f64 v[6:7], v[58:59], v[2:3]
	;; [unrolled: 1-line block ×4, first 2 shown]
	v_lshlrev_b32_e32 v8, 2, v60
	s_and_saveexec_b64 s[2:3], vcc
	s_xor_b64 s[2:3], exec, s[2:3]
	s_cbranch_execz .LBB26_40
; %bb.39:
	v_ashrrev_i32_e32 v9, 31, v8
	v_lshlrev_b64 v[8:9], 3, v[8:9]
	s_waitcnt lgkmcnt(0)
	v_mov_b32_e32 v10, s1
	v_add_co_u32_e32 v8, vcc, s0, v8
	v_addc_co_u32_e32 v9, vcc, v10, v9, vcc
	global_store_dwordx4 v[8:9], v[4:7], off
	global_store_dwordx4 v[8:9], v[0:3], off offset:16
                                        ; implicit-def: $vgpr8
                                        ; implicit-def: $vgpr56_vgpr57
                                        ; implicit-def: $vgpr4_vgpr5
                                        ; implicit-def: $vgpr0_vgpr1
.LBB26_40:
	s_andn2_saveexec_b64 s[2:3], s[2:3]
	s_cbranch_execz .LBB26_10
; %bb.41:
	v_ashrrev_i32_e32 v9, 31, v8
	v_lshlrev_b64 v[8:9], 3, v[8:9]
	s_waitcnt lgkmcnt(0)
	v_mov_b32_e32 v10, s1
	v_add_co_u32_e32 v16, vcc, s0, v8
	v_addc_co_u32_e32 v17, vcc, v10, v9, vcc
	global_load_dwordx4 v[8:11], v[16:17], off
	global_load_dwordx4 v[12:15], v[16:17], off offset:16
	s_waitcnt vmcnt(1)
	v_fmac_f64_e32 v[4:5], v[56:57], v[8:9]
	v_fmac_f64_e32 v[6:7], v[56:57], v[10:11]
	s_waitcnt vmcnt(0)
	v_fmac_f64_e32 v[0:1], v[56:57], v[12:13]
	v_fmac_f64_e32 v[2:3], v[56:57], v[14:15]
	global_store_dwordx4 v[16:17], v[4:7], off
	global_store_dwordx4 v[16:17], v[0:3], off offset:16
	s_endpgm
	.section	.rodata,"a",@progbits
	.p2align	6, 0x0
	.amdhsa_kernel _ZN9rocsparseL18bsrxmvn_4x4_kernelILj128ELj8EdlidddEEvT3_20rocsparse_direction_NS_24const_host_device_scalarIT1_EES1_PKS1_PKT2_SA_S7_PKT4_PKT5_S5_PT6_21rocsparse_index_base_b
		.amdhsa_group_segment_fixed_size 0
		.amdhsa_private_segment_fixed_size 0
		.amdhsa_kernarg_size 96
		.amdhsa_user_sgpr_count 6
		.amdhsa_user_sgpr_private_segment_buffer 1
		.amdhsa_user_sgpr_dispatch_ptr 0
		.amdhsa_user_sgpr_queue_ptr 0
		.amdhsa_user_sgpr_kernarg_segment_ptr 1
		.amdhsa_user_sgpr_dispatch_id 0
		.amdhsa_user_sgpr_flat_scratch_init 0
		.amdhsa_user_sgpr_kernarg_preload_length 0
		.amdhsa_user_sgpr_kernarg_preload_offset 0
		.amdhsa_user_sgpr_private_segment_size 0
		.amdhsa_uses_dynamic_stack 0
		.amdhsa_system_sgpr_private_segment_wavefront_offset 0
		.amdhsa_system_sgpr_workgroup_id_x 1
		.amdhsa_system_sgpr_workgroup_id_y 0
		.amdhsa_system_sgpr_workgroup_id_z 0
		.amdhsa_system_sgpr_workgroup_info 0
		.amdhsa_system_vgpr_workitem_id 0
		.amdhsa_next_free_vgpr 103
		.amdhsa_next_free_sgpr 21
		.amdhsa_accum_offset 104
		.amdhsa_reserve_vcc 1
		.amdhsa_reserve_flat_scratch 0
		.amdhsa_float_round_mode_32 0
		.amdhsa_float_round_mode_16_64 0
		.amdhsa_float_denorm_mode_32 3
		.amdhsa_float_denorm_mode_16_64 3
		.amdhsa_dx10_clamp 1
		.amdhsa_ieee_mode 1
		.amdhsa_fp16_overflow 0
		.amdhsa_tg_split 0
		.amdhsa_exception_fp_ieee_invalid_op 0
		.amdhsa_exception_fp_denorm_src 0
		.amdhsa_exception_fp_ieee_div_zero 0
		.amdhsa_exception_fp_ieee_overflow 0
		.amdhsa_exception_fp_ieee_underflow 0
		.amdhsa_exception_fp_ieee_inexact 0
		.amdhsa_exception_int_div_zero 0
	.end_amdhsa_kernel
	.section	.text._ZN9rocsparseL18bsrxmvn_4x4_kernelILj128ELj8EdlidddEEvT3_20rocsparse_direction_NS_24const_host_device_scalarIT1_EES1_PKS1_PKT2_SA_S7_PKT4_PKT5_S5_PT6_21rocsparse_index_base_b,"axG",@progbits,_ZN9rocsparseL18bsrxmvn_4x4_kernelILj128ELj8EdlidddEEvT3_20rocsparse_direction_NS_24const_host_device_scalarIT1_EES1_PKS1_PKT2_SA_S7_PKT4_PKT5_S5_PT6_21rocsparse_index_base_b,comdat
.Lfunc_end26:
	.size	_ZN9rocsparseL18bsrxmvn_4x4_kernelILj128ELj8EdlidddEEvT3_20rocsparse_direction_NS_24const_host_device_scalarIT1_EES1_PKS1_PKT2_SA_S7_PKT4_PKT5_S5_PT6_21rocsparse_index_base_b, .Lfunc_end26-_ZN9rocsparseL18bsrxmvn_4x4_kernelILj128ELj8EdlidddEEvT3_20rocsparse_direction_NS_24const_host_device_scalarIT1_EES1_PKS1_PKT2_SA_S7_PKT4_PKT5_S5_PT6_21rocsparse_index_base_b
                                        ; -- End function
	.section	.AMDGPU.csdata,"",@progbits
; Kernel info:
; codeLenInByte = 3816
; NumSgprs: 25
; NumVgprs: 103
; NumAgprs: 0
; TotalNumVgprs: 103
; ScratchSize: 0
; MemoryBound: 1
; FloatMode: 240
; IeeeMode: 1
; LDSByteSize: 0 bytes/workgroup (compile time only)
; SGPRBlocks: 3
; VGPRBlocks: 12
; NumSGPRsForWavesPerEU: 25
; NumVGPRsForWavesPerEU: 103
; AccumOffset: 104
; Occupancy: 4
; WaveLimiterHint : 1
; COMPUTE_PGM_RSRC2:SCRATCH_EN: 0
; COMPUTE_PGM_RSRC2:USER_SGPR: 6
; COMPUTE_PGM_RSRC2:TRAP_HANDLER: 0
; COMPUTE_PGM_RSRC2:TGID_X_EN: 1
; COMPUTE_PGM_RSRC2:TGID_Y_EN: 0
; COMPUTE_PGM_RSRC2:TGID_Z_EN: 0
; COMPUTE_PGM_RSRC2:TIDIG_COMP_CNT: 0
; COMPUTE_PGM_RSRC3_GFX90A:ACCUM_OFFSET: 25
; COMPUTE_PGM_RSRC3_GFX90A:TG_SPLIT: 0
	.section	.text._ZN9rocsparseL18bsrxmvn_4x4_kernelILj128ELj16EdlidddEEvT3_20rocsparse_direction_NS_24const_host_device_scalarIT1_EES1_PKS1_PKT2_SA_S7_PKT4_PKT5_S5_PT6_21rocsparse_index_base_b,"axG",@progbits,_ZN9rocsparseL18bsrxmvn_4x4_kernelILj128ELj16EdlidddEEvT3_20rocsparse_direction_NS_24const_host_device_scalarIT1_EES1_PKS1_PKT2_SA_S7_PKT4_PKT5_S5_PT6_21rocsparse_index_base_b,comdat
	.globl	_ZN9rocsparseL18bsrxmvn_4x4_kernelILj128ELj16EdlidddEEvT3_20rocsparse_direction_NS_24const_host_device_scalarIT1_EES1_PKS1_PKT2_SA_S7_PKT4_PKT5_S5_PT6_21rocsparse_index_base_b ; -- Begin function _ZN9rocsparseL18bsrxmvn_4x4_kernelILj128ELj16EdlidddEEvT3_20rocsparse_direction_NS_24const_host_device_scalarIT1_EES1_PKS1_PKT2_SA_S7_PKT4_PKT5_S5_PT6_21rocsparse_index_base_b
	.p2align	8
	.type	_ZN9rocsparseL18bsrxmvn_4x4_kernelILj128ELj16EdlidddEEvT3_20rocsparse_direction_NS_24const_host_device_scalarIT1_EES1_PKS1_PKT2_SA_S7_PKT4_PKT5_S5_PT6_21rocsparse_index_base_b,@function
_ZN9rocsparseL18bsrxmvn_4x4_kernelILj128ELj16EdlidddEEvT3_20rocsparse_direction_NS_24const_host_device_scalarIT1_EES1_PKS1_PKT2_SA_S7_PKT4_PKT5_S5_PT6_21rocsparse_index_base_b: ; @_ZN9rocsparseL18bsrxmvn_4x4_kernelILj128ELj16EdlidddEEvT3_20rocsparse_direction_NS_24const_host_device_scalarIT1_EES1_PKS1_PKT2_SA_S7_PKT4_PKT5_S5_PT6_21rocsparse_index_base_b
; %bb.0:
	s_load_dwordx2 s[16:17], s[4:5], 0x58
	s_load_dwordx2 s[8:9], s[4:5], 0x8
	;; [unrolled: 1-line block ×3, first 2 shown]
	s_waitcnt lgkmcnt(0)
	s_bitcmp1_b32 s17, 0
	s_cselect_b64 s[10:11], -1, 0
	s_xor_b64 s[2:3], s[10:11], -1
	s_and_b64 vcc, exec, s[10:11]
	v_pk_mov_b32 v[58:59], s[8:9], s[8:9] op_sel:[0,1]
	s_cbranch_vccnz .LBB27_2
; %bb.1:
	v_pk_mov_b32 v[2:3], s[8:9], s[8:9] op_sel:[0,1]
	flat_load_dwordx2 v[58:59], v[2:3]
.LBB27_2:
	s_andn2_b64 vcc, exec, s[2:3]
	v_pk_mov_b32 v[56:57], s[0:1], s[0:1] op_sel:[0,1]
	s_cbranch_vccnz .LBB27_4
; %bb.3:
	v_pk_mov_b32 v[2:3], s[0:1], s[0:1] op_sel:[0,1]
	flat_load_dwordx2 v[56:57], v[2:3]
.LBB27_4:
	s_waitcnt vmcnt(0) lgkmcnt(0)
	v_cmp_neq_f64_e32 vcc, 0, v[58:59]
	v_cmp_neq_f64_e64 s[0:1], 1.0, v[56:57]
	s_mov_b64 s[2:3], 0
	s_or_b64 s[0:1], vcc, s[0:1]
	s_and_saveexec_b64 s[8:9], s[0:1]
	s_cbranch_execz .LBB27_10
; %bb.5:
	s_load_dwordx2 s[8:9], s[4:5], 0x18
	s_load_dwordx2 s[0:1], s[4:5], 0x0
	v_lshrrev_b32_e32 v1, 4, v0
	v_lshl_or_b32 v60, s6, 3, v1
	s_mov_b64 s[6:7], 0
	s_waitcnt lgkmcnt(0)
	s_cmp_lg_u64 s[8:9], 0
	s_cbranch_scc0 .LBB27_11
; %bb.6:
	s_load_dword s2, s[4:5], 0x10
                                        ; implicit-def: $vgpr1
	s_waitcnt lgkmcnt(0)
	v_cmp_gt_i32_e32 vcc, s2, v60
	s_and_saveexec_b64 s[2:3], vcc
	s_xor_b64 s[2:3], exec, s[2:3]
	s_cbranch_execz .LBB27_8
; %bb.7:
	v_ashrrev_i32_e32 v61, 31, v60
	v_lshlrev_b64 v[2:3], 2, v[60:61]
	v_mov_b32_e32 v1, s9
	v_add_co_u32_e32 v2, vcc, s8, v2
	v_addc_co_u32_e32 v3, vcc, v1, v3, vcc
	global_load_dword v1, v[2:3], off
	s_mov_b64 s[6:7], exec
	s_waitcnt vmcnt(0)
	v_subrev_u32_e32 v1, s16, v1
.LBB27_8:
	s_or_b64 exec, exec, s[2:3]
	s_mov_b64 s[2:3], s[6:7]
	s_branch .LBB27_12
.LBB27_9:
	v_cmp_gt_i32_e32 vcc, s0, v60
	s_andn2_b64 s[2:3], s[2:3], exec
	s_and_b64 s[6:7], vcc, exec
	s_or_b64 s[2:3], s[2:3], s[6:7]
	s_and_b64 exec, exec, s[2:3]
	s_cbranch_execnz .LBB27_13
.LBB27_10:
	s_endpgm
.LBB27_11:
                                        ; implicit-def: $vgpr1
	s_cbranch_execnz .LBB27_9
.LBB27_12:
	v_mov_b32_e32 v60, v1
	s_and_b64 exec, exec, s[2:3]
	s_cbranch_execz .LBB27_10
.LBB27_13:
	s_load_dwordx8 s[8:15], s[4:5], 0x20
	v_ashrrev_i32_e32 v61, 31, v60
	v_lshlrev_b64 v[2:3], 3, v[60:61]
	v_and_b32_e32 v62, 15, v0
	s_mov_b32 s17, 0
	s_waitcnt lgkmcnt(0)
	v_mov_b32_e32 v1, s9
	v_add_co_u32_e32 v4, vcc, s8, v2
	v_addc_co_u32_e32 v5, vcc, v1, v3, vcc
	v_add_co_u32_e32 v1, vcc, 8, v4
	global_load_dwordx2 v[78:79], v[4:5], off
	v_addc_co_u32_e32 v4, vcc, 0, v5, vcc
	v_mov_b32_e32 v5, s11
	v_add_co_u32_e32 v2, vcc, s10, v2
	s_cmp_eq_u64 s[10:11], 0
	v_addc_co_u32_e32 v3, vcc, v5, v3, vcc
	s_cselect_b64 vcc, -1, 0
	v_cndmask_b32_e32 v3, v3, v4, vcc
	v_cndmask_b32_e32 v2, v2, v1, vcc
	global_load_dwordx2 v[2:3], v[2:3], off
	s_load_dwordx2 s[8:9], s[4:5], 0x40
	v_mov_b32_e32 v4, s15
	s_cmp_eq_u32 s1, 1
	s_waitcnt vmcnt(1)
	v_subrev_co_u32_e32 v0, vcc, s16, v78
	v_subbrev_co_u32_e32 v1, vcc, 0, v79, vcc
	v_add_co_u32_e32 v64, vcc, v0, v62
	v_addc_co_u32_e32 v65, vcc, 0, v1, vcc
	v_lshlrev_b64 v[0:1], 7, v[64:65]
	s_waitcnt vmcnt(0)
	v_subrev_co_u32_e32 v66, vcc, s16, v2
	v_subbrev_co_u32_e32 v67, vcc, 0, v3, vcc
	v_add_co_u32_e32 v68, vcc, s14, v0
	v_addc_co_u32_e32 v69, vcc, v4, v1, vcc
	v_cmp_lt_i64_e64 s[0:1], v[64:65], v[66:67]
	s_cbranch_scc1 .LBB27_25
; %bb.14:
	v_pk_mov_b32 v[70:71], 0, 0
	s_mov_b64 s[10:11], 0
	v_pk_mov_b32 v[72:73], v[70:71], v[70:71] op_sel:[0,1]
	v_pk_mov_b32 v[74:75], v[70:71], v[70:71] op_sel:[0,1]
	;; [unrolled: 1-line block ×3, first 2 shown]
	s_and_saveexec_b64 s[14:15], s[0:1]
	s_cbranch_execz .LBB27_24
; %bb.15:
	v_or_b32_e32 v0, 16, v62
	v_mov_b32_e32 v1, s17
	v_subrev_co_u32_e32 v0, vcc, s16, v0
	v_subb_co_u32_e32 v1, vcc, 0, v1, vcc
	v_add_co_u32_e32 v0, vcc, v0, v78
	v_addc_co_u32_e32 v1, vcc, v1, v79, vcc
	v_cmp_gt_i64_e32 vcc, v[0:1], v[66:67]
	v_cndmask_b32_e32 v1, v67, v1, vcc
	v_cndmask_b32_e32 v0, v66, v0, vcc
	v_mov_b32_e32 v4, s17
	v_sub_co_u32_e32 v5, vcc, s16, v62
	v_not_b32_e32 v3, v78
	v_subbrev_co_u32_e32 v4, vcc, 0, v4, vcc
	v_not_b32_e32 v2, v79
	v_add_co_u32_e32 v3, vcc, v5, v3
	v_addc_co_u32_e32 v2, vcc, v4, v2, vcc
	v_add_co_u32_e32 v0, vcc, v3, v0
	v_addc_co_u32_e32 v1, vcc, v2, v1, vcc
	v_lshrrev_b32_e32 v2, 4, v0
	v_add_u32_e32 v2, 1, v2
	v_and_b32_e32 v2, 3, v2
	v_pk_mov_b32 v[76:77], 0, 0
	v_cmp_ne_u32_e32 vcc, 0, v2
	s_mov_b64 s[18:19], 0
	v_pk_mov_b32 v[74:75], v[76:77], v[76:77] op_sel:[0,1]
	v_pk_mov_b32 v[72:73], v[76:77], v[76:77] op_sel:[0,1]
	;; [unrolled: 1-line block ×5, first 2 shown]
	s_and_saveexec_b64 s[6:7], vcc
	s_cbranch_execz .LBB27_19
; %bb.16:
	v_lshlrev_b64 v[4:5], 2, v[64:65]
	v_mov_b32_e32 v6, s13
	v_add_co_u32_e32 v4, vcc, s12, v4
	v_pk_mov_b32 v[70:71], 0, 0
	v_mov_b32_e32 v3, 0
	v_addc_co_u32_e32 v5, vcc, v6, v5, vcc
	v_lshlrev_b32_e32 v2, 5, v2
	s_movk_i32 s20, 0x800
	s_waitcnt lgkmcnt(0)
	v_mov_b32_e32 v6, s9
	v_pk_mov_b32 v[82:83], v[68:69], v[68:69] op_sel:[0,1]
	v_pk_mov_b32 v[80:81], v[64:65], v[64:65] op_sel:[0,1]
	;; [unrolled: 1-line block ×5, first 2 shown]
.LBB27_17:                              ; =>This Inner Loop Header: Depth=1
	global_load_dword v7, v[4:5], off
	global_load_dwordx4 v[8:11], v[82:83], off offset:48
	global_load_dwordx4 v[12:15], v[82:83], off offset:32
	;; [unrolled: 1-line block ×3, first 2 shown]
	global_load_dwordx4 v[20:23], v[82:83], off
	global_load_dwordx4 v[24:27], v[82:83], off offset:112
	global_load_dwordx4 v[28:31], v[82:83], off offset:96
	;; [unrolled: 1-line block ×4, first 2 shown]
	v_add_co_u32_e64 v80, s[2:3], 16, v80
	v_addc_co_u32_e64 v81, s[2:3], 0, v81, s[2:3]
	v_add_co_u32_e64 v4, s[2:3], 64, v4
	v_addc_co_u32_e64 v5, s[2:3], 0, v5, s[2:3]
	s_waitcnt vmcnt(8)
	v_subrev_u32_e32 v7, s16, v7
	v_lshlrev_b32_e32 v40, 2, v7
	v_ashrrev_i32_e32 v41, 31, v40
	v_lshlrev_b64 v[40:41], 3, v[40:41]
	v_add_co_u32_e32 v48, vcc, s8, v40
	v_addc_co_u32_e32 v49, vcc, v6, v41, vcc
	global_load_dwordx4 v[40:43], v[48:49], off
	global_load_dwordx4 v[44:47], v[48:49], off offset:16
	v_add_co_u32_e32 v82, vcc, s20, v82
	v_addc_co_u32_e32 v83, vcc, 0, v83, vcc
	v_add_co_u32_e32 v2, vcc, 0xffffffe0, v2
	v_addc_co_u32_e32 v3, vcc, -1, v3, vcc
	v_cmp_eq_u64_e32 vcc, 0, v[2:3]
	s_or_b64 s[18:19], vcc, s[18:19]
	s_waitcnt vmcnt(1)
	v_fmac_f64_e32 v[76:77], v[20:21], v[40:41]
	v_fmac_f64_e32 v[74:75], v[12:13], v[40:41]
	;; [unrolled: 1-line block ×8, first 2 shown]
	s_waitcnt vmcnt(0)
	v_fmac_f64_e32 v[76:77], v[16:17], v[44:45]
	v_fmac_f64_e32 v[74:75], v[8:9], v[44:45]
	v_fmac_f64_e32 v[72:73], v[32:33], v[44:45]
	v_fmac_f64_e32 v[70:71], v[24:25], v[44:45]
	v_fmac_f64_e32 v[76:77], v[18:19], v[46:47]
	v_fmac_f64_e32 v[74:75], v[10:11], v[46:47]
	v_fmac_f64_e32 v[72:73], v[34:35], v[46:47]
	v_fmac_f64_e32 v[70:71], v[26:27], v[46:47]
	s_andn2_b64 exec, exec, s[18:19]
	s_cbranch_execnz .LBB27_17
; %bb.18:
	s_or_b64 exec, exec, s[18:19]
.LBB27_19:
	s_or_b64 exec, exec, s[6:7]
	v_cmp_lt_u64_e32 vcc, 47, v[0:1]
	s_and_saveexec_b64 s[18:19], vcc
	s_cbranch_execz .LBB27_23
; %bb.20:
	v_lshlrev_b64 v[0:1], 2, v[80:81]
	v_mov_b32_e32 v2, s13
	v_add_co_u32_e32 v0, vcc, s12, v0
	v_addc_co_u32_e32 v1, vcc, v1, v2, vcc
	v_add_co_u32_e32 v84, vcc, 0x80, v0
	v_addc_co_u32_e32 v85, vcc, 0, v1, vcc
	s_mov_b64 s[20:21], 0
	s_waitcnt lgkmcnt(0)
	v_mov_b32_e32 v61, s9
	s_movk_i32 s22, 0x1000
.LBB27_21:                              ; =>This Inner Loop Header: Depth=1
	global_load_dword v63, v[84:85], off offset:-128
	global_load_dwordx4 v[0:3], v[82:83], off offset:48
	global_load_dwordx4 v[12:15], v[82:83], off offset:32
	;; [unrolled: 1-line block ×3, first 2 shown]
	global_load_dwordx4 v[86:89], v[82:83], off
	global_load_dwordx4 v[28:31], v[82:83], off offset:112
	global_load_dwordx4 v[36:39], v[82:83], off offset:96
	;; [unrolled: 1-line block ×12, first 2 shown]
	v_add_co_u32_e64 v80, s[2:3], 64, v80
	s_waitcnt vmcnt(16)
	v_subrev_u32_e32 v63, s16, v63
	v_lshlrev_b32_e32 v90, 2, v63
	v_ashrrev_i32_e32 v91, 31, v90
	v_lshlrev_b64 v[90:91], 3, v[90:91]
	v_add_co_u32_e32 v98, vcc, s8, v90
	v_addc_co_u32_e32 v99, vcc, v61, v91, vcc
	global_load_dwordx4 v[90:93], v[98:99], off
	global_load_dword v63, v[84:85], off offset:-64
	global_load_dword v102, v[84:85], off
	global_load_dword v103, v[84:85], off offset:64
	s_waitcnt vmcnt(3)
	v_fmac_f64_e32 v[76:77], v[86:87], v[90:91]
	v_add_co_u32_e32 v86, vcc, s22, v82
	v_fmac_f64_e32 v[74:75], v[12:13], v[90:91]
	v_addc_co_u32_e32 v87, vcc, 0, v83, vcc
	v_fmac_f64_e32 v[70:71], v[36:37], v[90:91]
	v_fmac_f64_e32 v[76:77], v[88:89], v[92:93]
	;; [unrolled: 1-line block ×4, first 2 shown]
	global_load_dwordx4 v[12:15], v[86:87], off offset:48
	v_fmac_f64_e32 v[70:71], v[38:39], v[92:93]
	global_load_dwordx4 v[88:91], v[86:87], off offset:32
	global_load_dwordx4 v[36:39], v[98:99], off offset:16
	v_fmac_f64_e32 v[72:73], v[46:47], v[92:93]
	global_load_dwordx4 v[98:101], v[86:87], off
	s_waitcnt vmcnt(1)
	v_fmac_f64_e32 v[72:73], v[32:33], v[36:37]
	v_subrev_u32_e32 v32, s16, v63
	v_lshlrev_b32_e32 v32, 2, v32
	v_ashrrev_i32_e32 v33, 31, v32
	v_lshlrev_b64 v[32:33], 3, v[32:33]
	v_add_co_u32_e32 v92, vcc, s8, v32
	v_addc_co_u32_e32 v93, vcc, v61, v33, vcc
	global_load_dwordx4 v[44:47], v[92:93], off
	v_fmac_f64_e32 v[76:77], v[4:5], v[36:37]
	v_fmac_f64_e32 v[74:75], v[0:1], v[36:37]
	;; [unrolled: 1-line block ×5, first 2 shown]
	global_load_dwordx4 v[0:3], v[86:87], off offset:16
	v_fmac_f64_e32 v[72:73], v[34:35], v[38:39]
	v_fmac_f64_e32 v[70:71], v[30:31], v[38:39]
	global_load_dwordx4 v[4:7], v[86:87], off offset:112
	global_load_dwordx4 v[28:31], v[86:87], off offset:96
	;; [unrolled: 1-line block ×4, first 2 shown]
	v_subrev_u32_e32 v63, s16, v102
	s_waitcnt vmcnt(5)
	v_fmac_f64_e32 v[76:77], v[48:49], v[44:45]
	v_fmac_f64_e32 v[74:75], v[40:41], v[44:45]
	;; [unrolled: 1-line block ×5, first 2 shown]
	global_load_dwordx4 v[48:51], v[86:87], off offset:64
	v_fmac_f64_e32 v[74:75], v[42:43], v[46:47]
	v_fmac_f64_e32 v[72:73], v[96:97], v[46:47]
	;; [unrolled: 1-line block ×3, first 2 shown]
	global_load_dwordx4 v[44:47], v[86:87], off offset:2080
	global_load_dwordx4 v[40:43], v[86:87], off offset:2064
	;; [unrolled: 1-line block ×3, first 2 shown]
	s_waitcnt vmcnt(0)
	v_fmac_f64_e32 v[70:71], v[8:9], v[52:53]
	v_lshlrev_b32_e32 v8, 2, v63
	v_ashrrev_i32_e32 v9, 31, v8
	v_lshlrev_b64 v[8:9], 3, v[8:9]
	v_add_co_u32_e32 v96, vcc, s8, v8
	v_addc_co_u32_e32 v97, vcc, v61, v9, vcc
	v_fmac_f64_e32 v[70:71], v[10:11], v[54:55]
	global_load_dwordx4 v[8:11], v[96:97], off
	v_subrev_u32_e32 v63, s16, v103
	v_fmac_f64_e32 v[76:77], v[24:25], v[52:53]
	v_lshlrev_b32_e32 v92, 2, v63
	v_fmac_f64_e32 v[76:77], v[26:27], v[54:55]
	v_ashrrev_i32_e32 v93, 31, v92
	v_fmac_f64_e32 v[74:75], v[16:17], v[52:53]
	v_lshlrev_b64 v[92:93], 3, v[92:93]
	v_fmac_f64_e32 v[74:75], v[18:19], v[54:55]
	v_fmac_f64_e32 v[72:73], v[20:21], v[52:53]
	global_load_dwordx4 v[24:27], v[86:87], off offset:2048
	global_load_dwordx4 v[16:19], v[86:87], off offset:2160
	v_fmac_f64_e32 v[72:73], v[22:23], v[54:55]
	global_load_dwordx4 v[20:23], v[86:87], off offset:2144
	global_load_dwordx4 v[52:55], v[86:87], off offset:2128
	s_waitcnt vmcnt(4)
	v_fmac_f64_e32 v[76:77], v[98:99], v[8:9]
	v_fmac_f64_e32 v[76:77], v[100:101], v[10:11]
	v_add_co_u32_e32 v100, vcc, s8, v92
	v_addc_co_u32_e32 v101, vcc, v61, v93, vcc
	global_load_dwordx4 v[92:95], v[86:87], off offset:2112
	v_fmac_f64_e32 v[74:75], v[88:89], v[8:9]
	global_load_dwordx4 v[86:89], v[96:97], off offset:16
	v_fmac_f64_e32 v[72:73], v[48:49], v[8:9]
	v_fmac_f64_e32 v[72:73], v[50:51], v[10:11]
	global_load_dwordx4 v[48:51], v[100:101], off
	global_load_dwordx4 v[96:99], v[100:101], off offset:16
	v_fmac_f64_e32 v[70:71], v[28:29], v[8:9]
	v_fmac_f64_e32 v[74:75], v[90:91], v[10:11]
	;; [unrolled: 1-line block ×3, first 2 shown]
	v_add_co_u32_e32 v84, vcc, 0x100, v84
	s_mov_b64 s[6:7], vcc
	v_addc_co_u32_e64 v81, vcc, 0, v81, s[2:3]
	v_addc_co_u32_e64 v85, s[2:3], 0, v85, s[6:7]
	v_add_co_u32_e32 v82, vcc, 0x2000, v82
	v_cmp_ge_i64_e64 s[2:3], v[80:81], v[66:67]
	v_addc_co_u32_e32 v83, vcc, 0, v83, vcc
	s_or_b64 s[20:21], s[2:3], s[20:21]
	s_waitcnt vmcnt(2)
	v_fmac_f64_e32 v[76:77], v[0:1], v[86:87]
	v_fmac_f64_e32 v[74:75], v[12:13], v[86:87]
	v_fmac_f64_e32 v[72:73], v[32:33], v[86:87]
	v_fmac_f64_e32 v[70:71], v[4:5], v[86:87]
	v_fmac_f64_e32 v[76:77], v[2:3], v[88:89]
	v_fmac_f64_e32 v[74:75], v[14:15], v[88:89]
	v_fmac_f64_e32 v[72:73], v[34:35], v[88:89]
	v_fmac_f64_e32 v[70:71], v[6:7], v[88:89]
	s_waitcnt vmcnt(1)
	v_fmac_f64_e32 v[76:77], v[24:25], v[48:49]
	v_fmac_f64_e32 v[74:75], v[44:45], v[48:49]
	v_fmac_f64_e32 v[72:73], v[92:93], v[48:49]
	v_fmac_f64_e32 v[70:71], v[20:21], v[48:49]
	v_fmac_f64_e32 v[76:77], v[26:27], v[50:51]
	v_fmac_f64_e32 v[74:75], v[46:47], v[50:51]
	v_fmac_f64_e32 v[72:73], v[94:95], v[50:51]
	v_fmac_f64_e32 v[70:71], v[22:23], v[50:51]
	;; [unrolled: 9-line block ×3, first 2 shown]
	s_andn2_b64 exec, exec, s[20:21]
	s_cbranch_execnz .LBB27_21
; %bb.22:
	s_or_b64 exec, exec, s[20:21]
.LBB27_23:
	s_or_b64 exec, exec, s[18:19]
.LBB27_24:
	s_or_b64 exec, exec, s[14:15]
	s_andn2_b64 vcc, exec, s[10:11]
	s_cbranch_vccz .LBB27_26
	s_branch .LBB27_37
.LBB27_25:
                                        ; implicit-def: $vgpr70_vgpr71
                                        ; implicit-def: $vgpr72_vgpr73
                                        ; implicit-def: $vgpr74_vgpr75
                                        ; implicit-def: $vgpr76_vgpr77
.LBB27_26:
	v_pk_mov_b32 v[70:71], 0, 0
	v_pk_mov_b32 v[72:73], v[70:71], v[70:71] op_sel:[0,1]
	v_pk_mov_b32 v[74:75], v[70:71], v[70:71] op_sel:[0,1]
	v_pk_mov_b32 v[76:77], v[70:71], v[70:71] op_sel:[0,1]
	s_and_saveexec_b64 s[2:3], s[0:1]
	s_cbranch_execz .LBB27_36
; %bb.27:
	v_or_b32_e32 v0, 16, v62
	v_mov_b32_e32 v1, s17
	v_subrev_co_u32_e32 v0, vcc, s16, v0
	v_subb_co_u32_e32 v1, vcc, 0, v1, vcc
	v_add_co_u32_e32 v0, vcc, v0, v78
	v_addc_co_u32_e32 v1, vcc, v1, v79, vcc
	v_cmp_gt_i64_e32 vcc, v[0:1], v[66:67]
	v_cndmask_b32_e32 v1, v67, v1, vcc
	v_cndmask_b32_e32 v0, v66, v0, vcc
	v_mov_b32_e32 v4, s17
	v_sub_co_u32_e32 v5, vcc, s16, v62
	v_not_b32_e32 v3, v78
	v_subbrev_co_u32_e32 v4, vcc, 0, v4, vcc
	v_not_b32_e32 v2, v79
	v_add_co_u32_e32 v3, vcc, v5, v3
	v_addc_co_u32_e32 v2, vcc, v4, v2, vcc
	v_add_co_u32_e32 v0, vcc, v3, v0
	v_addc_co_u32_e32 v1, vcc, v2, v1, vcc
	v_lshrrev_b32_e32 v2, 4, v0
	v_add_u32_e32 v2, 1, v2
	v_and_b32_e32 v2, 3, v2
	v_pk_mov_b32 v[76:77], 0, 0
	v_cmp_ne_u32_e32 vcc, 0, v2
	s_mov_b64 s[10:11], 0
	v_pk_mov_b32 v[74:75], v[76:77], v[76:77] op_sel:[0,1]
	v_pk_mov_b32 v[72:73], v[76:77], v[76:77] op_sel:[0,1]
	;; [unrolled: 1-line block ×3, first 2 shown]
	s_and_saveexec_b64 s[6:7], vcc
	s_cbranch_execz .LBB27_31
; %bb.28:
	v_lshlrev_b64 v[4:5], 2, v[64:65]
	v_mov_b32_e32 v6, s13
	v_add_co_u32_e32 v4, vcc, s12, v4
	v_pk_mov_b32 v[70:71], 0, 0
	v_mov_b32_e32 v3, 0
	v_addc_co_u32_e32 v5, vcc, v6, v5, vcc
	v_lshlrev_b32_e32 v2, 5, v2
	s_movk_i32 s14, 0x800
	s_waitcnt lgkmcnt(0)
	v_mov_b32_e32 v6, s9
	v_pk_mov_b32 v[72:73], v[70:71], v[70:71] op_sel:[0,1]
	v_pk_mov_b32 v[74:75], v[70:71], v[70:71] op_sel:[0,1]
	;; [unrolled: 1-line block ×3, first 2 shown]
.LBB27_29:                              ; =>This Inner Loop Header: Depth=1
	global_load_dword v7, v[4:5], off
	global_load_dwordx4 v[8:11], v[68:69], off offset:48
	global_load_dwordx4 v[12:15], v[68:69], off offset:32
	;; [unrolled: 1-line block ×3, first 2 shown]
	global_load_dwordx4 v[20:23], v[68:69], off
	global_load_dwordx4 v[24:27], v[68:69], off offset:80
	global_load_dwordx4 v[28:31], v[68:69], off offset:64
	v_add_co_u32_e64 v64, s[0:1], 16, v64
	v_addc_co_u32_e64 v65, s[0:1], 0, v65, s[0:1]
	v_add_co_u32_e64 v4, s[0:1], 64, v4
	v_addc_co_u32_e64 v5, s[0:1], 0, v5, s[0:1]
	s_waitcnt vmcnt(6)
	v_subrev_u32_e32 v7, s16, v7
	v_lshlrev_b32_e32 v32, 2, v7
	v_ashrrev_i32_e32 v33, 31, v32
	v_lshlrev_b64 v[32:33], 3, v[32:33]
	v_add_co_u32_e32 v48, vcc, s8, v32
	v_addc_co_u32_e32 v49, vcc, v6, v33, vcc
	global_load_dwordx4 v[32:35], v[48:49], off
	global_load_dwordx4 v[36:39], v[48:49], off offset:16
	global_load_dwordx4 v[40:43], v[68:69], off offset:96
	global_load_dwordx4 v[44:47], v[68:69], off offset:112
	v_add_co_u32_e32 v68, vcc, s14, v68
	v_addc_co_u32_e32 v69, vcc, 0, v69, vcc
	v_add_co_u32_e32 v2, vcc, 0xffffffe0, v2
	v_addc_co_u32_e32 v3, vcc, -1, v3, vcc
	v_cmp_eq_u64_e32 vcc, 0, v[2:3]
	s_or_b64 s[10:11], vcc, s[10:11]
	s_waitcnt vmcnt(3)
	v_fmac_f64_e32 v[76:77], v[20:21], v[32:33]
	v_fmac_f64_e32 v[74:75], v[22:23], v[32:33]
	;; [unrolled: 1-line block ×8, first 2 shown]
	s_waitcnt vmcnt(2)
	v_fmac_f64_e32 v[76:77], v[28:29], v[36:37]
	v_fmac_f64_e32 v[74:75], v[30:31], v[36:37]
	;; [unrolled: 1-line block ×4, first 2 shown]
	s_waitcnt vmcnt(1)
	v_fmac_f64_e32 v[76:77], v[40:41], v[38:39]
	v_fmac_f64_e32 v[74:75], v[42:43], v[38:39]
	s_waitcnt vmcnt(0)
	v_fmac_f64_e32 v[72:73], v[44:45], v[38:39]
	v_fmac_f64_e32 v[70:71], v[46:47], v[38:39]
	s_andn2_b64 exec, exec, s[10:11]
	s_cbranch_execnz .LBB27_29
; %bb.30:
	s_or_b64 exec, exec, s[10:11]
.LBB27_31:
	s_or_b64 exec, exec, s[6:7]
	v_cmp_lt_u64_e32 vcc, 47, v[0:1]
	s_and_saveexec_b64 s[6:7], vcc
	s_cbranch_execz .LBB27_35
; %bb.32:
	v_lshlrev_b64 v[0:1], 2, v[64:65]
	v_mov_b32_e32 v2, s13
	v_add_co_u32_e32 v0, vcc, s12, v0
	v_addc_co_u32_e32 v1, vcc, v1, v2, vcc
	v_add_co_u32_e32 v48, vcc, 0x80, v0
	v_addc_co_u32_e32 v49, vcc, 0, v1, vcc
	s_mov_b64 s[10:11], 0
	s_waitcnt lgkmcnt(0)
	v_mov_b32_e32 v52, s9
	s_movk_i32 s9, 0x1000
.LBB27_33:                              ; =>This Inner Loop Header: Depth=1
	global_load_dword v50, v[48:49], off offset:-128
	global_load_dwordx4 v[0:3], v[68:69], off offset:48
	global_load_dwordx4 v[4:7], v[68:69], off offset:32
	;; [unrolled: 1-line block ×3, first 2 shown]
	global_load_dwordx4 v[12:15], v[68:69], off
	global_load_dwordx4 v[16:19], v[68:69], off offset:112
	global_load_dwordx4 v[20:23], v[68:69], off offset:96
	;; [unrolled: 1-line block ×8, first 2 shown]
	global_load_dword v53, v[48:49], off offset:-64
	global_load_dword v61, v[48:49], off
	global_load_dword v63, v[48:49], off offset:64
	global_load_dwordx4 v[82:85], v[68:69], off offset:2160
	global_load_dwordx4 v[86:89], v[68:69], off offset:2144
	;; [unrolled: 1-line block ×3, first 2 shown]
	s_waitcnt vmcnt(18)
	v_subrev_u32_e32 v50, s16, v50
	v_lshlrev_b32_e32 v50, 2, v50
	v_ashrrev_i32_e32 v51, 31, v50
	v_lshlrev_b64 v[50:51], 3, v[50:51]
	v_add_co_u32_e32 v54, vcc, s8, v50
	v_addc_co_u32_e32 v55, vcc, v52, v51, vcc
	global_load_dwordx4 v[78:81], v[54:55], off
	v_add_co_u32_e32 v50, vcc, s9, v68
	v_addc_co_u32_e32 v51, vcc, 0, v69, vcc
	global_load_dwordx4 v[94:97], v[50:51], off offset:16
	s_waitcnt vmcnt(1)
	v_fmac_f64_e32 v[72:73], v[8:9], v[78:79]
	v_fmac_f64_e32 v[70:71], v[10:11], v[78:79]
	;; [unrolled: 1-line block ×4, first 2 shown]
	global_load_dwordx4 v[0:3], v[54:55], off offset:16
	v_fmac_f64_e32 v[76:77], v[12:13], v[78:79]
	v_fmac_f64_e32 v[74:75], v[14:15], v[78:79]
	;; [unrolled: 1-line block ×4, first 2 shown]
	global_load_dwordx4 v[12:15], v[68:69], off offset:2112
	global_load_dwordx4 v[78:81], v[50:51], off
	global_load_dwordx4 v[4:7], v[50:51], off offset:96
	global_load_dwordx4 v[8:11], v[50:51], off offset:80
	s_waitcnt vmcnt(4)
	v_fmac_f64_e32 v[76:77], v[32:33], v[0:1]
	v_fmac_f64_e32 v[74:75], v[34:35], v[0:1]
	;; [unrolled: 1-line block ×4, first 2 shown]
	v_subrev_u32_e32 v0, s16, v53
	v_lshlrev_b32_e32 v0, 2, v0
	v_ashrrev_i32_e32 v1, 31, v0
	v_lshlrev_b64 v[0:1], 3, v[0:1]
	v_fmac_f64_e32 v[76:77], v[20:21], v[2:3]
	v_add_co_u32_e32 v20, vcc, s8, v0
	v_addc_co_u32_e32 v21, vcc, v52, v1, vcc
	v_fmac_f64_e32 v[72:73], v[16:17], v[2:3]
	v_fmac_f64_e32 v[70:71], v[18:19], v[2:3]
	global_load_dwordx4 v[16:19], v[20:21], off
	v_fmac_f64_e32 v[74:75], v[22:23], v[2:3]
	global_load_dwordx4 v[32:35], v[50:51], off offset:48
	global_load_dwordx4 v[24:27], v[50:51], off offset:32
	;; [unrolled: 1-line block ×3, first 2 shown]
	s_waitcnt vmcnt(3)
	v_fmac_f64_e32 v[76:77], v[44:45], v[16:17]
	v_fmac_f64_e32 v[74:75], v[46:47], v[16:17]
	;; [unrolled: 1-line block ×8, first 2 shown]
	global_load_dwordx4 v[28:31], v[50:51], off offset:64
	global_load_dwordx4 v[36:39], v[20:21], off offset:16
	v_subrev_u32_e32 v40, s16, v61
	v_subrev_u32_e32 v41, s16, v63
	v_lshlrev_b32_e32 v40, 2, v40
	v_lshlrev_b32_e32 v42, 2, v41
	v_ashrrev_i32_e32 v41, 31, v40
	v_lshlrev_b64 v[40:41], 3, v[40:41]
	v_ashrrev_i32_e32 v43, 31, v42
	v_add_co_u32_e32 v54, vcc, s8, v40
	v_lshlrev_b64 v[42:43], 3, v[42:43]
	v_addc_co_u32_e32 v55, vcc, v52, v41, vcc
	global_load_dwordx4 v[20:23], v[50:51], off offset:2064
	global_load_dwordx4 v[44:47], v[50:51], off offset:2144
	;; [unrolled: 1-line block ×3, first 2 shown]
	s_waitcnt vmcnt(3)
	v_fmac_f64_e32 v[76:77], v[12:13], v[36:37]
	v_fmac_f64_e32 v[76:77], v[86:87], v[38:39]
	v_add_co_u32_e32 v86, vcc, s8, v42
	v_addc_co_u32_e32 v87, vcc, v52, v43, vcc
	global_load_dwordx4 v[40:43], v[54:55], off
	v_fmac_f64_e32 v[74:75], v[14:15], v[36:37]
	v_fmac_f64_e32 v[72:73], v[90:91], v[36:37]
	;; [unrolled: 1-line block ×6, first 2 shown]
	global_load_dwordx4 v[36:39], v[50:51], off offset:2048
	global_load_dwordx4 v[12:15], v[50:51], off offset:2096
	v_add_co_u32_e32 v64, vcc, 64, v64
	v_addc_co_u32_e32 v65, vcc, 0, v65, vcc
	v_add_co_u32_e32 v48, vcc, 0x100, v48
	v_addc_co_u32_e32 v49, vcc, 0, v49, vcc
	v_cmp_ge_i64_e64 s[0:1], v[64:65], v[66:67]
	v_add_co_u32_e32 v68, vcc, 0x2000, v68
	v_addc_co_u32_e32 v69, vcc, 0, v69, vcc
	s_or_b64 s[10:11], s[0:1], s[10:11]
	s_waitcnt vmcnt(2)
	v_fmac_f64_e32 v[76:77], v[78:79], v[40:41]
	v_fmac_f64_e32 v[74:75], v[80:81], v[40:41]
	;; [unrolled: 1-line block ×4, first 2 shown]
	global_load_dwordx4 v[78:81], v[50:51], off offset:2128
	v_fmac_f64_e32 v[76:77], v[24:25], v[42:43]
	v_fmac_f64_e32 v[74:75], v[26:27], v[42:43]
	global_load_dwordx4 v[24:27], v[50:51], off offset:2112
	v_fmac_f64_e32 v[72:73], v[32:33], v[42:43]
	v_fmac_f64_e32 v[70:71], v[34:35], v[42:43]
	global_load_dwordx4 v[32:35], v[54:55], off offset:16
	global_load_dwordx4 v[40:43], v[86:87], off
	global_load_dwordx4 v[82:85], v[86:87], off offset:16
	s_waitcnt vmcnt(2)
	v_fmac_f64_e32 v[76:77], v[28:29], v[32:33]
	v_fmac_f64_e32 v[74:75], v[30:31], v[32:33]
	global_load_dwordx4 v[28:31], v[50:51], off offset:2160
	v_fmac_f64_e32 v[72:73], v[8:9], v[32:33]
	v_fmac_f64_e32 v[70:71], v[10:11], v[32:33]
	;; [unrolled: 1-line block ×6, first 2 shown]
	s_waitcnt vmcnt(2)
	v_fmac_f64_e32 v[76:77], v[36:37], v[40:41]
	v_fmac_f64_e32 v[74:75], v[38:39], v[40:41]
	;; [unrolled: 1-line block ×8, first 2 shown]
	s_waitcnt vmcnt(1)
	v_fmac_f64_e32 v[76:77], v[24:25], v[82:83]
	v_fmac_f64_e32 v[74:75], v[26:27], v[82:83]
	;; [unrolled: 1-line block ×6, first 2 shown]
	s_waitcnt vmcnt(0)
	v_fmac_f64_e32 v[72:73], v[28:29], v[84:85]
	v_fmac_f64_e32 v[70:71], v[30:31], v[84:85]
	s_andn2_b64 exec, exec, s[10:11]
	s_cbranch_execnz .LBB27_33
; %bb.34:
	s_or_b64 exec, exec, s[10:11]
.LBB27_35:
	s_or_b64 exec, exec, s[6:7]
.LBB27_36:
	s_or_b64 exec, exec, s[2:3]
.LBB27_37:
	v_mov_b32_dpp v0, v76 row_shr:1 row_mask:0xf bank_mask:0xf
	v_mov_b32_dpp v1, v77 row_shr:1 row_mask:0xf bank_mask:0xf
	v_mov_b32_dpp v4, v74 row_shr:1 row_mask:0xf bank_mask:0xf
	v_mov_b32_dpp v5, v75 row_shr:1 row_mask:0xf bank_mask:0xf
	v_mov_b32_dpp v8, v72 row_shr:1 row_mask:0xf bank_mask:0xf
	v_mov_b32_dpp v9, v73 row_shr:1 row_mask:0xf bank_mask:0xf
	v_mov_b32_dpp v12, v70 row_shr:1 row_mask:0xf bank_mask:0xf
	v_mov_b32_dpp v13, v71 row_shr:1 row_mask:0xf bank_mask:0xf
	v_add_f64 v[0:1], v[76:77], v[0:1]
	v_add_f64 v[4:5], v[74:75], v[4:5]
	v_add_f64 v[8:9], v[72:73], v[8:9]
	v_add_f64 v[12:13], v[70:71], v[12:13]
	v_mov_b32_dpp v2, v0 row_shr:2 row_mask:0xf bank_mask:0xf
	v_mov_b32_dpp v3, v1 row_shr:2 row_mask:0xf bank_mask:0xf
	v_mov_b32_dpp v6, v4 row_shr:2 row_mask:0xf bank_mask:0xf
	v_mov_b32_dpp v7, v5 row_shr:2 row_mask:0xf bank_mask:0xf
	v_mov_b32_dpp v10, v8 row_shr:2 row_mask:0xf bank_mask:0xf
	v_mov_b32_dpp v11, v9 row_shr:2 row_mask:0xf bank_mask:0xf
	v_mov_b32_dpp v14, v12 row_shr:2 row_mask:0xf bank_mask:0xf
	v_mov_b32_dpp v15, v13 row_shr:2 row_mask:0xf bank_mask:0xf
	v_add_f64 v[0:1], v[0:1], v[2:3]
	v_add_f64 v[4:5], v[4:5], v[6:7]
	v_add_f64 v[8:9], v[8:9], v[10:11]
	v_add_f64 v[12:13], v[12:13], v[14:15]
	;; [unrolled: 12-line block ×3, first 2 shown]
	v_mov_b32_dpp v2, v0 row_shr:8 row_mask:0xf bank_mask:0xc
	v_mov_b32_dpp v3, v1 row_shr:8 row_mask:0xf bank_mask:0xc
	;; [unrolled: 1-line block ×8, first 2 shown]
	v_cmp_eq_u32_e32 vcc, 15, v62
	s_and_b64 exec, exec, vcc
	s_cbranch_execz .LBB27_10
; %bb.38:
	s_load_dwordx2 s[0:1], s[4:5], 0x50
	v_add_f64 v[0:1], v[0:1], v[2:3]
	v_add_f64 v[2:3], v[4:5], v[6:7]
	;; [unrolled: 1-line block ×4, first 2 shown]
	v_cmp_eq_f64_e32 vcc, 0, v[56:57]
	v_mul_f64 v[4:5], v[58:59], v[0:1]
	v_mul_f64 v[6:7], v[58:59], v[2:3]
	v_mul_f64 v[0:1], v[58:59], v[8:9]
	v_mul_f64 v[2:3], v[58:59], v[10:11]
	v_lshlrev_b32_e32 v8, 2, v60
	s_and_saveexec_b64 s[2:3], vcc
	s_xor_b64 s[2:3], exec, s[2:3]
	s_cbranch_execz .LBB27_40
; %bb.39:
	v_ashrrev_i32_e32 v9, 31, v8
	v_lshlrev_b64 v[8:9], 3, v[8:9]
	s_waitcnt lgkmcnt(0)
	v_mov_b32_e32 v10, s1
	v_add_co_u32_e32 v8, vcc, s0, v8
	v_addc_co_u32_e32 v9, vcc, v10, v9, vcc
	global_store_dwordx4 v[8:9], v[4:7], off
	global_store_dwordx4 v[8:9], v[0:3], off offset:16
                                        ; implicit-def: $vgpr8
                                        ; implicit-def: $vgpr56_vgpr57
                                        ; implicit-def: $vgpr4_vgpr5
                                        ; implicit-def: $vgpr0_vgpr1
.LBB27_40:
	s_andn2_saveexec_b64 s[2:3], s[2:3]
	s_cbranch_execz .LBB27_10
; %bb.41:
	v_ashrrev_i32_e32 v9, 31, v8
	v_lshlrev_b64 v[8:9], 3, v[8:9]
	s_waitcnt lgkmcnt(0)
	v_mov_b32_e32 v10, s1
	v_add_co_u32_e32 v16, vcc, s0, v8
	v_addc_co_u32_e32 v17, vcc, v10, v9, vcc
	global_load_dwordx4 v[8:11], v[16:17], off
	global_load_dwordx4 v[12:15], v[16:17], off offset:16
	s_waitcnt vmcnt(1)
	v_fmac_f64_e32 v[4:5], v[56:57], v[8:9]
	v_fmac_f64_e32 v[6:7], v[56:57], v[10:11]
	s_waitcnt vmcnt(0)
	v_fmac_f64_e32 v[0:1], v[56:57], v[12:13]
	v_fmac_f64_e32 v[2:3], v[56:57], v[14:15]
	global_store_dwordx4 v[16:17], v[4:7], off
	global_store_dwordx4 v[16:17], v[0:3], off offset:16
	s_endpgm
	.section	.rodata,"a",@progbits
	.p2align	6, 0x0
	.amdhsa_kernel _ZN9rocsparseL18bsrxmvn_4x4_kernelILj128ELj16EdlidddEEvT3_20rocsparse_direction_NS_24const_host_device_scalarIT1_EES1_PKS1_PKT2_SA_S7_PKT4_PKT5_S5_PT6_21rocsparse_index_base_b
		.amdhsa_group_segment_fixed_size 0
		.amdhsa_private_segment_fixed_size 0
		.amdhsa_kernarg_size 96
		.amdhsa_user_sgpr_count 6
		.amdhsa_user_sgpr_private_segment_buffer 1
		.amdhsa_user_sgpr_dispatch_ptr 0
		.amdhsa_user_sgpr_queue_ptr 0
		.amdhsa_user_sgpr_kernarg_segment_ptr 1
		.amdhsa_user_sgpr_dispatch_id 0
		.amdhsa_user_sgpr_flat_scratch_init 0
		.amdhsa_user_sgpr_kernarg_preload_length 0
		.amdhsa_user_sgpr_kernarg_preload_offset 0
		.amdhsa_user_sgpr_private_segment_size 0
		.amdhsa_uses_dynamic_stack 0
		.amdhsa_system_sgpr_private_segment_wavefront_offset 0
		.amdhsa_system_sgpr_workgroup_id_x 1
		.amdhsa_system_sgpr_workgroup_id_y 0
		.amdhsa_system_sgpr_workgroup_id_z 0
		.amdhsa_system_sgpr_workgroup_info 0
		.amdhsa_system_vgpr_workitem_id 0
		.amdhsa_next_free_vgpr 104
		.amdhsa_next_free_sgpr 23
		.amdhsa_accum_offset 104
		.amdhsa_reserve_vcc 1
		.amdhsa_reserve_flat_scratch 0
		.amdhsa_float_round_mode_32 0
		.amdhsa_float_round_mode_16_64 0
		.amdhsa_float_denorm_mode_32 3
		.amdhsa_float_denorm_mode_16_64 3
		.amdhsa_dx10_clamp 1
		.amdhsa_ieee_mode 1
		.amdhsa_fp16_overflow 0
		.amdhsa_tg_split 0
		.amdhsa_exception_fp_ieee_invalid_op 0
		.amdhsa_exception_fp_denorm_src 0
		.amdhsa_exception_fp_ieee_div_zero 0
		.amdhsa_exception_fp_ieee_overflow 0
		.amdhsa_exception_fp_ieee_underflow 0
		.amdhsa_exception_fp_ieee_inexact 0
		.amdhsa_exception_int_div_zero 0
	.end_amdhsa_kernel
	.section	.text._ZN9rocsparseL18bsrxmvn_4x4_kernelILj128ELj16EdlidddEEvT3_20rocsparse_direction_NS_24const_host_device_scalarIT1_EES1_PKS1_PKT2_SA_S7_PKT4_PKT5_S5_PT6_21rocsparse_index_base_b,"axG",@progbits,_ZN9rocsparseL18bsrxmvn_4x4_kernelILj128ELj16EdlidddEEvT3_20rocsparse_direction_NS_24const_host_device_scalarIT1_EES1_PKS1_PKT2_SA_S7_PKT4_PKT5_S5_PT6_21rocsparse_index_base_b,comdat
.Lfunc_end27:
	.size	_ZN9rocsparseL18bsrxmvn_4x4_kernelILj128ELj16EdlidddEEvT3_20rocsparse_direction_NS_24const_host_device_scalarIT1_EES1_PKS1_PKT2_SA_S7_PKT4_PKT5_S5_PT6_21rocsparse_index_base_b, .Lfunc_end27-_ZN9rocsparseL18bsrxmvn_4x4_kernelILj128ELj16EdlidddEEvT3_20rocsparse_direction_NS_24const_host_device_scalarIT1_EES1_PKS1_PKT2_SA_S7_PKT4_PKT5_S5_PT6_21rocsparse_index_base_b
                                        ; -- End function
	.section	.AMDGPU.csdata,"",@progbits
; Kernel info:
; codeLenInByte = 3952
; NumSgprs: 27
; NumVgprs: 104
; NumAgprs: 0
; TotalNumVgprs: 104
; ScratchSize: 0
; MemoryBound: 1
; FloatMode: 240
; IeeeMode: 1
; LDSByteSize: 0 bytes/workgroup (compile time only)
; SGPRBlocks: 3
; VGPRBlocks: 12
; NumSGPRsForWavesPerEU: 27
; NumVGPRsForWavesPerEU: 104
; AccumOffset: 104
; Occupancy: 4
; WaveLimiterHint : 1
; COMPUTE_PGM_RSRC2:SCRATCH_EN: 0
; COMPUTE_PGM_RSRC2:USER_SGPR: 6
; COMPUTE_PGM_RSRC2:TRAP_HANDLER: 0
; COMPUTE_PGM_RSRC2:TGID_X_EN: 1
; COMPUTE_PGM_RSRC2:TGID_Y_EN: 0
; COMPUTE_PGM_RSRC2:TGID_Z_EN: 0
; COMPUTE_PGM_RSRC2:TIDIG_COMP_CNT: 0
; COMPUTE_PGM_RSRC3_GFX90A:ACCUM_OFFSET: 25
; COMPUTE_PGM_RSRC3_GFX90A:TG_SPLIT: 0
	.section	.text._ZN9rocsparseL18bsrxmvn_4x4_kernelILj128ELj32EdlidddEEvT3_20rocsparse_direction_NS_24const_host_device_scalarIT1_EES1_PKS1_PKT2_SA_S7_PKT4_PKT5_S5_PT6_21rocsparse_index_base_b,"axG",@progbits,_ZN9rocsparseL18bsrxmvn_4x4_kernelILj128ELj32EdlidddEEvT3_20rocsparse_direction_NS_24const_host_device_scalarIT1_EES1_PKS1_PKT2_SA_S7_PKT4_PKT5_S5_PT6_21rocsparse_index_base_b,comdat
	.globl	_ZN9rocsparseL18bsrxmvn_4x4_kernelILj128ELj32EdlidddEEvT3_20rocsparse_direction_NS_24const_host_device_scalarIT1_EES1_PKS1_PKT2_SA_S7_PKT4_PKT5_S5_PT6_21rocsparse_index_base_b ; -- Begin function _ZN9rocsparseL18bsrxmvn_4x4_kernelILj128ELj32EdlidddEEvT3_20rocsparse_direction_NS_24const_host_device_scalarIT1_EES1_PKS1_PKT2_SA_S7_PKT4_PKT5_S5_PT6_21rocsparse_index_base_b
	.p2align	8
	.type	_ZN9rocsparseL18bsrxmvn_4x4_kernelILj128ELj32EdlidddEEvT3_20rocsparse_direction_NS_24const_host_device_scalarIT1_EES1_PKS1_PKT2_SA_S7_PKT4_PKT5_S5_PT6_21rocsparse_index_base_b,@function
_ZN9rocsparseL18bsrxmvn_4x4_kernelILj128ELj32EdlidddEEvT3_20rocsparse_direction_NS_24const_host_device_scalarIT1_EES1_PKS1_PKT2_SA_S7_PKT4_PKT5_S5_PT6_21rocsparse_index_base_b: ; @_ZN9rocsparseL18bsrxmvn_4x4_kernelILj128ELj32EdlidddEEvT3_20rocsparse_direction_NS_24const_host_device_scalarIT1_EES1_PKS1_PKT2_SA_S7_PKT4_PKT5_S5_PT6_21rocsparse_index_base_b
; %bb.0:
	s_load_dwordx2 s[16:17], s[4:5], 0x58
	s_load_dwordx2 s[8:9], s[4:5], 0x8
	;; [unrolled: 1-line block ×3, first 2 shown]
	s_waitcnt lgkmcnt(0)
	s_bitcmp1_b32 s17, 0
	s_cselect_b64 s[10:11], -1, 0
	s_xor_b64 s[2:3], s[10:11], -1
	s_and_b64 vcc, exec, s[10:11]
	v_pk_mov_b32 v[38:39], s[8:9], s[8:9] op_sel:[0,1]
	s_cbranch_vccnz .LBB28_2
; %bb.1:
	v_pk_mov_b32 v[2:3], s[8:9], s[8:9] op_sel:[0,1]
	flat_load_dwordx2 v[38:39], v[2:3]
.LBB28_2:
	s_andn2_b64 vcc, exec, s[2:3]
	v_pk_mov_b32 v[36:37], s[0:1], s[0:1] op_sel:[0,1]
	s_cbranch_vccnz .LBB28_4
; %bb.3:
	v_pk_mov_b32 v[2:3], s[0:1], s[0:1] op_sel:[0,1]
	flat_load_dwordx2 v[36:37], v[2:3]
.LBB28_4:
	s_waitcnt vmcnt(0) lgkmcnt(0)
	v_cmp_neq_f64_e32 vcc, 0, v[38:39]
	v_cmp_neq_f64_e64 s[0:1], 1.0, v[36:37]
	s_mov_b64 s[2:3], 0
	s_or_b64 s[0:1], vcc, s[0:1]
	s_and_saveexec_b64 s[8:9], s[0:1]
	s_cbranch_execz .LBB28_10
; %bb.5:
	s_load_dwordx2 s[8:9], s[4:5], 0x18
	s_load_dwordx2 s[0:1], s[4:5], 0x0
	v_lshrrev_b32_e32 v1, 5, v0
	v_lshl_or_b32 v40, s6, 2, v1
	s_mov_b64 s[6:7], 0
	s_waitcnt lgkmcnt(0)
	s_cmp_lg_u64 s[8:9], 0
	s_cbranch_scc0 .LBB28_11
; %bb.6:
	s_load_dword s2, s[4:5], 0x10
                                        ; implicit-def: $vgpr1
	s_waitcnt lgkmcnt(0)
	v_cmp_gt_i32_e32 vcc, s2, v40
	s_and_saveexec_b64 s[2:3], vcc
	s_xor_b64 s[2:3], exec, s[2:3]
	s_cbranch_execz .LBB28_8
; %bb.7:
	v_ashrrev_i32_e32 v41, 31, v40
	v_lshlrev_b64 v[2:3], 2, v[40:41]
	v_mov_b32_e32 v1, s9
	v_add_co_u32_e32 v2, vcc, s8, v2
	v_addc_co_u32_e32 v3, vcc, v1, v3, vcc
	global_load_dword v1, v[2:3], off
	s_mov_b64 s[6:7], exec
	s_waitcnt vmcnt(0)
	v_subrev_u32_e32 v1, s16, v1
.LBB28_8:
	s_or_b64 exec, exec, s[2:3]
	s_mov_b64 s[2:3], s[6:7]
	s_branch .LBB28_12
.LBB28_9:
	v_cmp_gt_i32_e32 vcc, s0, v40
	s_andn2_b64 s[2:3], s[2:3], exec
	s_and_b64 s[6:7], vcc, exec
	s_or_b64 s[2:3], s[2:3], s[6:7]
	s_and_b64 exec, exec, s[2:3]
	s_cbranch_execnz .LBB28_13
.LBB28_10:
	s_endpgm
.LBB28_11:
                                        ; implicit-def: $vgpr1
	s_cbranch_execnz .LBB28_9
.LBB28_12:
	v_mov_b32_e32 v40, v1
	s_and_b64 exec, exec, s[2:3]
	s_cbranch_execz .LBB28_10
.LBB28_13:
	s_load_dwordx8 s[8:15], s[4:5], 0x20
	v_ashrrev_i32_e32 v41, 31, v40
	v_lshlrev_b64 v[2:3], 3, v[40:41]
	v_and_b32_e32 v42, 31, v0
	s_mov_b32 s17, 0
	s_waitcnt lgkmcnt(0)
	v_mov_b32_e32 v1, s9
	v_add_co_u32_e32 v4, vcc, s8, v2
	v_addc_co_u32_e32 v5, vcc, v1, v3, vcc
	v_add_co_u32_e32 v1, vcc, 8, v4
	global_load_dwordx2 v[32:33], v[4:5], off
	v_addc_co_u32_e32 v4, vcc, 0, v5, vcc
	v_mov_b32_e32 v5, s11
	v_add_co_u32_e32 v2, vcc, s10, v2
	s_cmp_eq_u64 s[10:11], 0
	v_addc_co_u32_e32 v3, vcc, v5, v3, vcc
	s_cselect_b64 vcc, -1, 0
	v_cndmask_b32_e32 v3, v3, v4, vcc
	v_cndmask_b32_e32 v2, v2, v1, vcc
	global_load_dwordx2 v[2:3], v[2:3], off
	s_load_dwordx2 s[8:9], s[4:5], 0x40
	v_mov_b32_e32 v4, s15
	s_cmp_eq_u32 s1, 1
	s_waitcnt vmcnt(1)
	v_subrev_co_u32_e32 v0, vcc, s16, v32
	v_subbrev_co_u32_e32 v1, vcc, 0, v33, vcc
	v_add_co_u32_e32 v44, vcc, v0, v42
	v_addc_co_u32_e32 v45, vcc, 0, v1, vcc
	v_lshlrev_b64 v[0:1], 7, v[44:45]
	s_waitcnt vmcnt(0)
	v_subrev_co_u32_e32 v46, vcc, s16, v2
	v_subbrev_co_u32_e32 v47, vcc, 0, v3, vcc
	v_add_co_u32_e32 v48, vcc, s14, v0
	v_addc_co_u32_e32 v49, vcc, v4, v1, vcc
	v_cmp_lt_i64_e64 s[0:1], v[44:45], v[46:47]
	s_cbranch_scc1 .LBB28_25
; %bb.14:
	v_pk_mov_b32 v[50:51], 0, 0
	s_mov_b64 s[10:11], 0
	v_pk_mov_b32 v[52:53], v[50:51], v[50:51] op_sel:[0,1]
	v_pk_mov_b32 v[54:55], v[50:51], v[50:51] op_sel:[0,1]
	;; [unrolled: 1-line block ×3, first 2 shown]
	s_and_saveexec_b64 s[14:15], s[0:1]
	s_cbranch_execz .LBB28_24
; %bb.15:
	v_or_b32_e32 v0, 32, v42
	v_mov_b32_e32 v1, s17
	v_subrev_co_u32_e32 v0, vcc, s16, v0
	v_subb_co_u32_e32 v1, vcc, 0, v1, vcc
	v_add_co_u32_e32 v0, vcc, v0, v32
	v_addc_co_u32_e32 v1, vcc, v1, v33, vcc
	v_cmp_gt_i64_e32 vcc, v[0:1], v[46:47]
	v_cndmask_b32_e32 v1, v47, v1, vcc
	v_cndmask_b32_e32 v0, v46, v0, vcc
	v_mov_b32_e32 v4, s17
	v_sub_co_u32_e32 v5, vcc, s16, v42
	v_not_b32_e32 v3, v32
	v_subbrev_co_u32_e32 v4, vcc, 0, v4, vcc
	v_not_b32_e32 v2, v33
	v_add_co_u32_e32 v3, vcc, v5, v3
	v_addc_co_u32_e32 v2, vcc, v4, v2, vcc
	v_add_co_u32_e32 v0, vcc, v3, v0
	v_addc_co_u32_e32 v1, vcc, v2, v1, vcc
	v_lshrrev_b32_e32 v2, 5, v0
	v_add_u32_e32 v2, 1, v2
	v_and_b32_e32 v2, 3, v2
	v_pk_mov_b32 v[56:57], 0, 0
	v_cmp_ne_u32_e32 vcc, 0, v2
	s_mov_b64 s[18:19], 0
	v_pk_mov_b32 v[54:55], v[56:57], v[56:57] op_sel:[0,1]
	v_pk_mov_b32 v[52:53], v[56:57], v[56:57] op_sel:[0,1]
	;; [unrolled: 1-line block ×5, first 2 shown]
	s_and_saveexec_b64 s[6:7], vcc
	s_cbranch_execz .LBB28_19
; %bb.16:
	v_lshlrev_b64 v[4:5], 2, v[44:45]
	v_mov_b32_e32 v6, s13
	v_add_co_u32_e32 v4, vcc, s12, v4
	v_pk_mov_b32 v[50:51], 0, 0
	v_mov_b32_e32 v3, 0
	v_addc_co_u32_e32 v5, vcc, v6, v5, vcc
	v_lshlrev_b32_e32 v2, 5, v2
	s_movk_i32 s20, 0x1000
	s_waitcnt lgkmcnt(0)
	v_mov_b32_e32 v6, s9
	v_pk_mov_b32 v[58:59], v[48:49], v[48:49] op_sel:[0,1]
	v_pk_mov_b32 v[34:35], v[44:45], v[44:45] op_sel:[0,1]
	;; [unrolled: 1-line block ×5, first 2 shown]
.LBB28_17:                              ; =>This Inner Loop Header: Depth=1
	global_load_dword v7, v[4:5], off
	global_load_dwordx4 v[8:11], v[58:59], off offset:48
	global_load_dwordx4 v[12:15], v[58:59], off offset:32
	;; [unrolled: 1-line block ×3, first 2 shown]
	global_load_dwordx4 v[20:23], v[58:59], off
	global_load_dwordx4 v[24:27], v[58:59], off offset:112
	global_load_dwordx4 v[28:31], v[58:59], off offset:96
	global_load_dwordx4 v[60:63], v[58:59], off offset:80
	global_load_dwordx4 v[64:67], v[58:59], off offset:64
	v_add_co_u32_e64 v34, s[2:3], 32, v34
	v_addc_co_u32_e64 v35, s[2:3], 0, v35, s[2:3]
	s_waitcnt vmcnt(8)
	v_subrev_u32_e32 v7, s16, v7
	v_lshlrev_b32_e32 v68, 2, v7
	v_ashrrev_i32_e32 v69, 31, v68
	v_lshlrev_b64 v[68:69], 3, v[68:69]
	v_add_co_u32_e32 v76, vcc, s8, v68
	v_addc_co_u32_e32 v77, vcc, v6, v69, vcc
	global_load_dwordx4 v[68:71], v[76:77], off
	global_load_dwordx4 v[72:75], v[76:77], off offset:16
	v_add_co_u32_e32 v58, vcc, s20, v58
	v_addc_co_u32_e32 v59, vcc, 0, v59, vcc
	v_add_co_u32_e32 v4, vcc, 0x80, v4
	v_addc_co_u32_e32 v5, vcc, 0, v5, vcc
	v_add_co_u32_e32 v2, vcc, 0xffffffe0, v2
	v_addc_co_u32_e32 v3, vcc, -1, v3, vcc
	v_cmp_eq_u64_e32 vcc, 0, v[2:3]
	s_or_b64 s[18:19], vcc, s[18:19]
	s_waitcnt vmcnt(1)
	v_fmac_f64_e32 v[56:57], v[20:21], v[68:69]
	v_fmac_f64_e32 v[54:55], v[12:13], v[68:69]
	;; [unrolled: 1-line block ×8, first 2 shown]
	s_waitcnt vmcnt(0)
	v_fmac_f64_e32 v[56:57], v[16:17], v[72:73]
	v_fmac_f64_e32 v[54:55], v[8:9], v[72:73]
	;; [unrolled: 1-line block ×8, first 2 shown]
	s_andn2_b64 exec, exec, s[18:19]
	s_cbranch_execnz .LBB28_17
; %bb.18:
	s_or_b64 exec, exec, s[18:19]
.LBB28_19:
	s_or_b64 exec, exec, s[6:7]
	s_mov_b64 s[2:3], 0x5f
	v_cmp_lt_u64_e32 vcc, s[2:3], v[0:1]
	s_and_saveexec_b64 s[18:19], vcc
	s_cbranch_execz .LBB28_23
; %bb.20:
	v_lshlrev_b64 v[0:1], 2, v[34:35]
	v_mov_b32_e32 v2, s13
	v_add_co_u32_e32 v0, vcc, s12, v0
	v_addc_co_u32_e32 v1, vcc, v1, v2, vcc
	v_add_co_u32_e32 v60, vcc, 0x100, v0
	v_addc_co_u32_e32 v61, vcc, 0, v1, vcc
	s_mov_b64 s[20:21], 0
	s_waitcnt lgkmcnt(0)
	v_mov_b32_e32 v41, s9
	s_movk_i32 s22, 0x1000
	s_movk_i32 s23, 0x2000
	;; [unrolled: 1-line block ×3, first 2 shown]
.LBB28_21:                              ; =>This Inner Loop Header: Depth=1
	global_load_dword v43, v[60:61], off offset:-256
	global_load_dwordx4 v[4:7], v[58:59], off offset:32
	global_load_dwordx4 v[0:3], v[58:59], off offset:16
	global_load_dwordx4 v[8:11], v[58:59], off
	global_load_dwordx4 v[12:15], v[58:59], off offset:112
	global_load_dwordx4 v[24:27], v[58:59], off offset:96
	global_load_dwordx4 v[16:19], v[58:59], off offset:80
	global_load_dwordx4 v[20:23], v[58:59], off offset:48
	global_load_dwordx4 v[28:31], v[58:59], off offset:64
	v_add_co_u32_e32 v62, vcc, s23, v58
	v_add_co_u32_e64 v66, s[6:7], s24, v58
	v_addc_co_u32_e32 v63, vcc, 0, v59, vcc
	v_addc_co_u32_e64 v67, vcc, 0, v59, s[6:7]
	v_add_co_u32_e64 v64, s[2:3], s22, v58
	v_addc_co_u32_e64 v65, s[2:3], 0, v59, s[2:3]
	global_load_dword v100, v[60:61], off offset:-128
	global_load_dword v106, v[60:61], off
	global_load_dword v107, v[60:61], off offset:128
	global_load_dwordx4 v[68:71], v[64:65], off offset:48
	global_load_dwordx4 v[72:75], v[64:65], off offset:32
	;; [unrolled: 1-line block ×6, first 2 shown]
	s_waitcnt vmcnt(17)
	v_subrev_u32_e32 v43, s16, v43
	v_lshlrev_b32_e32 v88, 2, v43
	v_ashrrev_i32_e32 v89, 31, v88
	v_lshlrev_b64 v[88:89], 3, v[88:89]
	v_add_co_u32_e32 v96, vcc, s8, v88
	v_addc_co_u32_e32 v97, vcc, v41, v89, vcc
	global_load_dwordx4 v[88:91], v[96:97], off
	s_waitcnt vmcnt(8)
	v_subrev_u32_e32 v43, s16, v106
	s_waitcnt vmcnt(0)
	v_fmac_f64_e32 v[56:57], v[8:9], v[88:89]
	v_fmac_f64_e32 v[54:55], v[4:5], v[88:89]
	;; [unrolled: 1-line block ×6, first 2 shown]
	global_load_dwordx4 v[4:7], v[62:63], off offset:112
	v_fmac_f64_e32 v[52:53], v[30:31], v[90:91]
	global_load_dwordx4 v[28:31], v[64:65], off offset:64
	v_fmac_f64_e32 v[50:51], v[26:27], v[90:91]
	global_load_dwordx4 v[24:27], v[62:63], off offset:-4096
	global_load_dwordx4 v[88:91], v[62:63], off
	global_load_dwordx4 v[8:11], v[96:97], off offset:16
	s_waitcnt vmcnt(0)
	v_fmac_f64_e32 v[50:51], v[12:13], v[8:9]
	v_subrev_u32_e32 v12, s16, v100
	v_lshlrev_b32_e32 v12, 2, v12
	v_ashrrev_i32_e32 v13, 31, v12
	v_lshlrev_b64 v[12:13], 3, v[12:13]
	v_add_co_u32_e32 v104, vcc, s8, v12
	v_addc_co_u32_e32 v105, vcc, v41, v13, vcc
	global_load_dwordx4 v[100:103], v[104:105], off
	v_fmac_f64_e32 v[56:57], v[0:1], v[8:9]
	v_fmac_f64_e32 v[54:55], v[20:21], v[8:9]
	v_fmac_f64_e32 v[52:53], v[16:17], v[8:9]
	v_fmac_f64_e32 v[56:57], v[2:3], v[10:11]
	v_fmac_f64_e32 v[54:55], v[22:23], v[10:11]
	v_fmac_f64_e32 v[52:53], v[18:19], v[10:11]
	global_load_dwordx4 v[96:99], v[62:63], off offset:32
	global_load_dwordx4 v[0:3], v[62:63], off offset:16
	global_load_dwordx4 v[16:19], v[62:63], off offset:96
	v_fmac_f64_e32 v[50:51], v[14:15], v[10:11]
	global_load_dwordx4 v[8:11], v[62:63], off offset:80
	global_load_dwordx4 v[12:15], v[62:63], off offset:48
	global_load_dwordx4 v[20:23], v[66:67], off
	s_waitcnt vmcnt(6)
	v_fmac_f64_e32 v[56:57], v[24:25], v[100:101]
	v_fmac_f64_e32 v[54:55], v[72:73], v[100:101]
	;; [unrolled: 1-line block ×5, first 2 shown]
	global_load_dwordx4 v[62:65], v[62:63], off offset:64
	v_fmac_f64_e32 v[52:53], v[30:31], v[102:103]
	global_load_dwordx4 v[24:27], v[66:67], off offset:48
	global_load_dwordx4 v[28:31], v[66:67], off offset:32
	;; [unrolled: 1-line block ×3, first 2 shown]
	v_fmac_f64_e32 v[50:51], v[84:85], v[100:101]
	v_fmac_f64_e32 v[50:51], v[86:87], v[102:103]
	global_load_dwordx4 v[84:87], v[66:67], off offset:80
	s_waitcnt vmcnt(1)
	v_fmac_f64_e32 v[56:57], v[76:77], v[72:73]
	v_fmac_f64_e32 v[54:55], v[68:69], v[72:73]
	v_fmac_f64_e32 v[52:53], v[92:93], v[72:73]
	v_fmac_f64_e32 v[50:51], v[80:81], v[72:73]
	v_lshlrev_b32_e32 v72, 2, v43
	v_ashrrev_i32_e32 v73, 31, v72
	v_lshlrev_b64 v[72:73], 3, v[72:73]
	v_add_co_u32_e32 v92, vcc, s8, v72
	v_addc_co_u32_e32 v93, vcc, v41, v73, vcc
	v_fmac_f64_e32 v[56:57], v[78:79], v[74:75]
	v_fmac_f64_e32 v[54:55], v[70:71], v[74:75]
	;; [unrolled: 1-line block ×4, first 2 shown]
	global_load_dwordx4 v[72:75], v[92:93], off
	v_subrev_u32_e32 v43, s16, v107
	global_load_dwordx4 v[92:95], v[92:93], off offset:16
	s_waitcnt vmcnt(1)
	v_fmac_f64_e32 v[56:57], v[88:89], v[72:73]
	v_lshlrev_b32_e32 v88, 2, v43
	v_ashrrev_i32_e32 v89, 31, v88
	v_lshlrev_b64 v[88:89], 3, v[88:89]
	v_add_co_u32_e32 v100, vcc, s8, v88
	global_load_dwordx4 v[68:71], v[66:67], off offset:96
	global_load_dwordx4 v[80:83], v[66:67], off offset:64
	v_addc_co_u32_e32 v101, vcc, v41, v89, vcc
	v_fmac_f64_e32 v[54:55], v[96:97], v[72:73]
	v_fmac_f64_e32 v[52:53], v[62:63], v[72:73]
	global_load_dwordx4 v[76:79], v[66:67], off offset:112
	v_fmac_f64_e32 v[56:57], v[90:91], v[74:75]
	global_load_dwordx4 v[88:91], v[66:67], off offset:16
	v_fmac_f64_e32 v[54:55], v[98:99], v[74:75]
	v_fmac_f64_e32 v[52:53], v[64:65], v[74:75]
	global_load_dwordx4 v[62:65], v[100:101], off
	global_load_dwordx4 v[96:99], v[100:101], off offset:16
	v_fmac_f64_e32 v[50:51], v[16:17], v[72:73]
	v_fmac_f64_e32 v[50:51], v[18:19], v[74:75]
	v_add_co_u32_e32 v34, vcc, 0x80, v34
	s_waitcnt vmcnt(6)
	v_fmac_f64_e32 v[56:57], v[0:1], v[92:93]
	v_fmac_f64_e32 v[54:55], v[12:13], v[92:93]
	v_fmac_f64_e32 v[52:53], v[8:9], v[92:93]
	v_fmac_f64_e32 v[50:51], v[4:5], v[92:93]
	s_mov_b64 s[2:3], vcc
	v_add_co_u32_e32 v60, vcc, 0x200, v60
	v_fmac_f64_e32 v[56:57], v[2:3], v[94:95]
	v_fmac_f64_e32 v[54:55], v[14:15], v[94:95]
	;; [unrolled: 1-line block ×4, first 2 shown]
	s_mov_b64 s[6:7], vcc
	v_addc_co_u32_e64 v35, vcc, 0, v35, s[2:3]
	v_addc_co_u32_e64 v61, s[2:3], 0, v61, s[6:7]
	v_add_co_u32_e32 v58, vcc, 0x4000, v58
	v_cmp_ge_i64_e64 s[2:3], v[34:35], v[46:47]
	v_addc_co_u32_e32 v59, vcc, 0, v59, vcc
	s_or_b64 s[20:21], s[2:3], s[20:21]
	s_waitcnt vmcnt(1)
	v_fmac_f64_e32 v[56:57], v[20:21], v[62:63]
	v_fmac_f64_e32 v[54:55], v[28:29], v[62:63]
	;; [unrolled: 1-line block ×8, first 2 shown]
	s_waitcnt vmcnt(0)
	v_fmac_f64_e32 v[56:57], v[88:89], v[96:97]
	v_fmac_f64_e32 v[54:55], v[24:25], v[96:97]
	;; [unrolled: 1-line block ×8, first 2 shown]
	s_andn2_b64 exec, exec, s[20:21]
	s_cbranch_execnz .LBB28_21
; %bb.22:
	s_or_b64 exec, exec, s[20:21]
.LBB28_23:
	s_or_b64 exec, exec, s[18:19]
.LBB28_24:
	s_or_b64 exec, exec, s[14:15]
	s_andn2_b64 vcc, exec, s[10:11]
	s_cbranch_vccz .LBB28_26
	s_branch .LBB28_37
.LBB28_25:
                                        ; implicit-def: $vgpr50_vgpr51
                                        ; implicit-def: $vgpr52_vgpr53
                                        ; implicit-def: $vgpr54_vgpr55
                                        ; implicit-def: $vgpr56_vgpr57
.LBB28_26:
	v_pk_mov_b32 v[50:51], 0, 0
	v_pk_mov_b32 v[52:53], v[50:51], v[50:51] op_sel:[0,1]
	v_pk_mov_b32 v[54:55], v[50:51], v[50:51] op_sel:[0,1]
	;; [unrolled: 1-line block ×3, first 2 shown]
	s_and_saveexec_b64 s[2:3], s[0:1]
	s_cbranch_execz .LBB28_36
; %bb.27:
	v_or_b32_e32 v0, 32, v42
	v_mov_b32_e32 v1, s17
	v_subrev_co_u32_e32 v0, vcc, s16, v0
	v_subb_co_u32_e32 v1, vcc, 0, v1, vcc
	v_add_co_u32_e32 v0, vcc, v0, v32
	v_addc_co_u32_e32 v1, vcc, v1, v33, vcc
	v_cmp_gt_i64_e32 vcc, v[0:1], v[46:47]
	v_cndmask_b32_e32 v1, v47, v1, vcc
	v_cndmask_b32_e32 v0, v46, v0, vcc
	v_mov_b32_e32 v4, s17
	v_sub_co_u32_e32 v5, vcc, s16, v42
	v_not_b32_e32 v3, v32
	v_subbrev_co_u32_e32 v4, vcc, 0, v4, vcc
	v_not_b32_e32 v2, v33
	v_add_co_u32_e32 v3, vcc, v5, v3
	v_addc_co_u32_e32 v2, vcc, v4, v2, vcc
	v_add_co_u32_e32 v0, vcc, v3, v0
	v_addc_co_u32_e32 v1, vcc, v2, v1, vcc
	v_lshrrev_b32_e32 v2, 5, v0
	v_add_u32_e32 v2, 1, v2
	v_and_b32_e32 v2, 3, v2
	v_pk_mov_b32 v[56:57], 0, 0
	v_cmp_ne_u32_e32 vcc, 0, v2
	s_mov_b64 s[10:11], 0
	v_pk_mov_b32 v[54:55], v[56:57], v[56:57] op_sel:[0,1]
	v_pk_mov_b32 v[52:53], v[56:57], v[56:57] op_sel:[0,1]
	;; [unrolled: 1-line block ×3, first 2 shown]
	s_and_saveexec_b64 s[6:7], vcc
	s_cbranch_execz .LBB28_31
; %bb.28:
	v_lshlrev_b64 v[4:5], 2, v[44:45]
	v_mov_b32_e32 v6, s13
	v_add_co_u32_e32 v4, vcc, s12, v4
	v_pk_mov_b32 v[50:51], 0, 0
	v_mov_b32_e32 v3, 0
	v_addc_co_u32_e32 v5, vcc, v6, v5, vcc
	v_lshlrev_b32_e32 v2, 5, v2
	s_movk_i32 s14, 0x1000
	s_waitcnt lgkmcnt(0)
	v_mov_b32_e32 v6, s9
	v_pk_mov_b32 v[52:53], v[50:51], v[50:51] op_sel:[0,1]
	v_pk_mov_b32 v[54:55], v[50:51], v[50:51] op_sel:[0,1]
	;; [unrolled: 1-line block ×3, first 2 shown]
.LBB28_29:                              ; =>This Inner Loop Header: Depth=1
	global_load_dword v7, v[4:5], off
	global_load_dwordx4 v[8:11], v[48:49], off offset:48
	global_load_dwordx4 v[12:15], v[48:49], off offset:32
	;; [unrolled: 1-line block ×3, first 2 shown]
	global_load_dwordx4 v[20:23], v[48:49], off
	global_load_dwordx4 v[24:27], v[48:49], off offset:80
	global_load_dwordx4 v[28:31], v[48:49], off offset:64
	v_add_co_u32_e64 v44, s[0:1], 32, v44
	v_addc_co_u32_e64 v45, s[0:1], 0, v45, s[0:1]
	s_waitcnt vmcnt(6)
	v_subrev_u32_e32 v7, s16, v7
	v_lshlrev_b32_e32 v32, 2, v7
	v_ashrrev_i32_e32 v33, 31, v32
	v_lshlrev_b64 v[32:33], 3, v[32:33]
	v_add_co_u32_e32 v70, vcc, s8, v32
	v_addc_co_u32_e32 v71, vcc, v6, v33, vcc
	global_load_dwordx4 v[32:35], v[70:71], off
	global_load_dwordx4 v[58:61], v[70:71], off offset:16
	global_load_dwordx4 v[62:65], v[48:49], off offset:96
	;; [unrolled: 1-line block ×3, first 2 shown]
	v_add_co_u32_e32 v48, vcc, s14, v48
	v_addc_co_u32_e32 v49, vcc, 0, v49, vcc
	v_add_co_u32_e32 v4, vcc, 0x80, v4
	v_addc_co_u32_e32 v5, vcc, 0, v5, vcc
	v_add_co_u32_e32 v2, vcc, 0xffffffe0, v2
	v_addc_co_u32_e32 v3, vcc, -1, v3, vcc
	v_cmp_eq_u64_e32 vcc, 0, v[2:3]
	s_or_b64 s[10:11], vcc, s[10:11]
	s_waitcnt vmcnt(3)
	v_fmac_f64_e32 v[56:57], v[20:21], v[32:33]
	v_fmac_f64_e32 v[54:55], v[22:23], v[32:33]
	;; [unrolled: 1-line block ×8, first 2 shown]
	s_waitcnt vmcnt(2)
	v_fmac_f64_e32 v[56:57], v[28:29], v[58:59]
	v_fmac_f64_e32 v[54:55], v[30:31], v[58:59]
	;; [unrolled: 1-line block ×4, first 2 shown]
	s_waitcnt vmcnt(1)
	v_fmac_f64_e32 v[56:57], v[62:63], v[60:61]
	v_fmac_f64_e32 v[54:55], v[64:65], v[60:61]
	s_waitcnt vmcnt(0)
	v_fmac_f64_e32 v[52:53], v[66:67], v[60:61]
	v_fmac_f64_e32 v[50:51], v[68:69], v[60:61]
	s_andn2_b64 exec, exec, s[10:11]
	s_cbranch_execnz .LBB28_29
; %bb.30:
	s_or_b64 exec, exec, s[10:11]
.LBB28_31:
	s_or_b64 exec, exec, s[6:7]
	s_mov_b64 s[0:1], 0x5f
	v_cmp_lt_u64_e32 vcc, s[0:1], v[0:1]
	s_and_saveexec_b64 s[6:7], vcc
	s_cbranch_execz .LBB28_35
; %bb.32:
	v_lshlrev_b64 v[0:1], 2, v[44:45]
	v_mov_b32_e32 v2, s13
	v_add_co_u32_e32 v0, vcc, s12, v0
	v_addc_co_u32_e32 v1, vcc, v1, v2, vcc
	v_add_co_u32_e32 v58, vcc, 0x100, v0
	v_addc_co_u32_e32 v59, vcc, 0, v1, vcc
	s_mov_b64 s[10:11], 0
	s_waitcnt lgkmcnt(0)
	v_mov_b32_e32 v41, s9
	s_movk_i32 s9, 0x1000
	s_movk_i32 s12, 0x2000
	;; [unrolled: 1-line block ×3, first 2 shown]
.LBB28_33:                              ; =>This Inner Loop Header: Depth=1
	global_load_dword v43, v[58:59], off offset:-256
	global_load_dwordx4 v[0:3], v[48:49], off offset:32
	global_load_dwordx4 v[4:7], v[48:49], off offset:16
	global_load_dwordx4 v[8:11], v[48:49], off
	global_load_dwordx4 v[12:15], v[48:49], off offset:112
	global_load_dwordx4 v[20:23], v[48:49], off offset:96
	;; [unrolled: 1-line block ×5, first 2 shown]
	v_add_co_u32_e32 v62, vcc, s9, v48
	v_addc_co_u32_e32 v63, vcc, 0, v49, vcc
	v_add_co_u32_e32 v60, vcc, s12, v48
	v_addc_co_u32_e32 v61, vcc, 0, v49, vcc
	;; [unrolled: 2-line block ×3, first 2 shown]
	global_load_dword v92, v[58:59], off offset:-128
	global_load_dword v94, v[58:59], off
	global_load_dword v95, v[58:59], off offset:128
	global_load_dwordx4 v[66:69], v[62:63], off offset:32
	global_load_dwordx4 v[70:73], v[62:63], off offset:16
	;; [unrolled: 1-line block ×6, first 2 shown]
	s_waitcnt vmcnt(17)
	v_subrev_u32_e32 v43, s16, v43
	v_lshlrev_b32_e32 v74, 2, v43
	v_ashrrev_i32_e32 v75, 31, v74
	v_lshlrev_b64 v[74:75], 3, v[74:75]
	v_add_co_u32_e32 v90, vcc, s8, v74
	v_addc_co_u32_e32 v91, vcc, v41, v75, vcc
	global_load_dwordx4 v[74:77], v[90:91], off
	s_waitcnt vmcnt(8)
	v_subrev_u32_e32 v43, s16, v94
	s_waitcnt vmcnt(0)
	v_fmac_f64_e32 v[56:57], v[8:9], v[74:75]
	v_fmac_f64_e32 v[54:55], v[10:11], v[74:75]
	;; [unrolled: 1-line block ×8, first 2 shown]
	global_load_dwordx4 v[8:11], v[62:63], off offset:48
	global_load_dwordx4 v[32:35], v[62:63], off offset:64
	;; [unrolled: 1-line block ×3, first 2 shown]
	global_load_dwordx4 v[4:7], v[60:61], off offset:-4096
	global_load_dwordx4 v[74:77], v[60:61], off offset:16
	s_waitcnt vmcnt(2)
	v_fmac_f64_e32 v[56:57], v[28:29], v[0:1]
	v_fmac_f64_e32 v[54:55], v[30:31], v[0:1]
	;; [unrolled: 1-line block ×4, first 2 shown]
	global_load_dwordx4 v[24:27], v[60:61], off
	v_subrev_u32_e32 v0, s16, v92
	v_lshlrev_b32_e32 v0, 2, v0
	v_ashrrev_i32_e32 v1, 31, v0
	v_lshlrev_b64 v[0:1], 3, v[0:1]
	v_fmac_f64_e32 v[56:57], v[20:21], v[2:3]
	v_add_co_u32_e32 v20, vcc, s8, v0
	v_addc_co_u32_e32 v21, vcc, v41, v1, vcc
	v_fmac_f64_e32 v[52:53], v[12:13], v[2:3]
	v_fmac_f64_e32 v[50:51], v[14:15], v[2:3]
	global_load_dwordx4 v[12:15], v[20:21], off
	v_fmac_f64_e32 v[54:55], v[22:23], v[2:3]
	global_load_dwordx4 v[28:31], v[60:61], off offset:32
	global_load_dwordx4 v[0:3], v[60:61], off offset:96
	s_waitcnt vmcnt(2)
	v_fmac_f64_e32 v[56:57], v[4:5], v[12:13]
	v_fmac_f64_e32 v[54:55], v[6:7], v[12:13]
	global_load_dwordx4 v[4:7], v[60:61], off offset:80
	v_fmac_f64_e32 v[52:53], v[70:71], v[12:13]
	v_fmac_f64_e32 v[50:51], v[72:73], v[12:13]
	;; [unrolled: 1-line block ×4, first 2 shown]
	global_load_dwordx4 v[66:69], v[60:61], off offset:48
	global_load_dwordx4 v[70:73], v[60:61], off offset:64
	;; [unrolled: 1-line block ×3, first 2 shown]
	v_subrev_u32_e32 v61, s16, v95
	v_lshlrev_b32_e32 v60, 2, v43
	v_lshlrev_b32_e32 v62, 2, v61
	v_ashrrev_i32_e32 v61, 31, v60
	v_lshlrev_b64 v[60:61], 3, v[60:61]
	v_ashrrev_i32_e32 v63, 31, v62
	v_lshlrev_b64 v[62:63], 3, v[62:63]
	v_fmac_f64_e32 v[52:53], v[8:9], v[14:15]
	v_fmac_f64_e32 v[50:51], v[10:11], v[14:15]
	global_load_dwordx4 v[8:11], v[64:65], off offset:48
	global_load_dwordx4 v[12:15], v[64:65], off offset:32
	global_load_dwordx4 v[20:23], v[64:65], off
	s_waitcnt vmcnt(3)
	v_fmac_f64_e32 v[56:57], v[32:33], v[90:91]
	v_fmac_f64_e32 v[56:57], v[82:83], v[92:93]
	v_add_co_u32_e32 v82, vcc, s8, v60
	v_fmac_f64_e32 v[54:55], v[34:35], v[90:91]
	global_load_dwordx4 v[32:35], v[64:65], off offset:16
	v_addc_co_u32_e32 v83, vcc, v41, v61, vcc
	v_fmac_f64_e32 v[54:55], v[84:85], v[92:93]
	v_add_co_u32_e32 v84, vcc, s8, v62
	v_addc_co_u32_e32 v85, vcc, v41, v63, vcc
	global_load_dwordx4 v[60:63], v[82:83], off
	v_fmac_f64_e32 v[52:53], v[86:87], v[90:91]
	v_fmac_f64_e32 v[50:51], v[88:89], v[90:91]
	;; [unrolled: 1-line block ×4, first 2 shown]
	v_add_co_u32_e32 v44, vcc, 0x80, v44
	v_addc_co_u32_e32 v45, vcc, 0, v45, vcc
	v_add_co_u32_e32 v58, vcc, 0x200, v58
	v_addc_co_u32_e32 v59, vcc, 0, v59, vcc
	v_cmp_ge_i64_e64 s[0:1], v[44:45], v[46:47]
	v_add_co_u32_e32 v48, vcc, 0x4000, v48
	v_addc_co_u32_e32 v49, vcc, 0, v49, vcc
	s_or_b64 s[10:11], s[0:1], s[10:11]
	s_waitcnt vmcnt(0)
	v_fmac_f64_e32 v[56:57], v[24:25], v[60:61]
	v_fmac_f64_e32 v[54:55], v[26:27], v[60:61]
	;; [unrolled: 1-line block ×4, first 2 shown]
	global_load_dwordx4 v[24:27], v[64:65], off offset:96
	global_load_dwordx4 v[74:77], v[64:65], off offset:80
	v_fmac_f64_e32 v[56:57], v[28:29], v[62:63]
	v_fmac_f64_e32 v[54:55], v[30:31], v[62:63]
	global_load_dwordx4 v[28:31], v[64:65], off offset:64
	v_fmac_f64_e32 v[52:53], v[66:67], v[62:63]
	v_fmac_f64_e32 v[50:51], v[68:69], v[62:63]
	global_load_dwordx4 v[60:63], v[82:83], off offset:16
	global_load_dwordx4 v[66:69], v[84:85], off
	global_load_dwordx4 v[78:81], v[84:85], off offset:16
	s_waitcnt vmcnt(2)
	v_fmac_f64_e32 v[56:57], v[70:71], v[60:61]
	v_fmac_f64_e32 v[54:55], v[72:73], v[60:61]
	global_load_dwordx4 v[70:73], v[64:65], off offset:112
	v_fmac_f64_e32 v[52:53], v[4:5], v[60:61]
	v_fmac_f64_e32 v[50:51], v[6:7], v[60:61]
	v_fmac_f64_e32 v[56:57], v[0:1], v[62:63]
	v_fmac_f64_e32 v[54:55], v[2:3], v[62:63]
	v_fmac_f64_e32 v[52:53], v[16:17], v[62:63]
	v_fmac_f64_e32 v[50:51], v[18:19], v[62:63]
	s_waitcnt vmcnt(2)
	v_fmac_f64_e32 v[56:57], v[20:21], v[66:67]
	v_fmac_f64_e32 v[54:55], v[22:23], v[66:67]
	;; [unrolled: 1-line block ×8, first 2 shown]
	s_waitcnt vmcnt(1)
	v_fmac_f64_e32 v[56:57], v[28:29], v[78:79]
	v_fmac_f64_e32 v[54:55], v[30:31], v[78:79]
	;; [unrolled: 1-line block ×6, first 2 shown]
	s_waitcnt vmcnt(0)
	v_fmac_f64_e32 v[52:53], v[70:71], v[80:81]
	v_fmac_f64_e32 v[50:51], v[72:73], v[80:81]
	s_andn2_b64 exec, exec, s[10:11]
	s_cbranch_execnz .LBB28_33
; %bb.34:
	s_or_b64 exec, exec, s[10:11]
.LBB28_35:
	s_or_b64 exec, exec, s[6:7]
.LBB28_36:
	s_or_b64 exec, exec, s[2:3]
.LBB28_37:
	v_mov_b32_dpp v0, v56 row_shr:1 row_mask:0xf bank_mask:0xf
	v_mov_b32_dpp v1, v57 row_shr:1 row_mask:0xf bank_mask:0xf
	v_mov_b32_dpp v4, v54 row_shr:1 row_mask:0xf bank_mask:0xf
	v_mov_b32_dpp v5, v55 row_shr:1 row_mask:0xf bank_mask:0xf
	v_mov_b32_dpp v8, v52 row_shr:1 row_mask:0xf bank_mask:0xf
	v_mov_b32_dpp v9, v53 row_shr:1 row_mask:0xf bank_mask:0xf
	v_mov_b32_dpp v12, v50 row_shr:1 row_mask:0xf bank_mask:0xf
	v_mov_b32_dpp v13, v51 row_shr:1 row_mask:0xf bank_mask:0xf
	v_add_f64 v[0:1], v[56:57], v[0:1]
	v_add_f64 v[4:5], v[54:55], v[4:5]
	v_add_f64 v[8:9], v[52:53], v[8:9]
	v_add_f64 v[12:13], v[50:51], v[12:13]
	v_mov_b32_dpp v2, v0 row_shr:2 row_mask:0xf bank_mask:0xf
	v_mov_b32_dpp v3, v1 row_shr:2 row_mask:0xf bank_mask:0xf
	v_mov_b32_dpp v6, v4 row_shr:2 row_mask:0xf bank_mask:0xf
	v_mov_b32_dpp v7, v5 row_shr:2 row_mask:0xf bank_mask:0xf
	v_mov_b32_dpp v10, v8 row_shr:2 row_mask:0xf bank_mask:0xf
	v_mov_b32_dpp v11, v9 row_shr:2 row_mask:0xf bank_mask:0xf
	v_mov_b32_dpp v14, v12 row_shr:2 row_mask:0xf bank_mask:0xf
	v_mov_b32_dpp v15, v13 row_shr:2 row_mask:0xf bank_mask:0xf
	v_add_f64 v[0:1], v[0:1], v[2:3]
	v_add_f64 v[4:5], v[4:5], v[6:7]
	v_add_f64 v[8:9], v[8:9], v[10:11]
	v_add_f64 v[12:13], v[12:13], v[14:15]
	;; [unrolled: 12-line block ×4, first 2 shown]
	v_mov_b32_dpp v2, v0 row_bcast:15 row_mask:0xa bank_mask:0xf
	v_mov_b32_dpp v3, v1 row_bcast:15 row_mask:0xa bank_mask:0xf
	v_mov_b32_dpp v6, v4 row_bcast:15 row_mask:0xa bank_mask:0xf
	v_mov_b32_dpp v7, v5 row_bcast:15 row_mask:0xa bank_mask:0xf
	v_mov_b32_dpp v10, v8 row_bcast:15 row_mask:0xa bank_mask:0xf
	v_mov_b32_dpp v11, v9 row_bcast:15 row_mask:0xa bank_mask:0xf
	v_mov_b32_dpp v14, v12 row_bcast:15 row_mask:0xa bank_mask:0xf
	v_mov_b32_dpp v15, v13 row_bcast:15 row_mask:0xa bank_mask:0xf
	v_cmp_eq_u32_e32 vcc, 31, v42
	s_and_b64 exec, exec, vcc
	s_cbranch_execz .LBB28_10
; %bb.38:
	s_load_dwordx2 s[0:1], s[4:5], 0x50
	v_add_f64 v[0:1], v[0:1], v[2:3]
	v_add_f64 v[2:3], v[4:5], v[6:7]
	v_add_f64 v[8:9], v[8:9], v[10:11]
	v_add_f64 v[10:11], v[12:13], v[14:15]
	v_cmp_eq_f64_e32 vcc, 0, v[36:37]
	v_mul_f64 v[4:5], v[38:39], v[0:1]
	v_mul_f64 v[6:7], v[38:39], v[2:3]
	;; [unrolled: 1-line block ×4, first 2 shown]
	v_lshlrev_b32_e32 v8, 2, v40
	s_and_saveexec_b64 s[2:3], vcc
	s_xor_b64 s[2:3], exec, s[2:3]
	s_cbranch_execz .LBB28_40
; %bb.39:
	v_ashrrev_i32_e32 v9, 31, v8
	v_lshlrev_b64 v[8:9], 3, v[8:9]
	s_waitcnt lgkmcnt(0)
	v_mov_b32_e32 v10, s1
	v_add_co_u32_e32 v8, vcc, s0, v8
	v_addc_co_u32_e32 v9, vcc, v10, v9, vcc
	global_store_dwordx4 v[8:9], v[4:7], off
	global_store_dwordx4 v[8:9], v[0:3], off offset:16
                                        ; implicit-def: $vgpr8
                                        ; implicit-def: $vgpr36_vgpr37
                                        ; implicit-def: $vgpr4_vgpr5
                                        ; implicit-def: $vgpr0_vgpr1
.LBB28_40:
	s_andn2_saveexec_b64 s[2:3], s[2:3]
	s_cbranch_execz .LBB28_10
; %bb.41:
	v_ashrrev_i32_e32 v9, 31, v8
	v_lshlrev_b64 v[8:9], 3, v[8:9]
	s_waitcnt lgkmcnt(0)
	v_mov_b32_e32 v10, s1
	v_add_co_u32_e32 v16, vcc, s0, v8
	v_addc_co_u32_e32 v17, vcc, v10, v9, vcc
	global_load_dwordx4 v[8:11], v[16:17], off
	global_load_dwordx4 v[12:15], v[16:17], off offset:16
	s_waitcnt vmcnt(1)
	v_fmac_f64_e32 v[4:5], v[36:37], v[8:9]
	v_fmac_f64_e32 v[6:7], v[36:37], v[10:11]
	s_waitcnt vmcnt(0)
	v_fmac_f64_e32 v[0:1], v[36:37], v[12:13]
	v_fmac_f64_e32 v[2:3], v[36:37], v[14:15]
	global_store_dwordx4 v[16:17], v[4:7], off
	global_store_dwordx4 v[16:17], v[0:3], off offset:16
	s_endpgm
	.section	.rodata,"a",@progbits
	.p2align	6, 0x0
	.amdhsa_kernel _ZN9rocsparseL18bsrxmvn_4x4_kernelILj128ELj32EdlidddEEvT3_20rocsparse_direction_NS_24const_host_device_scalarIT1_EES1_PKS1_PKT2_SA_S7_PKT4_PKT5_S5_PT6_21rocsparse_index_base_b
		.amdhsa_group_segment_fixed_size 0
		.amdhsa_private_segment_fixed_size 0
		.amdhsa_kernarg_size 96
		.amdhsa_user_sgpr_count 6
		.amdhsa_user_sgpr_private_segment_buffer 1
		.amdhsa_user_sgpr_dispatch_ptr 0
		.amdhsa_user_sgpr_queue_ptr 0
		.amdhsa_user_sgpr_kernarg_segment_ptr 1
		.amdhsa_user_sgpr_dispatch_id 0
		.amdhsa_user_sgpr_flat_scratch_init 0
		.amdhsa_user_sgpr_kernarg_preload_length 0
		.amdhsa_user_sgpr_kernarg_preload_offset 0
		.amdhsa_user_sgpr_private_segment_size 0
		.amdhsa_uses_dynamic_stack 0
		.amdhsa_system_sgpr_private_segment_wavefront_offset 0
		.amdhsa_system_sgpr_workgroup_id_x 1
		.amdhsa_system_sgpr_workgroup_id_y 0
		.amdhsa_system_sgpr_workgroup_id_z 0
		.amdhsa_system_sgpr_workgroup_info 0
		.amdhsa_system_vgpr_workitem_id 0
		.amdhsa_next_free_vgpr 108
		.amdhsa_next_free_sgpr 25
		.amdhsa_accum_offset 108
		.amdhsa_reserve_vcc 1
		.amdhsa_reserve_flat_scratch 0
		.amdhsa_float_round_mode_32 0
		.amdhsa_float_round_mode_16_64 0
		.amdhsa_float_denorm_mode_32 3
		.amdhsa_float_denorm_mode_16_64 3
		.amdhsa_dx10_clamp 1
		.amdhsa_ieee_mode 1
		.amdhsa_fp16_overflow 0
		.amdhsa_tg_split 0
		.amdhsa_exception_fp_ieee_invalid_op 0
		.amdhsa_exception_fp_denorm_src 0
		.amdhsa_exception_fp_ieee_div_zero 0
		.amdhsa_exception_fp_ieee_overflow 0
		.amdhsa_exception_fp_ieee_underflow 0
		.amdhsa_exception_fp_ieee_inexact 0
		.amdhsa_exception_int_div_zero 0
	.end_amdhsa_kernel
	.section	.text._ZN9rocsparseL18bsrxmvn_4x4_kernelILj128ELj32EdlidddEEvT3_20rocsparse_direction_NS_24const_host_device_scalarIT1_EES1_PKS1_PKT2_SA_S7_PKT4_PKT5_S5_PT6_21rocsparse_index_base_b,"axG",@progbits,_ZN9rocsparseL18bsrxmvn_4x4_kernelILj128ELj32EdlidddEEvT3_20rocsparse_direction_NS_24const_host_device_scalarIT1_EES1_PKS1_PKT2_SA_S7_PKT4_PKT5_S5_PT6_21rocsparse_index_base_b,comdat
.Lfunc_end28:
	.size	_ZN9rocsparseL18bsrxmvn_4x4_kernelILj128ELj32EdlidddEEvT3_20rocsparse_direction_NS_24const_host_device_scalarIT1_EES1_PKS1_PKT2_SA_S7_PKT4_PKT5_S5_PT6_21rocsparse_index_base_b, .Lfunc_end28-_ZN9rocsparseL18bsrxmvn_4x4_kernelILj128ELj32EdlidddEEvT3_20rocsparse_direction_NS_24const_host_device_scalarIT1_EES1_PKS1_PKT2_SA_S7_PKT4_PKT5_S5_PT6_21rocsparse_index_base_b
                                        ; -- End function
	.section	.AMDGPU.csdata,"",@progbits
; Kernel info:
; codeLenInByte = 4136
; NumSgprs: 29
; NumVgprs: 108
; NumAgprs: 0
; TotalNumVgprs: 108
; ScratchSize: 0
; MemoryBound: 1
; FloatMode: 240
; IeeeMode: 1
; LDSByteSize: 0 bytes/workgroup (compile time only)
; SGPRBlocks: 3
; VGPRBlocks: 13
; NumSGPRsForWavesPerEU: 29
; NumVGPRsForWavesPerEU: 108
; AccumOffset: 108
; Occupancy: 4
; WaveLimiterHint : 1
; COMPUTE_PGM_RSRC2:SCRATCH_EN: 0
; COMPUTE_PGM_RSRC2:USER_SGPR: 6
; COMPUTE_PGM_RSRC2:TRAP_HANDLER: 0
; COMPUTE_PGM_RSRC2:TGID_X_EN: 1
; COMPUTE_PGM_RSRC2:TGID_Y_EN: 0
; COMPUTE_PGM_RSRC2:TGID_Z_EN: 0
; COMPUTE_PGM_RSRC2:TIDIG_COMP_CNT: 0
; COMPUTE_PGM_RSRC3_GFX90A:ACCUM_OFFSET: 26
; COMPUTE_PGM_RSRC3_GFX90A:TG_SPLIT: 0
	.section	.text._ZN9rocsparseL18bsrxmvn_4x4_kernelILj128ELj64EdlidddEEvT3_20rocsparse_direction_NS_24const_host_device_scalarIT1_EES1_PKS1_PKT2_SA_S7_PKT4_PKT5_S5_PT6_21rocsparse_index_base_b,"axG",@progbits,_ZN9rocsparseL18bsrxmvn_4x4_kernelILj128ELj64EdlidddEEvT3_20rocsparse_direction_NS_24const_host_device_scalarIT1_EES1_PKS1_PKT2_SA_S7_PKT4_PKT5_S5_PT6_21rocsparse_index_base_b,comdat
	.globl	_ZN9rocsparseL18bsrxmvn_4x4_kernelILj128ELj64EdlidddEEvT3_20rocsparse_direction_NS_24const_host_device_scalarIT1_EES1_PKS1_PKT2_SA_S7_PKT4_PKT5_S5_PT6_21rocsparse_index_base_b ; -- Begin function _ZN9rocsparseL18bsrxmvn_4x4_kernelILj128ELj64EdlidddEEvT3_20rocsparse_direction_NS_24const_host_device_scalarIT1_EES1_PKS1_PKT2_SA_S7_PKT4_PKT5_S5_PT6_21rocsparse_index_base_b
	.p2align	8
	.type	_ZN9rocsparseL18bsrxmvn_4x4_kernelILj128ELj64EdlidddEEvT3_20rocsparse_direction_NS_24const_host_device_scalarIT1_EES1_PKS1_PKT2_SA_S7_PKT4_PKT5_S5_PT6_21rocsparse_index_base_b,@function
_ZN9rocsparseL18bsrxmvn_4x4_kernelILj128ELj64EdlidddEEvT3_20rocsparse_direction_NS_24const_host_device_scalarIT1_EES1_PKS1_PKT2_SA_S7_PKT4_PKT5_S5_PT6_21rocsparse_index_base_b: ; @_ZN9rocsparseL18bsrxmvn_4x4_kernelILj128ELj64EdlidddEEvT3_20rocsparse_direction_NS_24const_host_device_scalarIT1_EES1_PKS1_PKT2_SA_S7_PKT4_PKT5_S5_PT6_21rocsparse_index_base_b
; %bb.0:
	s_load_dwordx2 s[16:17], s[4:5], 0x58
	s_load_dwordx2 s[8:9], s[4:5], 0x8
	;; [unrolled: 1-line block ×3, first 2 shown]
	s_waitcnt lgkmcnt(0)
	s_bitcmp1_b32 s17, 0
	s_cselect_b64 s[10:11], -1, 0
	s_xor_b64 s[2:3], s[10:11], -1
	s_and_b64 vcc, exec, s[10:11]
	v_pk_mov_b32 v[38:39], s[8:9], s[8:9] op_sel:[0,1]
	s_cbranch_vccnz .LBB29_2
; %bb.1:
	v_pk_mov_b32 v[2:3], s[8:9], s[8:9] op_sel:[0,1]
	flat_load_dwordx2 v[38:39], v[2:3]
.LBB29_2:
	s_andn2_b64 vcc, exec, s[2:3]
	v_pk_mov_b32 v[36:37], s[0:1], s[0:1] op_sel:[0,1]
	s_cbranch_vccnz .LBB29_4
; %bb.3:
	v_pk_mov_b32 v[2:3], s[0:1], s[0:1] op_sel:[0,1]
	flat_load_dwordx2 v[36:37], v[2:3]
.LBB29_4:
	s_waitcnt vmcnt(0) lgkmcnt(0)
	v_cmp_neq_f64_e32 vcc, 0, v[38:39]
	v_cmp_neq_f64_e64 s[0:1], 1.0, v[36:37]
	s_mov_b64 s[2:3], 0
	s_or_b64 s[0:1], vcc, s[0:1]
	s_and_saveexec_b64 s[8:9], s[0:1]
	s_cbranch_execz .LBB29_10
; %bb.5:
	s_load_dwordx2 s[8:9], s[4:5], 0x18
	s_load_dwordx2 s[0:1], s[4:5], 0x0
	v_lshrrev_b32_e32 v1, 6, v0
	v_lshl_or_b32 v40, s6, 1, v1
	s_mov_b64 s[6:7], 0
	s_waitcnt lgkmcnt(0)
	s_cmp_lg_u64 s[8:9], 0
	s_cbranch_scc0 .LBB29_11
; %bb.6:
	s_load_dword s2, s[4:5], 0x10
                                        ; implicit-def: $vgpr1
	s_waitcnt lgkmcnt(0)
	v_cmp_gt_i32_e32 vcc, s2, v40
	s_and_saveexec_b64 s[2:3], vcc
	s_xor_b64 s[2:3], exec, s[2:3]
	s_cbranch_execz .LBB29_8
; %bb.7:
	v_ashrrev_i32_e32 v41, 31, v40
	v_lshlrev_b64 v[2:3], 2, v[40:41]
	v_mov_b32_e32 v1, s9
	v_add_co_u32_e32 v2, vcc, s8, v2
	v_addc_co_u32_e32 v3, vcc, v1, v3, vcc
	global_load_dword v1, v[2:3], off
	s_mov_b64 s[6:7], exec
	s_waitcnt vmcnt(0)
	v_subrev_u32_e32 v1, s16, v1
.LBB29_8:
	s_or_b64 exec, exec, s[2:3]
	s_mov_b64 s[2:3], s[6:7]
	s_branch .LBB29_12
.LBB29_9:
	v_cmp_gt_i32_e32 vcc, s0, v40
	s_andn2_b64 s[2:3], s[2:3], exec
	s_and_b64 s[6:7], vcc, exec
	s_or_b64 s[2:3], s[2:3], s[6:7]
	s_and_b64 exec, exec, s[2:3]
	s_cbranch_execnz .LBB29_13
.LBB29_10:
	s_endpgm
.LBB29_11:
                                        ; implicit-def: $vgpr1
	s_cbranch_execnz .LBB29_9
.LBB29_12:
	v_mov_b32_e32 v40, v1
	s_and_b64 exec, exec, s[2:3]
	s_cbranch_execz .LBB29_10
.LBB29_13:
	s_load_dwordx8 s[8:15], s[4:5], 0x20
	v_ashrrev_i32_e32 v41, 31, v40
	v_lshlrev_b64 v[2:3], 3, v[40:41]
	v_and_b32_e32 v42, 63, v0
	s_mov_b32 s17, 0
	s_waitcnt lgkmcnt(0)
	v_mov_b32_e32 v1, s9
	v_add_co_u32_e32 v4, vcc, s8, v2
	v_addc_co_u32_e32 v5, vcc, v1, v3, vcc
	v_add_co_u32_e32 v1, vcc, 8, v4
	global_load_dwordx2 v[58:59], v[4:5], off
	v_addc_co_u32_e32 v4, vcc, 0, v5, vcc
	v_mov_b32_e32 v5, s11
	v_add_co_u32_e32 v2, vcc, s10, v2
	s_cmp_eq_u64 s[10:11], 0
	v_addc_co_u32_e32 v3, vcc, v5, v3, vcc
	s_cselect_b64 vcc, -1, 0
	v_cndmask_b32_e32 v3, v3, v4, vcc
	v_cndmask_b32_e32 v2, v2, v1, vcc
	global_load_dwordx2 v[2:3], v[2:3], off
	s_load_dwordx2 s[8:9], s[4:5], 0x40
	v_mov_b32_e32 v4, s15
	s_cmp_eq_u32 s1, 1
	s_waitcnt vmcnt(1)
	v_subrev_co_u32_e32 v0, vcc, s16, v58
	v_subbrev_co_u32_e32 v1, vcc, 0, v59, vcc
	v_add_co_u32_e32 v46, vcc, v0, v42
	v_addc_co_u32_e32 v47, vcc, 0, v1, vcc
	v_lshlrev_b64 v[0:1], 7, v[46:47]
	s_waitcnt vmcnt(0)
	v_subrev_co_u32_e32 v48, vcc, s16, v2
	v_subbrev_co_u32_e32 v49, vcc, 0, v3, vcc
	v_add_co_u32_e32 v50, vcc, s14, v0
	v_addc_co_u32_e32 v51, vcc, v4, v1, vcc
	v_cmp_lt_i64_e64 s[0:1], v[46:47], v[48:49]
	s_cbranch_scc1 .LBB29_25
; %bb.14:
	v_pk_mov_b32 v[44:45], 0, 0
	s_mov_b64 s[10:11], 0
	v_pk_mov_b32 v[52:53], v[44:45], v[44:45] op_sel:[0,1]
	v_pk_mov_b32 v[54:55], v[44:45], v[44:45] op_sel:[0,1]
	;; [unrolled: 1-line block ×3, first 2 shown]
	s_and_saveexec_b64 s[14:15], s[0:1]
	s_cbranch_execz .LBB29_24
; %bb.15:
	v_or_b32_e32 v0, 64, v42
	v_mov_b32_e32 v1, s17
	v_subrev_co_u32_e32 v0, vcc, s16, v0
	v_subb_co_u32_e32 v1, vcc, 0, v1, vcc
	v_add_co_u32_e32 v0, vcc, v0, v58
	v_addc_co_u32_e32 v1, vcc, v1, v59, vcc
	v_cmp_gt_i64_e32 vcc, v[0:1], v[48:49]
	v_cndmask_b32_e32 v1, v49, v1, vcc
	v_cndmask_b32_e32 v0, v48, v0, vcc
	v_mov_b32_e32 v4, s17
	v_sub_co_u32_e32 v5, vcc, s16, v42
	v_not_b32_e32 v3, v58
	v_subbrev_co_u32_e32 v4, vcc, 0, v4, vcc
	v_not_b32_e32 v2, v59
	v_add_co_u32_e32 v3, vcc, v5, v3
	v_addc_co_u32_e32 v2, vcc, v4, v2, vcc
	v_add_co_u32_e32 v0, vcc, v3, v0
	v_addc_co_u32_e32 v1, vcc, v2, v1, vcc
	v_lshrrev_b32_e32 v2, 6, v0
	v_add_u32_e32 v2, 1, v2
	v_and_b32_e32 v2, 3, v2
	v_pk_mov_b32 v[56:57], 0, 0
	v_cmp_ne_u32_e32 vcc, 0, v2
	s_mov_b64 s[18:19], 0
	v_pk_mov_b32 v[54:55], v[56:57], v[56:57] op_sel:[0,1]
	v_pk_mov_b32 v[52:53], v[56:57], v[56:57] op_sel:[0,1]
	;; [unrolled: 1-line block ×5, first 2 shown]
	s_and_saveexec_b64 s[6:7], vcc
	s_cbranch_execz .LBB29_19
; %bb.16:
	v_lshlrev_b64 v[4:5], 2, v[46:47]
	v_mov_b32_e32 v6, s13
	v_add_co_u32_e32 v4, vcc, s12, v4
	v_pk_mov_b32 v[44:45], 0, 0
	v_mov_b32_e32 v3, 0
	v_addc_co_u32_e32 v5, vcc, v6, v5, vcc
	v_lshlrev_b32_e32 v2, 5, v2
	s_movk_i32 s20, 0x2000
	s_waitcnt lgkmcnt(0)
	v_mov_b32_e32 v6, s9
	v_pk_mov_b32 v[62:63], v[50:51], v[50:51] op_sel:[0,1]
	v_pk_mov_b32 v[60:61], v[46:47], v[46:47] op_sel:[0,1]
	;; [unrolled: 1-line block ×5, first 2 shown]
.LBB29_17:                              ; =>This Inner Loop Header: Depth=1
	global_load_dword v7, v[4:5], off
	global_load_dwordx4 v[8:11], v[62:63], off offset:48
	global_load_dwordx4 v[12:15], v[62:63], off offset:32
	;; [unrolled: 1-line block ×3, first 2 shown]
	global_load_dwordx4 v[20:23], v[62:63], off
	global_load_dwordx4 v[24:27], v[62:63], off offset:112
	global_load_dwordx4 v[28:31], v[62:63], off offset:96
	;; [unrolled: 1-line block ×4, first 2 shown]
	v_add_co_u32_e64 v60, s[2:3], 64, v60
	v_addc_co_u32_e64 v61, s[2:3], 0, v61, s[2:3]
	s_waitcnt vmcnt(8)
	v_subrev_u32_e32 v7, s16, v7
	v_lshlrev_b32_e32 v68, 2, v7
	v_ashrrev_i32_e32 v69, 31, v68
	v_lshlrev_b64 v[68:69], 3, v[68:69]
	v_add_co_u32_e32 v76, vcc, s8, v68
	v_addc_co_u32_e32 v77, vcc, v6, v69, vcc
	global_load_dwordx4 v[68:71], v[76:77], off
	global_load_dwordx4 v[72:75], v[76:77], off offset:16
	v_add_co_u32_e32 v62, vcc, s20, v62
	v_addc_co_u32_e32 v63, vcc, 0, v63, vcc
	v_add_co_u32_e32 v4, vcc, 0x100, v4
	v_addc_co_u32_e32 v5, vcc, 0, v5, vcc
	v_add_co_u32_e32 v2, vcc, 0xffffffe0, v2
	v_addc_co_u32_e32 v3, vcc, -1, v3, vcc
	v_cmp_eq_u64_e32 vcc, 0, v[2:3]
	s_or_b64 s[18:19], vcc, s[18:19]
	s_waitcnt vmcnt(1)
	v_fmac_f64_e32 v[56:57], v[20:21], v[68:69]
	v_fmac_f64_e32 v[54:55], v[12:13], v[68:69]
	;; [unrolled: 1-line block ×8, first 2 shown]
	s_waitcnt vmcnt(0)
	v_fmac_f64_e32 v[56:57], v[16:17], v[72:73]
	v_fmac_f64_e32 v[54:55], v[8:9], v[72:73]
	v_fmac_f64_e32 v[52:53], v[32:33], v[72:73]
	v_fmac_f64_e32 v[44:45], v[24:25], v[72:73]
	v_fmac_f64_e32 v[56:57], v[18:19], v[74:75]
	v_fmac_f64_e32 v[54:55], v[10:11], v[74:75]
	v_fmac_f64_e32 v[52:53], v[34:35], v[74:75]
	v_fmac_f64_e32 v[44:45], v[26:27], v[74:75]
	s_andn2_b64 exec, exec, s[18:19]
	s_cbranch_execnz .LBB29_17
; %bb.18:
	s_or_b64 exec, exec, s[18:19]
.LBB29_19:
	s_or_b64 exec, exec, s[6:7]
	s_mov_b64 s[2:3], 0xbf
	v_cmp_lt_u64_e32 vcc, s[2:3], v[0:1]
	s_and_saveexec_b64 s[18:19], vcc
	s_cbranch_execz .LBB29_23
; %bb.20:
	v_lshlrev_b64 v[0:1], 2, v[60:61]
	v_mov_b32_e32 v2, s13
	v_add_co_u32_e32 v0, vcc, s12, v0
	v_addc_co_u32_e32 v1, vcc, v1, v2, vcc
	v_add_co_u32_e32 v64, vcc, 0x200, v0
	v_addc_co_u32_e32 v65, vcc, 0, v1, vcc
	s_mov_b64 s[20:21], 0
	s_waitcnt lgkmcnt(0)
	v_mov_b32_e32 v41, s9
	s_movk_i32 s22, 0x2000
	s_movk_i32 s23, 0x4000
	;; [unrolled: 1-line block ×3, first 2 shown]
.LBB29_21:                              ; =>This Inner Loop Header: Depth=1
	global_load_dword v34, v[64:65], off offset:-512
	global_load_dwordx4 v[0:3], v[62:63], off offset:48
	global_load_dwordx4 v[8:11], v[62:63], off offset:32
	;; [unrolled: 1-line block ×3, first 2 shown]
	global_load_dwordx4 v[12:15], v[62:63], off
	global_load_dwordx4 v[16:19], v[62:63], off offset:112
	global_load_dwordx4 v[24:27], v[62:63], off offset:96
	;; [unrolled: 1-line block ×4, first 2 shown]
	v_add_co_u32_e32 v66, vcc, s23, v62
	v_add_co_u32_e64 v68, s[6:7], s24, v62
	v_addc_co_u32_e32 v67, vcc, 0, v63, vcc
	v_addc_co_u32_e64 v69, vcc, 0, v63, s[6:7]
	v_add_co_u32_e64 v32, s[2:3], s22, v62
	v_addc_co_u32_e64 v33, s[2:3], 0, v63, s[2:3]
	global_load_dword v43, v[64:65], off offset:-256
	global_load_dword v104, v[64:65], off
	global_load_dword v105, v[64:65], off offset:256
	global_load_dwordx4 v[70:73], v[32:33], off offset:48
	global_load_dwordx4 v[74:77], v[32:33], off offset:32
	global_load_dwordx4 v[78:81], v[32:33], off
	global_load_dwordx4 v[82:85], v[32:33], off offset:16
	global_load_dwordx4 v[86:89], v[32:33], off offset:112
	;; [unrolled: 1-line block ×4, first 2 shown]
	s_waitcnt vmcnt(18)
	v_subrev_u32_e32 v34, s16, v34
	v_lshlrev_b32_e32 v34, 2, v34
	v_ashrrev_i32_e32 v35, 31, v34
	v_lshlrev_b64 v[34:35], 3, v[34:35]
	v_add_co_u32_e32 v102, vcc, s8, v34
	v_addc_co_u32_e32 v103, vcc, v41, v35, vcc
	global_load_dwordx4 v[90:93], v[102:103], off
	s_waitcnt vmcnt(0)
	v_fmac_f64_e32 v[56:57], v[12:13], v[90:91]
	v_fmac_f64_e32 v[54:55], v[8:9], v[90:91]
	;; [unrolled: 1-line block ×6, first 2 shown]
	global_load_dwordx4 v[28:31], v[32:33], off offset:64
	global_load_dwordx4 v[8:11], v[66:67], off offset:48
	s_nop 0
	global_load_dwordx4 v[32:35], v[66:67], off offset:32
	global_load_dwordx4 v[12:15], v[102:103], off offset:16
	v_fmac_f64_e32 v[44:45], v[24:25], v[90:91]
	v_fmac_f64_e32 v[44:45], v[26:27], v[92:93]
	global_load_dwordx4 v[90:93], v[66:67], off
	s_waitcnt vmcnt(1)
	v_fmac_f64_e32 v[44:45], v[16:17], v[12:13]
	v_subrev_u32_e32 v16, s16, v43
	v_lshlrev_b32_e32 v16, 2, v16
	v_ashrrev_i32_e32 v17, 31, v16
	v_lshlrev_b64 v[16:17], 3, v[16:17]
	v_add_co_u32_e32 v102, vcc, s8, v16
	v_addc_co_u32_e32 v103, vcc, v41, v17, vcc
	global_load_dwordx4 v[24:27], v[102:103], off
	v_fmac_f64_e32 v[56:57], v[4:5], v[12:13]
	v_fmac_f64_e32 v[54:55], v[0:1], v[12:13]
	;; [unrolled: 1-line block ×5, first 2 shown]
	global_load_dwordx4 v[0:3], v[66:67], off offset:16
	v_fmac_f64_e32 v[52:53], v[22:23], v[14:15]
	v_fmac_f64_e32 v[44:45], v[18:19], v[14:15]
	global_load_dwordx4 v[4:7], v[66:67], off offset:112
	global_load_dwordx4 v[12:15], v[66:67], off offset:96
	;; [unrolled: 1-line block ×3, first 2 shown]
	global_load_dwordx4 v[20:23], v[68:69], off
	v_subrev_u32_e32 v43, s16, v104
	s_waitcnt vmcnt(5)
	v_fmac_f64_e32 v[56:57], v[78:79], v[24:25]
	v_fmac_f64_e32 v[54:55], v[74:75], v[24:25]
	;; [unrolled: 1-line block ×6, first 2 shown]
	global_load_dwordx4 v[74:77], v[66:67], off offset:64
	v_fmac_f64_e32 v[52:53], v[30:31], v[26:27]
	v_fmac_f64_e32 v[44:45], v[96:97], v[26:27]
	global_load_dwordx4 v[24:27], v[68:69], off offset:48
	global_load_dwordx4 v[28:31], v[68:69], off offset:32
	;; [unrolled: 1-line block ×3, first 2 shown]
	v_lshlrev_b32_e32 v66, 2, v43
	v_ashrrev_i32_e32 v67, 31, v66
	v_lshlrev_b64 v[66:67], 3, v[66:67]
	v_subrev_u32_e32 v43, s16, v105
	global_load_dwordx4 v[94:97], v[68:69], off offset:80
	s_waitcnt vmcnt(1)
	v_fmac_f64_e32 v[52:53], v[98:99], v[78:79]
	v_add_co_u32_e32 v98, vcc, s8, v66
	v_fmac_f64_e32 v[56:57], v[82:83], v[78:79]
	v_fmac_f64_e32 v[54:55], v[70:71], v[78:79]
	;; [unrolled: 1-line block ×3, first 2 shown]
	v_addc_co_u32_e32 v99, vcc, v41, v67, vcc
	v_fmac_f64_e32 v[56:57], v[84:85], v[80:81]
	v_fmac_f64_e32 v[54:55], v[72:73], v[80:81]
	;; [unrolled: 1-line block ×4, first 2 shown]
	global_load_dwordx4 v[86:89], v[68:69], off offset:64
	global_load_dwordx4 v[78:81], v[98:99], off
	v_lshlrev_b32_e32 v66, 2, v43
	v_ashrrev_i32_e32 v67, 31, v66
	v_lshlrev_b64 v[66:67], 3, v[66:67]
	v_add_co_u32_e32 v100, vcc, s8, v66
	global_load_dwordx4 v[82:85], v[68:69], off offset:112
	global_load_dwordx4 v[70:73], v[68:69], off offset:96
	v_addc_co_u32_e32 v101, vcc, v41, v67, vcc
	global_load_dwordx4 v[66:69], v[68:69], off offset:16
	v_add_co_u32_e32 v60, vcc, 0x100, v60
	s_mov_b64 s[2:3], vcc
	v_add_co_u32_e32 v64, vcc, 0x400, v64
	s_mov_b64 s[6:7], vcc
	v_addc_co_u32_e64 v61, vcc, 0, v61, s[2:3]
	v_addc_co_u32_e64 v65, s[2:3], 0, v65, s[6:7]
	v_add_co_u32_e32 v62, vcc, 0x8000, v62
	v_cmp_ge_i64_e64 s[2:3], v[60:61], v[48:49]
	v_addc_co_u32_e32 v63, vcc, 0, v63, vcc
	s_or_b64 s[20:21], s[2:3], s[20:21]
	s_waitcnt vmcnt(3)
	v_fmac_f64_e32 v[54:55], v[32:33], v[78:79]
	v_fmac_f64_e32 v[54:55], v[34:35], v[80:81]
	global_load_dwordx4 v[32:35], v[98:99], off offset:16
	v_fmac_f64_e32 v[56:57], v[90:91], v[78:79]
	v_fmac_f64_e32 v[52:53], v[74:75], v[78:79]
	;; [unrolled: 1-line block ×4, first 2 shown]
	global_load_dwordx4 v[74:77], v[100:101], off
	global_load_dwordx4 v[90:93], v[100:101], off offset:16
	v_fmac_f64_e32 v[44:45], v[12:13], v[78:79]
	v_fmac_f64_e32 v[44:45], v[14:15], v[80:81]
	s_waitcnt vmcnt(2)
	v_fmac_f64_e32 v[56:57], v[0:1], v[32:33]
	v_fmac_f64_e32 v[54:55], v[8:9], v[32:33]
	v_fmac_f64_e32 v[52:53], v[16:17], v[32:33]
	v_fmac_f64_e32 v[44:45], v[4:5], v[32:33]
	v_fmac_f64_e32 v[56:57], v[2:3], v[34:35]
	v_fmac_f64_e32 v[54:55], v[10:11], v[34:35]
	v_fmac_f64_e32 v[52:53], v[18:19], v[34:35]
	v_fmac_f64_e32 v[44:45], v[6:7], v[34:35]
	s_waitcnt vmcnt(1)
	v_fmac_f64_e32 v[56:57], v[20:21], v[74:75]
	v_fmac_f64_e32 v[54:55], v[28:29], v[74:75]
	v_fmac_f64_e32 v[52:53], v[86:87], v[74:75]
	v_fmac_f64_e32 v[44:45], v[70:71], v[74:75]
	v_fmac_f64_e32 v[56:57], v[22:23], v[76:77]
	v_fmac_f64_e32 v[54:55], v[30:31], v[76:77]
	;; [unrolled: 9-line block ×3, first 2 shown]
	v_fmac_f64_e32 v[52:53], v[96:97], v[92:93]
	v_fmac_f64_e32 v[44:45], v[84:85], v[92:93]
	s_andn2_b64 exec, exec, s[20:21]
	s_cbranch_execnz .LBB29_21
; %bb.22:
	s_or_b64 exec, exec, s[20:21]
.LBB29_23:
	s_or_b64 exec, exec, s[18:19]
.LBB29_24:
	s_or_b64 exec, exec, s[14:15]
	s_andn2_b64 vcc, exec, s[10:11]
	s_cbranch_vccz .LBB29_26
	s_branch .LBB29_37
.LBB29_25:
                                        ; implicit-def: $vgpr44_vgpr45
                                        ; implicit-def: $vgpr52_vgpr53
                                        ; implicit-def: $vgpr54_vgpr55
                                        ; implicit-def: $vgpr56_vgpr57
.LBB29_26:
	v_pk_mov_b32 v[44:45], 0, 0
	v_pk_mov_b32 v[52:53], v[44:45], v[44:45] op_sel:[0,1]
	v_pk_mov_b32 v[54:55], v[44:45], v[44:45] op_sel:[0,1]
	;; [unrolled: 1-line block ×3, first 2 shown]
	s_and_saveexec_b64 s[2:3], s[0:1]
	s_cbranch_execz .LBB29_36
; %bb.27:
	v_or_b32_e32 v0, 64, v42
	v_mov_b32_e32 v1, s17
	v_subrev_co_u32_e32 v0, vcc, s16, v0
	v_subb_co_u32_e32 v1, vcc, 0, v1, vcc
	v_add_co_u32_e32 v0, vcc, v0, v58
	v_addc_co_u32_e32 v1, vcc, v1, v59, vcc
	v_cmp_gt_i64_e32 vcc, v[0:1], v[48:49]
	v_cndmask_b32_e32 v1, v49, v1, vcc
	v_cndmask_b32_e32 v0, v48, v0, vcc
	v_mov_b32_e32 v4, s17
	v_sub_co_u32_e32 v5, vcc, s16, v42
	v_not_b32_e32 v3, v58
	v_subbrev_co_u32_e32 v4, vcc, 0, v4, vcc
	v_not_b32_e32 v2, v59
	v_add_co_u32_e32 v3, vcc, v5, v3
	v_addc_co_u32_e32 v2, vcc, v4, v2, vcc
	v_add_co_u32_e32 v0, vcc, v3, v0
	v_addc_co_u32_e32 v1, vcc, v2, v1, vcc
	v_lshrrev_b32_e32 v2, 6, v0
	v_add_u32_e32 v2, 1, v2
	v_and_b32_e32 v2, 3, v2
	v_pk_mov_b32 v[56:57], 0, 0
	v_cmp_ne_u32_e32 vcc, 0, v2
	s_mov_b64 s[10:11], 0
	v_pk_mov_b32 v[54:55], v[56:57], v[56:57] op_sel:[0,1]
	v_pk_mov_b32 v[52:53], v[56:57], v[56:57] op_sel:[0,1]
	;; [unrolled: 1-line block ×3, first 2 shown]
	s_and_saveexec_b64 s[6:7], vcc
	s_cbranch_execz .LBB29_31
; %bb.28:
	v_lshlrev_b64 v[4:5], 2, v[46:47]
	v_mov_b32_e32 v6, s13
	v_add_co_u32_e32 v4, vcc, s12, v4
	v_pk_mov_b32 v[44:45], 0, 0
	v_mov_b32_e32 v3, 0
	v_addc_co_u32_e32 v5, vcc, v6, v5, vcc
	v_lshlrev_b32_e32 v2, 5, v2
	s_movk_i32 s14, 0x2000
	s_waitcnt lgkmcnt(0)
	v_mov_b32_e32 v6, s9
	v_pk_mov_b32 v[52:53], v[44:45], v[44:45] op_sel:[0,1]
	v_pk_mov_b32 v[54:55], v[44:45], v[44:45] op_sel:[0,1]
	;; [unrolled: 1-line block ×3, first 2 shown]
.LBB29_29:                              ; =>This Inner Loop Header: Depth=1
	global_load_dword v7, v[4:5], off
	global_load_dwordx4 v[8:11], v[50:51], off offset:48
	global_load_dwordx4 v[12:15], v[50:51], off offset:32
	;; [unrolled: 1-line block ×3, first 2 shown]
	global_load_dwordx4 v[20:23], v[50:51], off
	global_load_dwordx4 v[24:27], v[50:51], off offset:80
	global_load_dwordx4 v[28:31], v[50:51], off offset:64
	v_add_co_u32_e64 v46, s[0:1], 64, v46
	v_addc_co_u32_e64 v47, s[0:1], 0, v47, s[0:1]
	s_waitcnt vmcnt(6)
	v_subrev_u32_e32 v7, s16, v7
	v_lshlrev_b32_e32 v32, 2, v7
	v_ashrrev_i32_e32 v33, 31, v32
	v_lshlrev_b64 v[32:33], 3, v[32:33]
	v_add_co_u32_e32 v70, vcc, s8, v32
	v_addc_co_u32_e32 v71, vcc, v6, v33, vcc
	global_load_dwordx4 v[32:35], v[70:71], off
	global_load_dwordx4 v[58:61], v[70:71], off offset:16
	global_load_dwordx4 v[62:65], v[50:51], off offset:96
	global_load_dwordx4 v[66:69], v[50:51], off offset:112
	v_add_co_u32_e32 v50, vcc, s14, v50
	v_addc_co_u32_e32 v51, vcc, 0, v51, vcc
	v_add_co_u32_e32 v4, vcc, 0x100, v4
	v_addc_co_u32_e32 v5, vcc, 0, v5, vcc
	v_add_co_u32_e32 v2, vcc, 0xffffffe0, v2
	v_addc_co_u32_e32 v3, vcc, -1, v3, vcc
	v_cmp_eq_u64_e32 vcc, 0, v[2:3]
	s_or_b64 s[10:11], vcc, s[10:11]
	s_waitcnt vmcnt(3)
	v_fmac_f64_e32 v[56:57], v[20:21], v[32:33]
	v_fmac_f64_e32 v[54:55], v[22:23], v[32:33]
	;; [unrolled: 1-line block ×8, first 2 shown]
	s_waitcnt vmcnt(2)
	v_fmac_f64_e32 v[56:57], v[28:29], v[58:59]
	v_fmac_f64_e32 v[54:55], v[30:31], v[58:59]
	;; [unrolled: 1-line block ×4, first 2 shown]
	s_waitcnt vmcnt(1)
	v_fmac_f64_e32 v[56:57], v[62:63], v[60:61]
	v_fmac_f64_e32 v[54:55], v[64:65], v[60:61]
	s_waitcnt vmcnt(0)
	v_fmac_f64_e32 v[52:53], v[66:67], v[60:61]
	v_fmac_f64_e32 v[44:45], v[68:69], v[60:61]
	s_andn2_b64 exec, exec, s[10:11]
	s_cbranch_execnz .LBB29_29
; %bb.30:
	s_or_b64 exec, exec, s[10:11]
.LBB29_31:
	s_or_b64 exec, exec, s[6:7]
	s_mov_b64 s[0:1], 0xbf
	v_cmp_lt_u64_e32 vcc, s[0:1], v[0:1]
	s_and_saveexec_b64 s[6:7], vcc
	s_cbranch_execz .LBB29_35
; %bb.32:
	v_lshlrev_b64 v[0:1], 2, v[46:47]
	v_mov_b32_e32 v2, s13
	v_add_co_u32_e32 v0, vcc, s12, v0
	v_addc_co_u32_e32 v1, vcc, v1, v2, vcc
	v_add_co_u32_e32 v32, vcc, 0x200, v0
	v_addc_co_u32_e32 v33, vcc, 0, v1, vcc
	s_mov_b64 s[10:11], 0
	s_waitcnt lgkmcnt(0)
	v_mov_b32_e32 v41, s9
	s_movk_i32 s9, 0x2000
	s_movk_i32 s12, 0x4000
	;; [unrolled: 1-line block ×3, first 2 shown]
.LBB29_33:                              ; =>This Inner Loop Header: Depth=1
	global_load_dword v43, v[32:33], off offset:-512
	global_load_dwordx4 v[0:3], v[50:51], off offset:48
	global_load_dwordx4 v[4:7], v[50:51], off offset:32
	;; [unrolled: 1-line block ×3, first 2 shown]
	global_load_dwordx4 v[12:15], v[50:51], off
	global_load_dwordx4 v[16:19], v[50:51], off offset:112
	global_load_dwordx4 v[20:23], v[50:51], off offset:96
	;; [unrolled: 1-line block ×4, first 2 shown]
	v_add_co_u32_e32 v34, vcc, s9, v50
	v_addc_co_u32_e32 v35, vcc, 0, v51, vcc
	v_add_co_u32_e32 v92, vcc, s12, v50
	v_addc_co_u32_e32 v93, vcc, 0, v51, vcc
	;; [unrolled: 2-line block ×3, first 2 shown]
	global_load_dword v94, v[32:33], off offset:-256
	global_load_dword v95, v[32:33], off
	global_load_dword v96, v[32:33], off offset:256
	global_load_dwordx4 v[60:63], v[34:35], off
	global_load_dwordx4 v[64:67], v[34:35], off offset:48
	global_load_dwordx4 v[68:71], v[34:35], off offset:32
	;; [unrolled: 1-line block ×4, first 2 shown]
	s_waitcnt vmcnt(16)
	v_subrev_u32_e32 v43, s16, v43
	v_lshlrev_b32_e32 v72, 2, v43
	v_ashrrev_i32_e32 v73, 31, v72
	v_lshlrev_b64 v[72:73], 3, v[72:73]
	v_add_co_u32_e32 v88, vcc, s8, v72
	v_addc_co_u32_e32 v89, vcc, v41, v73, vcc
	global_load_dwordx4 v[72:75], v[88:89], off
	s_waitcnt vmcnt(0)
	v_fmac_f64_e32 v[56:57], v[12:13], v[72:73]
	v_fmac_f64_e32 v[54:55], v[14:15], v[72:73]
	;; [unrolled: 1-line block ×4, first 2 shown]
	global_load_dwordx4 v[12:15], v[34:35], off offset:16
	v_fmac_f64_e32 v[56:57], v[4:5], v[74:75]
	v_fmac_f64_e32 v[54:55], v[6:7], v[74:75]
	;; [unrolled: 1-line block ×4, first 2 shown]
	global_load_dwordx4 v[72:75], v[34:35], off offset:80
	global_load_dwordx4 v[84:87], v[34:35], off offset:64
	;; [unrolled: 1-line block ×3, first 2 shown]
	v_subrev_u32_e32 v34, s16, v95
	v_subrev_u32_e32 v35, s16, v96
	v_lshlrev_b32_e32 v34, 2, v34
	global_load_dwordx4 v[88:91], v[92:93], off offset:32
	s_waitcnt vmcnt(1)
	v_fmac_f64_e32 v[56:57], v[28:29], v[0:1]
	v_fmac_f64_e32 v[54:55], v[30:31], v[0:1]
	;; [unrolled: 1-line block ×4, first 2 shown]
	v_subrev_u32_e32 v0, s16, v94
	v_lshlrev_b32_e32 v0, 2, v0
	v_ashrrev_i32_e32 v1, 31, v0
	v_lshlrev_b64 v[0:1], 3, v[0:1]
	v_fmac_f64_e32 v[52:53], v[16:17], v[2:3]
	v_add_co_u32_e32 v16, vcc, s8, v0
	v_addc_co_u32_e32 v17, vcc, v41, v1, vcc
	global_load_dwordx4 v[6:9], v[16:17], off
	v_fmac_f64_e32 v[56:57], v[20:21], v[2:3]
	v_fmac_f64_e32 v[54:55], v[22:23], v[2:3]
	;; [unrolled: 1-line block ×3, first 2 shown]
	global_load_dwordx4 v[28:31], v[92:93], off
	global_load_dwordx4 v[24:27], v[92:93], off offset:48
	global_load_dwordx4 v[0:3], v[92:93], off offset:112
	s_waitcnt vmcnt(3)
	v_fmac_f64_e32 v[56:57], v[60:61], v[6:7]
	v_fmac_f64_e32 v[54:55], v[62:63], v[6:7]
	v_fmac_f64_e32 v[52:53], v[12:13], v[6:7]
	v_fmac_f64_e32 v[44:45], v[14:15], v[6:7]
	global_load_dwordx4 v[4:7], v[92:93], off offset:96
	global_load_dwordx4 v[60:63], v[92:93], off offset:16
	v_fmac_f64_e32 v[56:57], v[68:69], v[8:9]
	v_fmac_f64_e32 v[54:55], v[70:71], v[8:9]
	;; [unrolled: 1-line block ×4, first 2 shown]
	global_load_dwordx4 v[8:11], v[92:93], off offset:80
	global_load_dwordx4 v[64:67], v[92:93], off offset:64
	;; [unrolled: 1-line block ×4, first 2 shown]
	global_load_dwordx4 v[20:23], v[58:59], off
	s_waitcnt vmcnt(2)
	v_fmac_f64_e32 v[52:53], v[72:73], v[68:69]
	v_lshlrev_b32_e32 v72, 2, v35
	v_ashrrev_i32_e32 v35, 31, v34
	v_lshlrev_b64 v[34:35], 3, v[34:35]
	v_ashrrev_i32_e32 v73, 31, v72
	v_add_co_u32_e32 v34, vcc, s8, v34
	v_lshlrev_b64 v[72:73], 3, v[72:73]
	v_addc_co_u32_e32 v35, vcc, v41, v35, vcc
	v_fmac_f64_e32 v[56:57], v[84:85], v[68:69]
	v_add_co_u32_e32 v84, vcc, s8, v72
	v_fmac_f64_e32 v[44:45], v[74:75], v[68:69]
	v_addc_co_u32_e32 v85, vcc, v41, v73, vcc
	global_load_dwordx4 v[72:75], v[34:35], off
	v_fmac_f64_e32 v[54:55], v[86:87], v[68:69]
	v_fmac_f64_e32 v[56:57], v[80:81], v[70:71]
	;; [unrolled: 1-line block ×5, first 2 shown]
	global_load_dwordx4 v[68:71], v[58:59], off offset:16
	global_load_dwordx4 v[16:19], v[58:59], off offset:32
	v_add_co_u32_e32 v46, vcc, 0x100, v46
	v_addc_co_u32_e32 v47, vcc, 0, v47, vcc
	v_add_co_u32_e32 v32, vcc, 0x400, v32
	v_addc_co_u32_e32 v33, vcc, 0, v33, vcc
	v_cmp_ge_i64_e64 s[0:1], v[46:47], v[48:49]
	v_add_co_u32_e32 v50, vcc, 0x8000, v50
	v_addc_co_u32_e32 v51, vcc, 0, v51, vcc
	s_or_b64 s[10:11], s[0:1], s[10:11]
	global_load_dwordx4 v[76:79], v[58:59], off offset:64
	s_waitcnt vmcnt(3)
	v_fmac_f64_e32 v[56:57], v[28:29], v[72:73]
	v_fmac_f64_e32 v[54:55], v[30:31], v[72:73]
	;; [unrolled: 1-line block ×4, first 2 shown]
	global_load_dwordx4 v[28:31], v[58:59], off offset:96
	global_load_dwordx4 v[60:63], v[58:59], off offset:80
	v_fmac_f64_e32 v[56:57], v[88:89], v[74:75]
	v_fmac_f64_e32 v[54:55], v[90:91], v[74:75]
	v_fmac_f64_e32 v[52:53], v[24:25], v[74:75]
	v_fmac_f64_e32 v[44:45], v[26:27], v[74:75]
	global_load_dwordx4 v[24:27], v[34:35], off offset:16
	global_load_dwordx4 v[72:75], v[84:85], off
	global_load_dwordx4 v[80:83], v[84:85], off offset:16
	s_waitcnt vmcnt(2)
	v_fmac_f64_e32 v[56:57], v[64:65], v[24:25]
	v_fmac_f64_e32 v[54:55], v[66:67], v[24:25]
	global_load_dwordx4 v[64:67], v[58:59], off offset:112
	v_fmac_f64_e32 v[52:53], v[8:9], v[24:25]
	v_fmac_f64_e32 v[44:45], v[10:11], v[24:25]
	;; [unrolled: 1-line block ×6, first 2 shown]
	s_waitcnt vmcnt(2)
	v_fmac_f64_e32 v[56:57], v[20:21], v[72:73]
	v_fmac_f64_e32 v[54:55], v[22:23], v[72:73]
	;; [unrolled: 1-line block ×8, first 2 shown]
	s_waitcnt vmcnt(1)
	v_fmac_f64_e32 v[56:57], v[76:77], v[80:81]
	v_fmac_f64_e32 v[54:55], v[78:79], v[80:81]
	;; [unrolled: 1-line block ×6, first 2 shown]
	s_waitcnt vmcnt(0)
	v_fmac_f64_e32 v[52:53], v[64:65], v[82:83]
	v_fmac_f64_e32 v[44:45], v[66:67], v[82:83]
	s_andn2_b64 exec, exec, s[10:11]
	s_cbranch_execnz .LBB29_33
; %bb.34:
	s_or_b64 exec, exec, s[10:11]
.LBB29_35:
	s_or_b64 exec, exec, s[6:7]
.LBB29_36:
	s_or_b64 exec, exec, s[2:3]
.LBB29_37:
	v_mov_b32_dpp v0, v56 row_shr:1 row_mask:0xf bank_mask:0xf
	v_mov_b32_dpp v1, v57 row_shr:1 row_mask:0xf bank_mask:0xf
	v_mov_b32_dpp v4, v54 row_shr:1 row_mask:0xf bank_mask:0xf
	v_mov_b32_dpp v5, v55 row_shr:1 row_mask:0xf bank_mask:0xf
	v_mov_b32_dpp v8, v52 row_shr:1 row_mask:0xf bank_mask:0xf
	v_mov_b32_dpp v9, v53 row_shr:1 row_mask:0xf bank_mask:0xf
	v_mov_b32_dpp v12, v44 row_shr:1 row_mask:0xf bank_mask:0xf
	v_mov_b32_dpp v13, v45 row_shr:1 row_mask:0xf bank_mask:0xf
	v_add_f64 v[0:1], v[56:57], v[0:1]
	v_add_f64 v[4:5], v[54:55], v[4:5]
	v_add_f64 v[8:9], v[52:53], v[8:9]
	v_add_f64 v[12:13], v[44:45], v[12:13]
	v_mov_b32_dpp v2, v0 row_shr:2 row_mask:0xf bank_mask:0xf
	v_mov_b32_dpp v3, v1 row_shr:2 row_mask:0xf bank_mask:0xf
	v_mov_b32_dpp v6, v4 row_shr:2 row_mask:0xf bank_mask:0xf
	v_mov_b32_dpp v7, v5 row_shr:2 row_mask:0xf bank_mask:0xf
	v_mov_b32_dpp v10, v8 row_shr:2 row_mask:0xf bank_mask:0xf
	v_mov_b32_dpp v11, v9 row_shr:2 row_mask:0xf bank_mask:0xf
	v_mov_b32_dpp v14, v12 row_shr:2 row_mask:0xf bank_mask:0xf
	v_mov_b32_dpp v15, v13 row_shr:2 row_mask:0xf bank_mask:0xf
	v_add_f64 v[0:1], v[0:1], v[2:3]
	v_add_f64 v[4:5], v[4:5], v[6:7]
	v_add_f64 v[8:9], v[8:9], v[10:11]
	v_add_f64 v[12:13], v[12:13], v[14:15]
	;; [unrolled: 12-line block ×4, first 2 shown]
	v_mov_b32_dpp v2, v0 row_bcast:15 row_mask:0xa bank_mask:0xf
	v_mov_b32_dpp v3, v1 row_bcast:15 row_mask:0xa bank_mask:0xf
	;; [unrolled: 1-line block ×8, first 2 shown]
	v_add_f64 v[0:1], v[0:1], v[2:3]
	v_add_f64 v[4:5], v[4:5], v[6:7]
	;; [unrolled: 1-line block ×4, first 2 shown]
	v_mov_b32_dpp v2, v0 row_bcast:31 row_mask:0xc bank_mask:0xf
	v_mov_b32_dpp v3, v1 row_bcast:31 row_mask:0xc bank_mask:0xf
	;; [unrolled: 1-line block ×8, first 2 shown]
	v_cmp_eq_u32_e32 vcc, 63, v42
	s_and_b64 exec, exec, vcc
	s_cbranch_execz .LBB29_10
; %bb.38:
	s_load_dwordx2 s[0:1], s[4:5], 0x50
	v_add_f64 v[0:1], v[0:1], v[2:3]
	v_add_f64 v[2:3], v[4:5], v[6:7]
	;; [unrolled: 1-line block ×4, first 2 shown]
	v_cmp_eq_f64_e32 vcc, 0, v[36:37]
	v_mul_f64 v[4:5], v[38:39], v[0:1]
	v_mul_f64 v[6:7], v[38:39], v[2:3]
	;; [unrolled: 1-line block ×4, first 2 shown]
	v_lshlrev_b32_e32 v8, 2, v40
	s_and_saveexec_b64 s[2:3], vcc
	s_xor_b64 s[2:3], exec, s[2:3]
	s_cbranch_execz .LBB29_40
; %bb.39:
	v_ashrrev_i32_e32 v9, 31, v8
	v_lshlrev_b64 v[8:9], 3, v[8:9]
	s_waitcnt lgkmcnt(0)
	v_mov_b32_e32 v10, s1
	v_add_co_u32_e32 v8, vcc, s0, v8
	v_addc_co_u32_e32 v9, vcc, v10, v9, vcc
	global_store_dwordx4 v[8:9], v[4:7], off
	global_store_dwordx4 v[8:9], v[0:3], off offset:16
                                        ; implicit-def: $vgpr8
                                        ; implicit-def: $vgpr36_vgpr37
                                        ; implicit-def: $vgpr4_vgpr5
                                        ; implicit-def: $vgpr0_vgpr1
.LBB29_40:
	s_andn2_saveexec_b64 s[2:3], s[2:3]
	s_cbranch_execz .LBB29_10
; %bb.41:
	v_ashrrev_i32_e32 v9, 31, v8
	v_lshlrev_b64 v[8:9], 3, v[8:9]
	s_waitcnt lgkmcnt(0)
	v_mov_b32_e32 v10, s1
	v_add_co_u32_e32 v16, vcc, s0, v8
	v_addc_co_u32_e32 v17, vcc, v10, v9, vcc
	global_load_dwordx4 v[8:11], v[16:17], off
	global_load_dwordx4 v[12:15], v[16:17], off offset:16
	s_waitcnt vmcnt(1)
	v_fmac_f64_e32 v[4:5], v[36:37], v[8:9]
	v_fmac_f64_e32 v[6:7], v[36:37], v[10:11]
	s_waitcnt vmcnt(0)
	v_fmac_f64_e32 v[0:1], v[36:37], v[12:13]
	v_fmac_f64_e32 v[2:3], v[36:37], v[14:15]
	global_store_dwordx4 v[16:17], v[4:7], off
	global_store_dwordx4 v[16:17], v[0:3], off offset:16
	s_endpgm
	.section	.rodata,"a",@progbits
	.p2align	6, 0x0
	.amdhsa_kernel _ZN9rocsparseL18bsrxmvn_4x4_kernelILj128ELj64EdlidddEEvT3_20rocsparse_direction_NS_24const_host_device_scalarIT1_EES1_PKS1_PKT2_SA_S7_PKT4_PKT5_S5_PT6_21rocsparse_index_base_b
		.amdhsa_group_segment_fixed_size 0
		.amdhsa_private_segment_fixed_size 0
		.amdhsa_kernarg_size 96
		.amdhsa_user_sgpr_count 6
		.amdhsa_user_sgpr_private_segment_buffer 1
		.amdhsa_user_sgpr_dispatch_ptr 0
		.amdhsa_user_sgpr_queue_ptr 0
		.amdhsa_user_sgpr_kernarg_segment_ptr 1
		.amdhsa_user_sgpr_dispatch_id 0
		.amdhsa_user_sgpr_flat_scratch_init 0
		.amdhsa_user_sgpr_kernarg_preload_length 0
		.amdhsa_user_sgpr_kernarg_preload_offset 0
		.amdhsa_user_sgpr_private_segment_size 0
		.amdhsa_uses_dynamic_stack 0
		.amdhsa_system_sgpr_private_segment_wavefront_offset 0
		.amdhsa_system_sgpr_workgroup_id_x 1
		.amdhsa_system_sgpr_workgroup_id_y 0
		.amdhsa_system_sgpr_workgroup_id_z 0
		.amdhsa_system_sgpr_workgroup_info 0
		.amdhsa_system_vgpr_workitem_id 0
		.amdhsa_next_free_vgpr 106
		.amdhsa_next_free_sgpr 25
		.amdhsa_accum_offset 108
		.amdhsa_reserve_vcc 1
		.amdhsa_reserve_flat_scratch 0
		.amdhsa_float_round_mode_32 0
		.amdhsa_float_round_mode_16_64 0
		.amdhsa_float_denorm_mode_32 3
		.amdhsa_float_denorm_mode_16_64 3
		.amdhsa_dx10_clamp 1
		.amdhsa_ieee_mode 1
		.amdhsa_fp16_overflow 0
		.amdhsa_tg_split 0
		.amdhsa_exception_fp_ieee_invalid_op 0
		.amdhsa_exception_fp_denorm_src 0
		.amdhsa_exception_fp_ieee_div_zero 0
		.amdhsa_exception_fp_ieee_overflow 0
		.amdhsa_exception_fp_ieee_underflow 0
		.amdhsa_exception_fp_ieee_inexact 0
		.amdhsa_exception_int_div_zero 0
	.end_amdhsa_kernel
	.section	.text._ZN9rocsparseL18bsrxmvn_4x4_kernelILj128ELj64EdlidddEEvT3_20rocsparse_direction_NS_24const_host_device_scalarIT1_EES1_PKS1_PKT2_SA_S7_PKT4_PKT5_S5_PT6_21rocsparse_index_base_b,"axG",@progbits,_ZN9rocsparseL18bsrxmvn_4x4_kernelILj128ELj64EdlidddEEvT3_20rocsparse_direction_NS_24const_host_device_scalarIT1_EES1_PKS1_PKT2_SA_S7_PKT4_PKT5_S5_PT6_21rocsparse_index_base_b,comdat
.Lfunc_end29:
	.size	_ZN9rocsparseL18bsrxmvn_4x4_kernelILj128ELj64EdlidddEEvT3_20rocsparse_direction_NS_24const_host_device_scalarIT1_EES1_PKS1_PKT2_SA_S7_PKT4_PKT5_S5_PT6_21rocsparse_index_base_b, .Lfunc_end29-_ZN9rocsparseL18bsrxmvn_4x4_kernelILj128ELj64EdlidddEEvT3_20rocsparse_direction_NS_24const_host_device_scalarIT1_EES1_PKS1_PKT2_SA_S7_PKT4_PKT5_S5_PT6_21rocsparse_index_base_b
                                        ; -- End function
	.section	.AMDGPU.csdata,"",@progbits
; Kernel info:
; codeLenInByte = 4228
; NumSgprs: 29
; NumVgprs: 106
; NumAgprs: 0
; TotalNumVgprs: 106
; ScratchSize: 0
; MemoryBound: 1
; FloatMode: 240
; IeeeMode: 1
; LDSByteSize: 0 bytes/workgroup (compile time only)
; SGPRBlocks: 3
; VGPRBlocks: 13
; NumSGPRsForWavesPerEU: 29
; NumVGPRsForWavesPerEU: 106
; AccumOffset: 108
; Occupancy: 4
; WaveLimiterHint : 1
; COMPUTE_PGM_RSRC2:SCRATCH_EN: 0
; COMPUTE_PGM_RSRC2:USER_SGPR: 6
; COMPUTE_PGM_RSRC2:TRAP_HANDLER: 0
; COMPUTE_PGM_RSRC2:TGID_X_EN: 1
; COMPUTE_PGM_RSRC2:TGID_Y_EN: 0
; COMPUTE_PGM_RSRC2:TGID_Z_EN: 0
; COMPUTE_PGM_RSRC2:TIDIG_COMP_CNT: 0
; COMPUTE_PGM_RSRC3_GFX90A:ACCUM_OFFSET: 26
; COMPUTE_PGM_RSRC3_GFX90A:TG_SPLIT: 0
	.section	.text._ZN9rocsparseL18bsrxmvn_4x4_kernelILj128ELj4E21rocsparse_complex_numIfEliS2_S2_S2_EEvT3_20rocsparse_direction_NS_24const_host_device_scalarIT1_EES3_PKS3_PKT2_SC_S9_PKT4_PKT5_S7_PT6_21rocsparse_index_base_b,"axG",@progbits,_ZN9rocsparseL18bsrxmvn_4x4_kernelILj128ELj4E21rocsparse_complex_numIfEliS2_S2_S2_EEvT3_20rocsparse_direction_NS_24const_host_device_scalarIT1_EES3_PKS3_PKT2_SC_S9_PKT4_PKT5_S7_PT6_21rocsparse_index_base_b,comdat
	.globl	_ZN9rocsparseL18bsrxmvn_4x4_kernelILj128ELj4E21rocsparse_complex_numIfEliS2_S2_S2_EEvT3_20rocsparse_direction_NS_24const_host_device_scalarIT1_EES3_PKS3_PKT2_SC_S9_PKT4_PKT5_S7_PT6_21rocsparse_index_base_b ; -- Begin function _ZN9rocsparseL18bsrxmvn_4x4_kernelILj128ELj4E21rocsparse_complex_numIfEliS2_S2_S2_EEvT3_20rocsparse_direction_NS_24const_host_device_scalarIT1_EES3_PKS3_PKT2_SC_S9_PKT4_PKT5_S7_PT6_21rocsparse_index_base_b
	.p2align	8
	.type	_ZN9rocsparseL18bsrxmvn_4x4_kernelILj128ELj4E21rocsparse_complex_numIfEliS2_S2_S2_EEvT3_20rocsparse_direction_NS_24const_host_device_scalarIT1_EES3_PKS3_PKT2_SC_S9_PKT4_PKT5_S7_PT6_21rocsparse_index_base_b,@function
_ZN9rocsparseL18bsrxmvn_4x4_kernelILj128ELj4E21rocsparse_complex_numIfEliS2_S2_S2_EEvT3_20rocsparse_direction_NS_24const_host_device_scalarIT1_EES3_PKS3_PKT2_SC_S9_PKT4_PKT5_S7_PT6_21rocsparse_index_base_b: ; @_ZN9rocsparseL18bsrxmvn_4x4_kernelILj128ELj4E21rocsparse_complex_numIfEliS2_S2_S2_EEvT3_20rocsparse_direction_NS_24const_host_device_scalarIT1_EES3_PKS3_PKT2_SC_S9_PKT4_PKT5_S7_PT6_21rocsparse_index_base_b
; %bb.0:
	s_load_dwordx2 s[16:17], s[4:5], 0x58
	s_load_dwordx2 s[8:9], s[4:5], 0x8
	;; [unrolled: 1-line block ×3, first 2 shown]
	s_waitcnt lgkmcnt(0)
	s_bitcmp1_b32 s17, 0
	s_cselect_b64 s[0:1], -1, 0
	s_xor_b64 s[10:11], s[0:1], -1
	s_and_b64 vcc, exec, s[0:1]
	v_mov_b32_e32 v68, s8
	s_cbranch_vccnz .LBB30_2
; %bb.1:
	v_pk_mov_b32 v[2:3], s[8:9], s[8:9] op_sel:[0,1]
	flat_load_dword v68, v[2:3]
.LBB30_2:
	v_cndmask_b32_e64 v1, 0, 1, s[10:11]
	v_cmp_ne_u32_e64 s[0:1], 1, v1
	s_andn2_b64 vcc, exec, s[10:11]
	v_mov_b32_e32 v69, s9
	s_cbranch_vccz .LBB30_15
; %bb.3:
	s_and_b64 vcc, exec, s[0:1]
	v_mov_b32_e32 v70, s2
	s_cbranch_vccz .LBB30_16
.LBB30_4:
	s_and_b64 vcc, exec, s[0:1]
	v_mov_b32_e32 v71, s3
	s_cbranch_vccnz .LBB30_6
.LBB30_5:
	v_pk_mov_b32 v[2:3], s[2:3], s[2:3] op_sel:[0,1]
	flat_load_dword v71, v[2:3] offset:4
.LBB30_6:
	s_waitcnt vmcnt(0) lgkmcnt(0)
	v_and_b32_e32 v1, 0x7fffffff, v68
	v_cmp_eq_u32_e32 vcc, 0, v1
	v_cmp_eq_f32_e64 s[0:1], 0, v69
	s_and_b64 s[8:9], vcc, s[0:1]
	s_mov_b64 s[0:1], -1
	s_and_saveexec_b64 s[2:3], s[8:9]
; %bb.7:
	v_and_b32_e32 v1, 0x7fffffff, v71
	v_cmp_neq_f32_e32 vcc, 1.0, v70
	v_cmp_ne_u32_e64 s[0:1], 0, v1
	s_or_b64 s[0:1], vcc, s[0:1]
	s_orn2_b64 s[0:1], s[0:1], exec
; %bb.8:
	s_or_b64 exec, exec, s[2:3]
	s_and_saveexec_b64 s[2:3], s[0:1]
	s_cbranch_execz .LBB30_14
; %bb.9:
	s_load_dwordx2 s[8:9], s[4:5], 0x18
	s_load_dwordx2 s[0:1], s[4:5], 0x0
	v_lshrrev_b32_e32 v1, 2, v0
	v_lshl_or_b32 v72, s6, 5, v1
	s_mov_b64 s[2:3], 0
	s_waitcnt lgkmcnt(0)
	s_cmp_lg_u64 s[8:9], 0
	s_cbranch_scc0 .LBB30_17
; %bb.10:
	s_load_dword s6, s[4:5], 0x10
                                        ; implicit-def: $vgpr1
	s_waitcnt lgkmcnt(0)
	v_cmp_gt_i32_e32 vcc, s6, v72
	s_and_saveexec_b64 s[6:7], vcc
	s_xor_b64 s[6:7], exec, s[6:7]
	s_cbranch_execz .LBB30_12
; %bb.11:
	v_ashrrev_i32_e32 v73, 31, v72
	v_lshlrev_b64 v[2:3], 2, v[72:73]
	v_mov_b32_e32 v1, s9
	v_add_co_u32_e32 v2, vcc, s8, v2
	v_addc_co_u32_e32 v3, vcc, v1, v3, vcc
	global_load_dword v1, v[2:3], off
	s_mov_b64 s[2:3], exec
	s_waitcnt vmcnt(0)
	v_subrev_u32_e32 v1, s16, v1
.LBB30_12:
	s_or_b64 exec, exec, s[6:7]
	s_branch .LBB30_18
.LBB30_13:
	v_cmp_gt_i32_e32 vcc, s0, v72
	s_andn2_b64 s[2:3], s[2:3], exec
	s_and_b64 s[6:7], vcc, exec
	s_or_b64 s[2:3], s[2:3], s[6:7]
	s_and_b64 exec, exec, s[2:3]
	s_cbranch_execnz .LBB30_19
.LBB30_14:
	s_endpgm
.LBB30_15:
	v_pk_mov_b32 v[2:3], s[8:9], s[8:9] op_sel:[0,1]
	flat_load_dword v69, v[2:3] offset:4
	s_and_b64 vcc, exec, s[0:1]
	v_mov_b32_e32 v70, s2
	s_cbranch_vccnz .LBB30_4
.LBB30_16:
	v_pk_mov_b32 v[2:3], s[2:3], s[2:3] op_sel:[0,1]
	flat_load_dword v70, v[2:3]
	s_and_b64 vcc, exec, s[0:1]
	v_mov_b32_e32 v71, s3
	s_cbranch_vccz .LBB30_5
	s_branch .LBB30_6
.LBB30_17:
                                        ; implicit-def: $vgpr1
	s_cbranch_execnz .LBB30_13
.LBB30_18:
	v_mov_b32_e32 v72, v1
	s_and_b64 exec, exec, s[2:3]
	s_cbranch_execz .LBB30_14
.LBB30_19:
	s_load_dwordx8 s[8:15], s[4:5], 0x20
	v_ashrrev_i32_e32 v73, 31, v72
	v_lshlrev_b64 v[2:3], 3, v[72:73]
	v_and_b32_e32 v74, 3, v0
	s_load_dwordx2 s[6:7], s[4:5], 0x40
	s_waitcnt lgkmcnt(0)
	v_mov_b32_e32 v1, s9
	v_add_co_u32_e32 v4, vcc, s8, v2
	v_addc_co_u32_e32 v5, vcc, v1, v3, vcc
	v_add_co_u32_e32 v1, vcc, 8, v4
	global_load_dwordx2 v[34:35], v[4:5], off
	v_addc_co_u32_e32 v4, vcc, 0, v5, vcc
	v_mov_b32_e32 v5, s11
	v_add_co_u32_e32 v2, vcc, s10, v2
	s_cmp_eq_u64 s[10:11], 0
	v_addc_co_u32_e32 v3, vcc, v5, v3, vcc
	s_cselect_b64 vcc, -1, 0
	v_cndmask_b32_e32 v3, v3, v4, vcc
	v_cndmask_b32_e32 v2, v2, v1, vcc
	global_load_dwordx2 v[2:3], v[2:3], off
	v_mov_b32_e32 v4, s15
	s_mov_b32 s17, 0
	v_mov_b32_e32 v47, 0
	s_cmp_eq_u32 s1, 1
	s_waitcnt vmcnt(1)
	v_subrev_co_u32_e32 v0, vcc, s16, v34
	v_subbrev_co_u32_e32 v1, vcc, 0, v35, vcc
	v_add_co_u32_e32 v76, vcc, v0, v74
	v_addc_co_u32_e32 v77, vcc, 0, v1, vcc
	v_lshlrev_b64 v[0:1], 7, v[76:77]
	s_waitcnt vmcnt(0)
	v_subrev_co_u32_e32 v78, vcc, s16, v2
	v_subbrev_co_u32_e32 v79, vcc, 0, v3, vcc
	v_add_co_u32_e32 v80, vcc, s14, v0
	v_addc_co_u32_e32 v81, vcc, v4, v1, vcc
	v_cmp_lt_i64_e64 s[0:1], v[76:77], v[78:79]
	s_cbranch_scc1 .LBB30_31
; %bb.20:
	v_mov_b32_e32 v46, 0
	v_mov_b32_e32 v49, 0
	;; [unrolled: 1-line block ×7, first 2 shown]
	s_and_saveexec_b64 s[8:9], s[0:1]
	s_cbranch_execz .LBB30_30
; %bb.21:
	v_or_b32_e32 v0, 4, v74
	v_mov_b32_e32 v1, s17
	v_subrev_co_u32_e32 v0, vcc, s16, v0
	v_subb_co_u32_e32 v1, vcc, 0, v1, vcc
	v_add_co_u32_e32 v0, vcc, v0, v34
	v_addc_co_u32_e32 v1, vcc, v1, v35, vcc
	v_cmp_gt_i64_e32 vcc, v[0:1], v[78:79]
	v_cndmask_b32_e32 v1, v79, v1, vcc
	v_cndmask_b32_e32 v0, v78, v0, vcc
	v_mov_b32_e32 v4, s17
	v_sub_co_u32_e32 v5, vcc, s16, v74
	v_not_b32_e32 v3, v34
	v_subbrev_co_u32_e32 v4, vcc, 0, v4, vcc
	v_not_b32_e32 v2, v35
	v_add_co_u32_e32 v3, vcc, v5, v3
	v_addc_co_u32_e32 v2, vcc, v4, v2, vcc
	v_add_co_u32_e32 v0, vcc, v3, v0
	v_addc_co_u32_e32 v1, vcc, v2, v1, vcc
	v_lshrrev_b32_e32 v2, 2, v0
	v_add_u32_e32 v2, 1, v2
	v_and_b32_e32 v2, 3, v2
	v_mov_b32_e32 v45, 0
	v_cmp_ne_u32_e32 vcc, 0, v2
	v_mov_b32_e32 v44, v45
	v_mov_b32_e32 v51, v45
	;; [unrolled: 1-line block ×7, first 2 shown]
	v_pk_mov_b32 v[36:37], v[80:81], v[80:81] op_sel:[0,1]
	v_pk_mov_b32 v[38:39], v[76:77], v[76:77] op_sel:[0,1]
	s_and_saveexec_b64 s[2:3], vcc
	s_cbranch_execz .LBB30_25
; %bb.22:
	v_lshlrev_b64 v[4:5], 2, v[76:77]
	v_mov_b32_e32 v3, 0
	v_mov_b32_e32 v6, s13
	v_add_co_u32_e32 v4, vcc, s12, v4
	v_addc_co_u32_e32 v5, vcc, v6, v5, vcc
	v_lshlrev_b32_e32 v2, 2, v2
	s_mov_b64 s[10:11], 0
	s_movk_i32 s14, 0x200
	v_mov_b32_e32 v6, s7
	v_pk_mov_b32 v[38:39], v[76:77], v[76:77] op_sel:[0,1]
	v_pk_mov_b32 v[36:37], v[80:81], v[80:81] op_sel:[0,1]
	v_mov_b32_e32 v44, v3
	v_mov_b32_e32 v45, v3
	;; [unrolled: 1-line block ×8, first 2 shown]
.LBB30_23:                              ; =>This Inner Loop Header: Depth=1
	global_load_dword v7, v[4:5], off
	global_load_dwordx4 v[8:11], v[36:37], off
	global_load_dwordx4 v[12:15], v[36:37], off offset:16
	global_load_dwordx4 v[16:19], v[36:37], off offset:48
	;; [unrolled: 1-line block ×7, first 2 shown]
	s_waitcnt vmcnt(8)
	v_subrev_u32_e32 v7, s16, v7
	v_lshlrev_b32_e32 v32, 2, v7
	v_ashrrev_i32_e32 v33, 31, v32
	v_lshlrev_b64 v[32:33], 3, v[32:33]
	v_add_co_u32_e32 v32, vcc, s6, v32
	v_addc_co_u32_e32 v33, vcc, v6, v33, vcc
	global_load_dwordx4 v[56:59], v[32:33], off
	global_load_dwordx4 v[60:63], v[32:33], off offset:16
	v_add_co_u32_e32 v36, vcc, s14, v36
	v_addc_co_u32_e32 v37, vcc, 0, v37, vcc
	v_add_co_u32_e32 v38, vcc, 4, v38
	v_addc_co_u32_e32 v39, vcc, 0, v39, vcc
	v_add_co_u32_e32 v4, vcc, 16, v4
	s_waitcnt vmcnt(9)
	v_xor_b32_e32 v32, 0x80000000, v11
	v_mov_b32_e32 v33, v10
	s_waitcnt vmcnt(6)
	v_xor_b32_e32 v66, 0x80000000, v23
	v_mov_b32_e32 v67, v22
	;; [unrolled: 3-line block ×3, first 2 shown]
	v_xor_b32_e32 v88, 0x80000000, v31
	v_mov_b32_e32 v89, v30
	v_addc_co_u32_e32 v5, vcc, 0, v5, vcc
	v_add_co_u32_e32 v2, vcc, -4, v2
	v_addc_co_u32_e32 v3, vcc, -1, v3, vcc
	v_cmp_eq_u64_e32 vcc, 0, v[2:3]
	v_xor_b32_e32 v64, 0x80000000, v15
	v_mov_b32_e32 v65, v14
	v_xor_b32_e32 v82, 0x80000000, v19
	v_mov_b32_e32 v83, v18
	;; [unrolled: 2-line block ×4, first 2 shown]
	s_or_b64 s[10:11], vcc, s[10:11]
	s_waitcnt vmcnt(1)
	v_pk_fma_f32 v[46:47], v[8:9], v[56:57], v[46:47] op_sel_hi:[1,0,1]
	v_pk_fma_f32 v[44:45], v[20:21], v[56:57], v[44:45] op_sel_hi:[1,0,1]
	v_pk_fma_f32 v[50:51], v[52:53], v[56:57], v[50:51] op_sel_hi:[1,0,1]
	v_pk_fma_f32 v[48:49], v[28:29], v[56:57], v[48:49] op_sel_hi:[1,0,1]
	v_pk_fma_f32 v[8:9], v[8:9], v[56:57], v[46:47] op_sel:[1,1,0] op_sel_hi:[0,1,1] neg_lo:[1,0,0]
	v_pk_fma_f32 v[20:21], v[20:21], v[56:57], v[44:45] op_sel:[1,1,0] op_sel_hi:[0,1,1] neg_lo:[1,0,0]
	;; [unrolled: 1-line block ×4, first 2 shown]
	v_mov_b32_e32 v92, v59
	v_pk_fma_f32 v[8:9], v[10:11], v[58:59], v[8:9] op_sel_hi:[1,0,1]
	v_pk_fma_f32 v[10:11], v[22:23], v[58:59], v[20:21] op_sel_hi:[1,0,1]
	;; [unrolled: 1-line block ×8, first 2 shown]
	s_waitcnt vmcnt(0)
	v_pk_fma_f32 v[8:9], v[12:13], v[60:61], v[8:9] op_sel_hi:[1,0,1]
	v_pk_fma_f32 v[10:11], v[16:17], v[60:61], v[10:11] op_sel_hi:[1,0,1]
	;; [unrolled: 1-line block ×4, first 2 shown]
	v_pk_fma_f32 v[8:9], v[12:13], v[60:61], v[8:9] op_sel:[1,1,0] op_sel_hi:[0,1,1] neg_lo:[1,0,0]
	v_pk_fma_f32 v[10:11], v[16:17], v[60:61], v[10:11] op_sel:[1,1,0] op_sel_hi:[0,1,1] neg_lo:[1,0,0]
	;; [unrolled: 1-line block ×4, first 2 shown]
	v_mov_b32_e32 v94, v63
	v_pk_fma_f32 v[8:9], v[14:15], v[62:63], v[8:9] op_sel_hi:[1,0,1]
	v_pk_fma_f32 v[10:11], v[18:19], v[62:63], v[10:11] op_sel_hi:[1,0,1]
	;; [unrolled: 1-line block ×8, first 2 shown]
	s_andn2_b64 exec, exec, s[10:11]
	s_cbranch_execnz .LBB30_23
; %bb.24:
	s_or_b64 exec, exec, s[10:11]
.LBB30_25:
	s_or_b64 exec, exec, s[2:3]
	v_cmp_lt_u64_e32 vcc, 11, v[0:1]
	s_and_saveexec_b64 s[10:11], vcc
	s_cbranch_execz .LBB30_29
; %bb.26:
	v_lshlrev_b64 v[0:1], 2, v[38:39]
	v_mov_b32_e32 v2, s13
	v_add_co_u32_e32 v0, vcc, s12, v0
	v_addc_co_u32_e32 v1, vcc, v1, v2, vcc
	v_add_co_u32_e32 v40, vcc, 32, v0
	v_addc_co_u32_e32 v41, vcc, 0, v1, vcc
	s_mov_b64 s[14:15], 0
	v_mov_b32_e32 v52, s7
.LBB30_27:                              ; =>This Inner Loop Header: Depth=1
	global_load_dword v0, v[40:41], off offset:-32
	s_waitcnt vmcnt(0)
	v_subrev_u32_e32 v0, s16, v0
	v_lshlrev_b32_e32 v0, 2, v0
	v_ashrrev_i32_e32 v1, 31, v0
	v_lshlrev_b64 v[0:1], 3, v[0:1]
	v_add_co_u32_e32 v4, vcc, s6, v0
	v_addc_co_u32_e32 v5, vcc, v52, v1, vcc
	global_load_dwordx4 v[0:3], v[4:5], off offset:16
	global_load_dwordx4 v[26:29], v[4:5], off
	global_load_dword v6, v[40:41], off offset:-16
	s_waitcnt vmcnt(2)
	v_mov_b32_e32 v66, v3
	s_waitcnt vmcnt(0)
	v_subrev_u32_e32 v4, s16, v6
	v_lshlrev_b32_e32 v4, 2, v4
	v_ashrrev_i32_e32 v5, 31, v4
	v_lshlrev_b64 v[4:5], 3, v[4:5]
	v_add_co_u32_e32 v20, vcc, s6, v4
	v_addc_co_u32_e32 v21, vcc, v52, v5, vcc
	global_load_dwordx4 v[4:7], v[20:21], off offset:16
	global_load_dwordx4 v[8:11], v[20:21], off
	global_load_dwordx4 v[22:25], v[36:37], off offset:48
	global_load_dwordx4 v[30:33], v[36:37], off offset:32
	;; [unrolled: 1-line block ×3, first 2 shown]
	global_load_dwordx4 v[16:19], v[36:37], off
	s_waitcnt vmcnt(0)
	v_pk_fma_f32 v[20:21], v[16:17], v[26:27], v[46:47] op_sel_hi:[1,0,1]
	v_pk_fma_f32 v[16:17], v[16:17], v[26:27], v[20:21] op_sel:[1,1,0] op_sel_hi:[0,1,1] neg_lo:[1,0,0]
	v_xor_b32_e32 v20, 0x80000000, v19
	v_pk_fma_f32 v[16:17], v[18:19], v[28:29], v[16:17] op_sel_hi:[1,0,1]
	v_mov_b32_e32 v21, v18
	v_mov_b32_e32 v46, v29
	v_pk_fma_f32 v[16:17], v[20:21], v[46:47], v[16:17] op_sel_hi:[1,0,1]
	v_pk_fma_f32 v[16:17], v[12:13], v[0:1], v[16:17] op_sel_hi:[1,0,1]
	v_pk_fma_f32 v[12:13], v[12:13], v[0:1], v[16:17] op_sel:[1,1,0] op_sel_hi:[0,1,1] neg_lo:[1,0,0]
	v_xor_b32_e32 v16, 0x80000000, v15
	v_pk_fma_f32 v[12:13], v[14:15], v[2:3], v[12:13] op_sel_hi:[1,0,1]
	v_mov_b32_e32 v17, v14
	v_pk_fma_f32 v[16:17], v[16:17], v[66:67], v[12:13] op_sel_hi:[1,0,1]
	global_load_dwordx4 v[12:15], v[36:37], off offset:560
	global_load_dwordx4 v[18:21], v[36:37], off offset:544
	;; [unrolled: 1-line block ×4, first 2 shown]
	s_waitcnt vmcnt(2)
	v_xor_b32_e32 v42, 0x80000000, v21
	v_mov_b32_e32 v43, v20
	s_waitcnt vmcnt(0)
	v_pk_fma_f32 v[16:17], v[58:59], v[8:9], v[16:17] op_sel_hi:[1,0,1]
	v_pk_fma_f32 v[58:59], v[58:59], v[8:9], v[16:17] op_sel:[1,1,0] op_sel_hi:[0,1,1] neg_lo:[1,0,0]
	v_pk_fma_f32 v[16:17], v[30:31], v[26:27], v[44:45] op_sel_hi:[1,0,1]
	v_pk_fma_f32 v[16:17], v[30:31], v[26:27], v[16:17] op_sel:[1,1,0] op_sel_hi:[0,1,1] neg_lo:[1,0,0]
	v_xor_b32_e32 v30, 0x80000000, v33
	v_pk_fma_f32 v[16:17], v[32:33], v[28:29], v[16:17] op_sel_hi:[1,0,1]
	v_mov_b32_e32 v31, v32
	v_pk_fma_f32 v[16:17], v[30:31], v[46:47], v[16:17] op_sel_hi:[1,0,1]
	v_pk_fma_f32 v[16:17], v[22:23], v[0:1], v[16:17] op_sel_hi:[1,0,1]
	v_pk_fma_f32 v[16:17], v[22:23], v[0:1], v[16:17] op_sel:[1,1,0] op_sel_hi:[0,1,1] neg_lo:[1,0,0]
	v_xor_b32_e32 v22, 0x80000000, v25
	v_pk_fma_f32 v[16:17], v[24:25], v[2:3], v[16:17] op_sel_hi:[1,0,1]
	v_mov_b32_e32 v23, v24
	v_pk_fma_f32 v[16:17], v[22:23], v[66:67], v[16:17] op_sel_hi:[1,0,1]
	v_pk_fma_f32 v[16:17], v[18:19], v[8:9], v[16:17] op_sel_hi:[1,0,1]
	v_pk_fma_f32 v[44:45], v[18:19], v[8:9], v[16:17] op_sel:[1,1,0] op_sel_hi:[0,1,1] neg_lo:[1,0,0]
	global_load_dwordx4 v[16:19], v[36:37], off offset:112
	global_load_dwordx4 v[62:65], v[36:37], off offset:96
	;; [unrolled: 1-line block ×4, first 2 shown]
	v_xor_b32_e32 v90, 0x80000000, v61
	v_mov_b32_e32 v91, v60
	s_waitcnt vmcnt(2)
	v_pk_fma_f32 v[48:49], v[62:63], v[26:27], v[48:49] op_sel_hi:[1,0,1]
	s_waitcnt vmcnt(0)
	v_pk_fma_f32 v[50:51], v[30:31], v[26:27], v[50:51] op_sel_hi:[1,0,1]
	v_pk_fma_f32 v[30:31], v[30:31], v[26:27], v[50:51] op_sel:[1,1,0] op_sel_hi:[0,1,1] neg_lo:[1,0,0]
	v_xor_b32_e32 v50, 0x80000000, v33
	v_pk_fma_f32 v[30:31], v[32:33], v[28:29], v[30:31] op_sel_hi:[1,0,1]
	v_mov_b32_e32 v51, v32
	v_pk_fma_f32 v[30:31], v[50:51], v[46:47], v[30:31] op_sel_hi:[1,0,1]
	v_pk_fma_f32 v[30:31], v[22:23], v[0:1], v[30:31] op_sel_hi:[1,0,1]
	v_pk_fma_f32 v[22:23], v[22:23], v[0:1], v[30:31] op_sel:[1,1,0] op_sel_hi:[0,1,1] neg_lo:[1,0,0]
	v_xor_b32_e32 v30, 0x80000000, v25
	v_pk_fma_f32 v[22:23], v[24:25], v[2:3], v[22:23] op_sel_hi:[1,0,1]
	v_mov_b32_e32 v31, v24
	v_pk_fma_f32 v[50:51], v[30:31], v[66:67], v[22:23] op_sel_hi:[1,0,1]
	global_load_dwordx4 v[22:25], v[36:37], off offset:624
	global_load_dwordx4 v[30:33], v[36:37], off offset:608
	global_load_dwordx4 v[82:85], v[36:37], off offset:592
	global_load_dwordx4 v[86:89], v[36:37], off offset:576
	v_pk_fma_f32 v[26:27], v[62:63], v[26:27], v[48:49] op_sel:[1,1,0] op_sel_hi:[0,1,1] neg_lo:[1,0,0]
	v_xor_b32_e32 v48, 0x80000000, v65
	v_pk_fma_f32 v[26:27], v[64:65], v[28:29], v[26:27] op_sel_hi:[1,0,1]
	v_mov_b32_e32 v49, v64
	v_pk_fma_f32 v[26:27], v[48:49], v[46:47], v[26:27] op_sel_hi:[1,0,1]
	v_pk_fma_f32 v[26:27], v[16:17], v[0:1], v[26:27] op_sel_hi:[1,0,1]
	v_pk_fma_f32 v[0:1], v[16:17], v[0:1], v[26:27] op_sel:[1,1,0] op_sel_hi:[0,1,1] neg_lo:[1,0,0]
	v_xor_b32_e32 v16, 0x80000000, v19
	v_pk_fma_f32 v[0:1], v[18:19], v[2:3], v[0:1] op_sel_hi:[1,0,1]
	v_mov_b32_e32 v17, v18
	v_pk_fma_f32 v[0:1], v[16:17], v[66:67], v[0:1] op_sel_hi:[1,0,1]
	v_mov_b32_e32 v62, v11
	v_xor_b32_e32 v18, 0x80000000, v57
	v_mov_b32_e32 v19, v56
	v_mov_b32_e32 v64, v7
	s_waitcnt vmcnt(2)
	v_pk_fma_f32 v[0:1], v[30:31], v[8:9], v[0:1] op_sel_hi:[1,0,1]
	v_pk_fma_f32 v[46:47], v[30:31], v[8:9], v[0:1] op_sel:[1,1,0] op_sel_hi:[0,1,1] neg_lo:[1,0,0]
	global_load_dword v0, v[40:41], off
	s_waitcnt vmcnt(1)
	v_pk_fma_f32 v[50:51], v[86:87], v[8:9], v[50:51] op_sel_hi:[1,0,1]
	v_pk_fma_f32 v[86:87], v[86:87], v[8:9], v[50:51] op_sel:[1,1,0] op_sel_hi:[0,1,1] neg_lo:[1,0,0]
	v_xor_b32_e32 v92, 0x80000000, v89
	v_mov_b32_e32 v93, v88
	v_xor_b32_e32 v8, 0x80000000, v33
	v_mov_b32_e32 v9, v32
	s_waitcnt vmcnt(0)
	v_subrev_u32_e32 v0, s16, v0
	v_lshlrev_b32_e32 v0, 2, v0
	v_ashrrev_i32_e32 v1, 31, v0
	v_lshlrev_b64 v[0:1], 3, v[0:1]
	v_add_co_u32_e32 v16, vcc, s6, v0
	v_addc_co_u32_e32 v17, vcc, v52, v1, vcc
	global_load_dwordx4 v[0:3], v[16:17], off offset:16
	global_load_dwordx4 v[26:29], v[16:17], off
	v_pk_fma_f32 v[16:17], v[60:61], v[10:11], v[58:59] op_sel_hi:[1,0,1]
	v_pk_fma_f32 v[16:17], v[90:91], v[62:63], v[16:17] op_sel_hi:[1,0,1]
	;; [unrolled: 1-line block ×3, first 2 shown]
	v_pk_fma_f32 v[16:17], v[54:55], v[4:5], v[16:17] op_sel:[1,1,0] op_sel_hi:[0,1,1] neg_lo:[1,0,0]
	v_pk_fma_f32 v[16:17], v[56:57], v[6:7], v[16:17] op_sel_hi:[1,0,1]
	v_pk_fma_f32 v[30:31], v[18:19], v[64:65], v[16:17] op_sel_hi:[1,0,1]
	global_load_dwordx4 v[16:19], v[36:37], off offset:1072
	global_load_dwordx4 v[48:51], v[36:37], off offset:1056
	;; [unrolled: 1-line block ×4, first 2 shown]
	s_waitcnt vmcnt(4)
	v_mov_b32_e32 v66, v29
	s_waitcnt vmcnt(0)
	v_pk_fma_f32 v[30:31], v[58:59], v[26:27], v[30:31] op_sel_hi:[1,0,1]
	v_pk_fma_f32 v[30:31], v[58:59], v[26:27], v[30:31] op_sel:[1,1,0] op_sel_hi:[0,1,1] neg_lo:[1,0,0]
	v_xor_b32_e32 v58, 0x80000000, v61
	v_pk_fma_f32 v[30:31], v[60:61], v[28:29], v[30:31] op_sel_hi:[1,0,1]
	v_mov_b32_e32 v59, v60
	v_pk_fma_f32 v[30:31], v[58:59], v[66:67], v[30:31] op_sel_hi:[1,0,1]
	v_pk_fma_f32 v[90:91], v[54:55], v[0:1], v[30:31] op_sel_hi:[1,0,1]
	;; [unrolled: 1-line block ×5, first 2 shown]
	v_pk_fma_f32 v[12:13], v[12:13], v[4:5], v[20:21] op_sel:[1,1,0] op_sel_hi:[0,1,1] neg_lo:[1,0,0]
	v_xor_b32_e32 v20, 0x80000000, v15
	v_pk_fma_f32 v[12:13], v[14:15], v[6:7], v[12:13] op_sel_hi:[1,0,1]
	v_mov_b32_e32 v21, v14
	v_pk_fma_f32 v[12:13], v[20:21], v[64:65], v[12:13] op_sel_hi:[1,0,1]
	v_pk_fma_f32 v[12:13], v[48:49], v[26:27], v[12:13] op_sel_hi:[1,0,1]
	v_pk_fma_f32 v[12:13], v[48:49], v[26:27], v[12:13] op_sel:[1,1,0] op_sel_hi:[0,1,1] neg_lo:[1,0,0]
	v_xor_b32_e32 v14, 0x80000000, v51
	v_pk_fma_f32 v[12:13], v[50:51], v[28:29], v[12:13] op_sel_hi:[1,0,1]
	v_mov_b32_e32 v15, v50
	v_pk_fma_f32 v[12:13], v[14:15], v[66:67], v[12:13] op_sel_hi:[1,0,1]
	v_pk_fma_f32 v[30:31], v[16:17], v[0:1], v[12:13] op_sel_hi:[1,0,1]
	;; [unrolled: 1-line block ×5, first 2 shown]
	v_pk_fma_f32 v[12:13], v[82:83], v[4:5], v[12:13] op_sel:[1,1,0] op_sel_hi:[0,1,1] neg_lo:[1,0,0]
	v_xor_b32_e32 v14, 0x80000000, v85
	v_pk_fma_f32 v[12:13], v[84:85], v[6:7], v[12:13] op_sel_hi:[1,0,1]
	v_mov_b32_e32 v15, v84
	v_pk_fma_f32 v[20:21], v[14:15], v[64:65], v[12:13] op_sel_hi:[1,0,1]
	global_load_dwordx4 v[12:15], v[36:37], off offset:1136
	global_load_dwordx4 v[42:45], v[36:37], off offset:1120
	;; [unrolled: 1-line block ×4, first 2 shown]
	v_pk_fma_f32 v[10:11], v[32:33], v[10:11], v[46:47] op_sel_hi:[1,0,1]
	v_pk_fma_f32 v[8:9], v[8:9], v[62:63], v[10:11] op_sel_hi:[1,0,1]
	;; [unrolled: 1-line block ×3, first 2 shown]
	v_pk_fma_f32 v[4:5], v[22:23], v[4:5], v[8:9] op_sel:[1,1,0] op_sel_hi:[0,1,1] neg_lo:[1,0,0]
	v_xor_b32_e32 v8, 0x80000000, v25
	v_pk_fma_f32 v[4:5], v[24:25], v[6:7], v[4:5] op_sel_hi:[1,0,1]
	v_mov_b32_e32 v9, v24
	v_pk_fma_f32 v[4:5], v[8:9], v[64:65], v[4:5] op_sel_hi:[1,0,1]
	v_xor_b32_e32 v24, 0x80000000, v57
	v_mov_b32_e32 v25, v56
	v_pk_fma_f32 v[16:17], v[16:17], v[0:1], v[30:31] op_sel:[1,1,0] op_sel_hi:[0,1,1] neg_lo:[1,0,0]
	v_pk_fma_f32 v[16:17], v[18:19], v[2:3], v[16:17] op_sel_hi:[1,0,1]
	s_waitcnt vmcnt(2)
	v_pk_fma_f32 v[4:5], v[42:43], v[26:27], v[4:5] op_sel_hi:[1,0,1]
	v_pk_fma_f32 v[4:5], v[42:43], v[26:27], v[4:5] op_sel:[1,1,0] op_sel_hi:[0,1,1] neg_lo:[1,0,0]
	s_waitcnt vmcnt(0)
	v_pk_fma_f32 v[20:21], v[58:59], v[26:27], v[20:21] op_sel_hi:[1,0,1]
	v_pk_fma_f32 v[20:21], v[58:59], v[26:27], v[20:21] op_sel:[1,1,0] op_sel_hi:[0,1,1] neg_lo:[1,0,0]
	v_xor_b32_e32 v58, 0x80000000, v61
	v_pk_fma_f32 v[20:21], v[60:61], v[28:29], v[20:21] op_sel_hi:[1,0,1]
	v_mov_b32_e32 v59, v60
	v_xor_b32_e32 v6, 0x80000000, v45
	v_pk_fma_f32 v[4:5], v[44:45], v[28:29], v[4:5] op_sel_hi:[1,0,1]
	v_mov_b32_e32 v7, v44
	v_pk_fma_f32 v[20:21], v[58:59], v[66:67], v[20:21] op_sel_hi:[1,0,1]
	v_pk_fma_f32 v[4:5], v[6:7], v[66:67], v[4:5] op_sel_hi:[1,0,1]
	;; [unrolled: 1-line block ×4, first 2 shown]
	global_load_dword v4, v[40:41], off offset:16
	s_waitcnt vmcnt(0)
	v_subrev_u32_e32 v4, s16, v4
	v_lshlrev_b32_e32 v4, 2, v4
	v_ashrrev_i32_e32 v5, 31, v4
	v_lshlrev_b64 v[4:5], 3, v[4:5]
	v_add_co_u32_e32 v22, vcc, s6, v4
	v_addc_co_u32_e32 v23, vcc, v52, v5, vcc
	global_load_dwordx4 v[4:7], v[22:23], off offset:16
	global_load_dwordx4 v[8:11], v[22:23], off
	v_pk_fma_f32 v[22:23], v[54:55], v[0:1], v[90:91] op_sel:[1,1,0] op_sel_hi:[0,1,1] neg_lo:[1,0,0]
	v_pk_fma_f32 v[26:27], v[56:57], v[2:3], v[22:23] op_sel_hi:[1,0,1]
	v_mov_b32_e32 v22, v3
	v_pk_fma_f32 v[28:29], v[24:25], v[22:23], v[26:27] op_sel_hi:[1,0,1]
	global_load_dwordx4 v[24:27], v[36:37], off offset:1584
	global_load_dwordx4 v[42:45], v[36:37], off offset:1568
	;; [unrolled: 1-line block ×4, first 2 shown]
	v_add_co_u32_e32 v38, vcc, 16, v38
	v_addc_co_u32_e32 v39, vcc, 0, v39, vcc
	v_add_co_u32_e32 v40, vcc, 64, v40
	v_addc_co_u32_e32 v41, vcc, 0, v41, vcc
	v_cmp_ge_i64_e64 s[2:3], v[38:39], v[78:79]
	s_or_b64 s[14:15], s[2:3], s[14:15]
	s_waitcnt vmcnt(0)
	v_pk_fma_f32 v[28:29], v[58:59], v[8:9], v[28:29] op_sel_hi:[1,0,1]
	v_pk_fma_f32 v[28:29], v[58:59], v[8:9], v[28:29] op_sel:[1,1,0] op_sel_hi:[0,1,1] neg_lo:[1,0,0]
	v_xor_b32_e32 v32, 0x80000000, v61
	v_pk_fma_f32 v[28:29], v[60:61], v[10:11], v[28:29] op_sel_hi:[1,0,1]
	v_mov_b32_e32 v33, v60
	v_mov_b32_e32 v58, v11
	v_pk_fma_f32 v[28:29], v[32:33], v[58:59], v[28:29] op_sel_hi:[1,0,1]
	v_pk_fma_f32 v[28:29], v[54:55], v[4:5], v[28:29] op_sel_hi:[1,0,1]
	v_pk_fma_f32 v[28:29], v[54:55], v[4:5], v[28:29] op_sel:[1,1,0] op_sel_hi:[0,1,1] neg_lo:[1,0,0]
	v_xor_b32_e32 v32, 0x80000000, v57
	v_pk_fma_f32 v[28:29], v[56:57], v[6:7], v[28:29] op_sel_hi:[1,0,1]
	v_mov_b32_e32 v33, v56
	v_mov_b32_e32 v54, v7
	v_pk_fma_f32 v[46:47], v[32:33], v[54:55], v[28:29] op_sel_hi:[1,0,1]
	v_xor_b32_e32 v28, 0x80000000, v19
	v_mov_b32_e32 v29, v18
	v_pk_fma_f32 v[16:17], v[28:29], v[22:23], v[16:17] op_sel_hi:[1,0,1]
	v_pk_fma_f32 v[16:17], v[42:43], v[8:9], v[16:17] op_sel_hi:[1,0,1]
	v_pk_fma_f32 v[16:17], v[42:43], v[8:9], v[16:17] op_sel:[1,1,0] op_sel_hi:[0,1,1] neg_lo:[1,0,0]
	v_xor_b32_e32 v18, 0x80000000, v45
	v_pk_fma_f32 v[16:17], v[44:45], v[10:11], v[16:17] op_sel_hi:[1,0,1]
	v_mov_b32_e32 v19, v44
	v_pk_fma_f32 v[16:17], v[18:19], v[58:59], v[16:17] op_sel_hi:[1,0,1]
	v_pk_fma_f32 v[16:17], v[24:25], v[4:5], v[16:17] op_sel_hi:[1,0,1]
	v_pk_fma_f32 v[16:17], v[24:25], v[4:5], v[16:17] op_sel:[1,1,0] op_sel_hi:[0,1,1] neg_lo:[1,0,0]
	v_xor_b32_e32 v18, 0x80000000, v27
	v_pk_fma_f32 v[16:17], v[26:27], v[6:7], v[16:17] op_sel_hi:[1,0,1]
	v_mov_b32_e32 v19, v26
	v_pk_fma_f32 v[44:45], v[18:19], v[54:55], v[16:17] op_sel_hi:[1,0,1]
	v_pk_fma_f32 v[16:17], v[48:49], v[0:1], v[82:83] op_sel:[1,1,0] op_sel_hi:[0,1,1] neg_lo:[1,0,0]
	v_xor_b32_e32 v18, 0x80000000, v51
	v_pk_fma_f32 v[16:17], v[50:51], v[2:3], v[16:17] op_sel_hi:[1,0,1]
	v_mov_b32_e32 v19, v50
	v_pk_fma_f32 v[32:33], v[18:19], v[22:23], v[16:17] op_sel_hi:[1,0,1]
	global_load_dwordx4 v[16:19], v[36:37], off offset:1648
	global_load_dwordx4 v[24:27], v[36:37], off offset:1632
	;; [unrolled: 1-line block ×4, first 2 shown]
	v_pk_fma_f32 v[0:1], v[12:13], v[0:1], v[20:21] op_sel:[1,1,0] op_sel_hi:[0,1,1] neg_lo:[1,0,0]
	v_xor_b32_e32 v12, 0x80000000, v15
	v_pk_fma_f32 v[0:1], v[14:15], v[2:3], v[0:1] op_sel_hi:[1,0,1]
	v_mov_b32_e32 v13, v14
	v_pk_fma_f32 v[0:1], v[12:13], v[22:23], v[0:1] op_sel_hi:[1,0,1]
	v_add_co_u32_e32 v36, vcc, 0x800, v36
	v_addc_co_u32_e32 v37, vcc, 0, v37, vcc
	s_waitcnt vmcnt(2)
	v_pk_fma_f32 v[0:1], v[24:25], v[8:9], v[0:1] op_sel_hi:[1,0,1]
	v_pk_fma_f32 v[0:1], v[24:25], v[8:9], v[0:1] op_sel:[1,1,0] op_sel_hi:[0,1,1] neg_lo:[1,0,0]
	s_waitcnt vmcnt(0)
	v_pk_fma_f32 v[32:33], v[48:49], v[8:9], v[32:33] op_sel_hi:[1,0,1]
	v_pk_fma_f32 v[32:33], v[48:49], v[8:9], v[32:33] op_sel:[1,1,0] op_sel_hi:[0,1,1] neg_lo:[1,0,0]
	v_xor_b32_e32 v42, 0x80000000, v51
	v_pk_fma_f32 v[32:33], v[50:51], v[10:11], v[32:33] op_sel_hi:[1,0,1]
	v_mov_b32_e32 v43, v50
	v_xor_b32_e32 v2, 0x80000000, v27
	v_pk_fma_f32 v[0:1], v[26:27], v[10:11], v[0:1] op_sel_hi:[1,0,1]
	v_mov_b32_e32 v3, v26
	v_pk_fma_f32 v[32:33], v[42:43], v[58:59], v[32:33] op_sel_hi:[1,0,1]
	v_pk_fma_f32 v[0:1], v[2:3], v[58:59], v[0:1] op_sel_hi:[1,0,1]
	;; [unrolled: 1-line block ×4, first 2 shown]
	v_pk_fma_f32 v[28:29], v[28:29], v[4:5], v[32:33] op_sel:[1,1,0] op_sel_hi:[0,1,1] neg_lo:[1,0,0]
	v_pk_fma_f32 v[0:1], v[16:17], v[4:5], v[0:1] op_sel:[1,1,0] op_sel_hi:[0,1,1] neg_lo:[1,0,0]
	v_xor_b32_e32 v32, 0x80000000, v31
	v_pk_fma_f32 v[28:29], v[30:31], v[6:7], v[28:29] op_sel_hi:[1,0,1]
	v_mov_b32_e32 v33, v30
	v_xor_b32_e32 v2, 0x80000000, v19
	v_pk_fma_f32 v[0:1], v[18:19], v[6:7], v[0:1] op_sel_hi:[1,0,1]
	v_mov_b32_e32 v3, v18
	v_pk_fma_f32 v[50:51], v[32:33], v[54:55], v[28:29] op_sel_hi:[1,0,1]
	v_pk_fma_f32 v[48:49], v[2:3], v[54:55], v[0:1] op_sel_hi:[1,0,1]
	s_andn2_b64 exec, exec, s[14:15]
	s_cbranch_execnz .LBB30_27
; %bb.28:
	s_or_b64 exec, exec, s[14:15]
.LBB30_29:
	s_or_b64 exec, exec, s[10:11]
.LBB30_30:
	s_or_b64 exec, exec, s[8:9]
	s_cbranch_execz .LBB30_32
	s_branch .LBB30_43
.LBB30_31:
                                        ; implicit-def: $vgpr47
                                        ; implicit-def: $vgpr49
                                        ; implicit-def: $vgpr51
                                        ; implicit-def: $vgpr45
.LBB30_32:
	v_mov_b32_e32 v47, 0
	v_mov_b32_e32 v46, 0
	;; [unrolled: 1-line block ×8, first 2 shown]
	s_and_saveexec_b64 s[2:3], s[0:1]
	s_cbranch_execz .LBB30_42
; %bb.33:
	v_or_b32_e32 v0, 4, v74
	v_mov_b32_e32 v1, s17
	v_subrev_co_u32_e32 v0, vcc, s16, v0
	v_subb_co_u32_e32 v1, vcc, 0, v1, vcc
	v_add_co_u32_e32 v0, vcc, v0, v34
	v_addc_co_u32_e32 v1, vcc, v1, v35, vcc
	v_cmp_gt_i64_e32 vcc, v[0:1], v[78:79]
	v_cndmask_b32_e32 v1, v79, v1, vcc
	v_cndmask_b32_e32 v0, v78, v0, vcc
	v_mov_b32_e32 v4, s17
	v_sub_co_u32_e32 v5, vcc, s16, v74
	v_not_b32_e32 v3, v34
	v_subbrev_co_u32_e32 v4, vcc, 0, v4, vcc
	v_not_b32_e32 v2, v35
	v_add_co_u32_e32 v3, vcc, v5, v3
	v_addc_co_u32_e32 v2, vcc, v4, v2, vcc
	v_add_co_u32_e32 v0, vcc, v3, v0
	v_addc_co_u32_e32 v1, vcc, v2, v1, vcc
	v_lshrrev_b32_e32 v2, 2, v0
	v_add_u32_e32 v2, 1, v2
	v_and_b32_e32 v2, 3, v2
	v_mov_b32_e32 v45, 0
	v_cmp_ne_u32_e32 vcc, 0, v2
	v_mov_b32_e32 v44, v45
	v_mov_b32_e32 v51, v45
	;; [unrolled: 1-line block ×7, first 2 shown]
	s_and_saveexec_b64 s[0:1], vcc
	s_cbranch_execz .LBB30_37
; %bb.34:
	v_lshlrev_b64 v[4:5], 2, v[76:77]
	v_mov_b32_e32 v3, 0
	v_mov_b32_e32 v6, s13
	v_add_co_u32_e32 v4, vcc, s12, v4
	v_addc_co_u32_e32 v5, vcc, v6, v5, vcc
	v_lshlrev_b32_e32 v2, 2, v2
	s_mov_b64 s[8:9], 0
	s_movk_i32 s10, 0x200
	v_mov_b32_e32 v6, s7
	v_mov_b32_e32 v44, v3
	;; [unrolled: 1-line block ×9, first 2 shown]
.LBB30_35:                              ; =>This Inner Loop Header: Depth=1
	global_load_dword v7, v[4:5], off
	global_load_dwordx4 v[8:11], v[80:81], off offset:48
	global_load_dwordx4 v[12:15], v[80:81], off offset:32
	;; [unrolled: 1-line block ×3, first 2 shown]
	global_load_dwordx4 v[20:23], v[80:81], off
	global_load_dwordx4 v[24:27], v[80:81], off offset:96
	global_load_dwordx4 v[28:31], v[80:81], off offset:80
	;; [unrolled: 1-line block ×3, first 2 shown]
	s_waitcnt vmcnt(7)
	v_subrev_u32_e32 v7, s16, v7
	v_lshlrev_b32_e32 v36, 2, v7
	v_ashrrev_i32_e32 v37, 31, v36
	v_lshlrev_b64 v[36:37], 3, v[36:37]
	v_add_co_u32_e32 v56, vcc, s6, v36
	v_addc_co_u32_e32 v57, vcc, v6, v37, vcc
	global_load_dwordx4 v[36:39], v[56:57], off offset:16
	global_load_dwordx4 v[40:43], v[56:57], off
	global_load_dwordx4 v[52:55], v[80:81], off offset:112
	v_add_co_u32_e32 v80, vcc, s10, v80
	v_addc_co_u32_e32 v81, vcc, 0, v81, vcc
	v_add_co_u32_e32 v76, vcc, 4, v76
	s_waitcnt vmcnt(6)
	v_xor_b32_e32 v56, 0x80000000, v23
	v_mov_b32_e32 v57, v22
	v_xor_b32_e32 v64, 0x80000000, v19
	v_mov_b32_e32 v65, v18
	v_addc_co_u32_e32 v77, vcc, 0, v77, vcc
	v_add_co_u32_e32 v4, vcc, 16, v4
	v_xor_b32_e32 v58, 0x80000000, v15
	v_mov_b32_e32 v59, v14
	v_xor_b32_e32 v66, 0x80000000, v11
	v_mov_b32_e32 v67, v10
	v_addc_co_u32_e32 v5, vcc, 0, v5, vcc
	v_add_co_u32_e32 v2, vcc, -4, v2
	s_waitcnt vmcnt(3)
	v_xor_b32_e32 v60, 0x80000000, v35
	v_mov_b32_e32 v61, v34
	v_xor_b32_e32 v82, 0x80000000, v31
	v_mov_b32_e32 v83, v30
	v_addc_co_u32_e32 v3, vcc, -1, v3, vcc
	v_cmp_eq_u64_e32 vcc, 0, v[2:3]
	v_xor_b32_e32 v62, 0x80000000, v27
	v_mov_b32_e32 v63, v26
	s_or_b64 s[8:9], vcc, s[8:9]
	s_waitcnt vmcnt(2)
	v_mov_b32_e32 v88, v39
	s_waitcnt vmcnt(1)
	v_pk_fma_f32 v[46:47], v[20:21], v[40:41], v[46:47] op_sel_hi:[1,0,1]
	v_pk_fma_f32 v[22:23], v[22:23], v[40:41], v[44:45] op_sel_hi:[1,0,1]
	;; [unrolled: 1-line block ×4, first 2 shown]
	v_pk_fma_f32 v[20:21], v[20:21], v[40:41], v[46:47] op_sel:[1,1,0] op_sel_hi:[0,1,1] neg_lo:[1,0,0]
	v_pk_fma_f32 v[22:23], v[56:57], v[40:41], v[22:23] op_sel:[0,1,0]
	v_pk_fma_f32 v[16:17], v[16:17], v[40:41], v[44:45] op_sel:[1,1,0] op_sel_hi:[0,1,1] neg_lo:[1,0,0]
	v_pk_fma_f32 v[18:19], v[64:65], v[40:41], v[18:19] op_sel:[0,1,0]
	v_mov_b32_e32 v86, v43
	v_pk_fma_f32 v[20:21], v[12:13], v[42:43], v[20:21] op_sel_hi:[1,0,1]
	v_pk_fma_f32 v[14:15], v[14:15], v[42:43], v[22:23] op_sel_hi:[1,0,1]
	;; [unrolled: 1-line block ×4, first 2 shown]
	v_pk_fma_f32 v[12:13], v[12:13], v[86:87], v[20:21] op_sel:[1,0,0] op_sel_hi:[0,0,1] neg_lo:[1,0,0]
	v_pk_fma_f32 v[14:15], v[58:59], v[86:87], v[14:15] op_sel_hi:[1,0,1]
	v_pk_fma_f32 v[8:9], v[8:9], v[86:87], v[16:17] op_sel:[1,0,0] op_sel_hi:[0,0,1] neg_lo:[1,0,0]
	v_pk_fma_f32 v[10:11], v[66:67], v[86:87], v[10:11] op_sel_hi:[1,0,1]
	v_pk_fma_f32 v[12:13], v[32:33], v[36:37], v[12:13] op_sel_hi:[1,0,1]
	;; [unrolled: 1-line block ×5, first 2 shown]
	v_pk_fma_f32 v[12:13], v[32:33], v[36:37], v[12:13] op_sel:[1,1,0] op_sel_hi:[0,1,1] neg_lo:[1,0,0]
	v_pk_fma_f32 v[14:15], v[60:61], v[36:37], v[14:15] op_sel:[0,1,0]
	v_pk_fma_f32 v[8:9], v[28:29], v[36:37], v[8:9] op_sel:[1,1,0] op_sel_hi:[0,1,1] neg_lo:[1,0,0]
	v_pk_fma_f32 v[10:11], v[82:83], v[36:37], v[10:11] op_sel:[0,1,0]
	s_waitcnt vmcnt(0)
	v_xor_b32_e32 v84, 0x80000000, v55
	v_mov_b32_e32 v85, v54
	v_pk_fma_f32 v[12:13], v[24:25], v[38:39], v[12:13] op_sel_hi:[1,0,1]
	v_pk_fma_f32 v[14:15], v[26:27], v[38:39], v[14:15] op_sel_hi:[1,0,1]
	;; [unrolled: 1-line block ×4, first 2 shown]
	v_pk_fma_f32 v[46:47], v[24:25], v[88:89], v[12:13] op_sel:[1,0,0] op_sel_hi:[0,0,1] neg_lo:[1,0,0]
	v_pk_fma_f32 v[44:45], v[62:63], v[88:89], v[14:15] op_sel_hi:[1,0,1]
	v_pk_fma_f32 v[50:51], v[52:53], v[88:89], v[8:9] op_sel:[1,0,0] op_sel_hi:[0,0,1] neg_lo:[1,0,0]
	v_pk_fma_f32 v[48:49], v[84:85], v[88:89], v[10:11] op_sel_hi:[1,0,1]
	s_andn2_b64 exec, exec, s[8:9]
	s_cbranch_execnz .LBB30_35
; %bb.36:
	s_or_b64 exec, exec, s[8:9]
.LBB30_37:
	s_or_b64 exec, exec, s[0:1]
	v_cmp_lt_u64_e32 vcc, 11, v[0:1]
	s_and_saveexec_b64 s[8:9], vcc
	s_cbranch_execz .LBB30_41
; %bb.38:
	v_lshlrev_b64 v[0:1], 2, v[76:77]
	v_mov_b32_e32 v2, s13
	v_add_co_u32_e32 v0, vcc, s12, v0
	v_addc_co_u32_e32 v1, vcc, v1, v2, vcc
	v_add_co_u32_e32 v82, vcc, 32, v0
	v_addc_co_u32_e32 v83, vcc, 0, v1, vcc
	s_mov_b64 s[10:11], 0
	v_mov_b32_e32 v73, s7
.LBB30_39:                              ; =>This Inner Loop Header: Depth=1
	global_load_dword v75, v[82:83], off offset:-32
	global_load_dwordx4 v[28:31], v[80:81], off
	global_load_dwordx4 v[16:19], v[80:81], off offset:16
	global_load_dwordx4 v[8:11], v[80:81], off offset:48
	global_load_dwordx4 v[36:39], v[80:81], off offset:32
	global_load_dwordx4 v[56:59], v[80:81], off offset:112
	global_load_dwordx4 v[60:63], v[80:81], off offset:96
	global_load_dwordx4 v[12:15], v[80:81], off offset:80
	global_load_dwordx4 v[64:67], v[80:81], off offset:64
	global_load_dwordx4 v[20:23], v[80:81], off offset:560
	global_load_dwordx4 v[24:27], v[80:81], off offset:544
	global_load_dwordx4 v[32:35], v[80:81], off offset:528
	global_load_dwordx4 v[40:43], v[80:81], off offset:512
	global_load_dwordx4 v[0:3], v[80:81], off offset:624
	global_load_dwordx4 v[4:7], v[80:81], off offset:608
	global_load_dwordx4 v[52:55], v[80:81], off offset:592
	global_load_dword v98, v[82:83], off offset:-16
	global_load_dword v99, v[82:83], off
	global_load_dword v100, v[82:83], off offset:16
	v_add_co_u32_e64 v76, s[0:1], 16, v76
	v_addc_co_u32_e64 v77, s[0:1], 0, v77, s[0:1]
	v_add_co_u32_e64 v82, s[0:1], 64, v82
	v_addc_co_u32_e64 v83, s[0:1], 0, v83, s[0:1]
	v_cmp_ge_i64_e64 s[0:1], v[76:77], v[78:79]
	s_or_b64 s[10:11], s[0:1], s[10:11]
	s_waitcnt vmcnt(18)
	v_subrev_u32_e32 v75, s16, v75
	v_lshlrev_b32_e32 v84, 2, v75
	v_ashrrev_i32_e32 v85, 31, v84
	v_lshlrev_b64 v[84:85], 3, v[84:85]
	v_add_co_u32_e32 v92, vcc, s6, v84
	v_addc_co_u32_e32 v93, vcc, v73, v85, vcc
	global_load_dwordx4 v[84:87], v[92:93], off
	global_load_dwordx4 v[88:91], v[92:93], off offset:16
	s_waitcnt vmcnt(19)
	v_xor_b32_e32 v96, 0x80000000, v31
	v_mov_b32_e32 v97, v30
	global_load_dwordx4 v[92:95], v[80:81], off offset:576
	s_waitcnt vmcnt(3)
	v_subrev_u32_e32 v75, s16, v100
	s_waitcnt vmcnt(2)
	v_pk_fma_f32 v[46:47], v[28:29], v[84:85], v[46:47] op_sel_hi:[1,0,1]
	v_pk_fma_f32 v[30:31], v[30:31], v[84:85], v[44:45] op_sel_hi:[1,0,1]
	v_pk_fma_f32 v[44:45], v[28:29], v[84:85], v[46:47] op_sel:[1,1,0] op_sel_hi:[0,1,1] neg_lo:[1,0,0]
	v_xor_b32_e32 v28, 0x80000000, v19
	v_mov_b32_e32 v29, v18
	v_pk_fma_f32 v[46:47], v[16:17], v[84:85], v[50:51] op_sel_hi:[1,0,1]
	v_pk_fma_f32 v[48:49], v[18:19], v[84:85], v[48:49] op_sel_hi:[1,0,1]
	v_pk_fma_f32 v[46:47], v[16:17], v[84:85], v[46:47] op_sel:[1,1,0] op_sel_hi:[0,1,1] neg_lo:[1,0,0]
	v_pk_fma_f32 v[50:51], v[96:97], v[84:85], v[30:31] op_sel:[0,1,0]
	v_pk_fma_f32 v[48:49], v[28:29], v[84:85], v[48:49] op_sel:[0,1,0]
	v_pk_fma_f32 v[44:45], v[36:37], v[86:87], v[44:45] op_sel_hi:[1,0,1]
	v_pk_fma_f32 v[50:51], v[38:39], v[86:87], v[50:51] op_sel_hi:[1,0,1]
	;; [unrolled: 1-line block ×4, first 2 shown]
	v_mov_b32_e32 v86, v87
	v_xor_b32_e32 v48, 0x80000000, v39
	v_mov_b32_e32 v49, v38
	v_xor_b32_e32 v38, 0x80000000, v11
	v_mov_b32_e32 v39, v10
	v_pk_fma_f32 v[36:37], v[36:37], v[86:87], v[44:45] op_sel:[1,0,0] op_sel_hi:[0,0,1] neg_lo:[1,0,0]
	v_pk_fma_f32 v[96:97], v[8:9], v[86:87], v[46:47] op_sel:[1,0,0] op_sel_hi:[0,0,1] neg_lo:[1,0,0]
	v_pk_fma_f32 v[8:9], v[48:49], v[86:87], v[50:51] op_sel_hi:[1,0,1]
	global_load_dwordx4 v[48:51], v[80:81], off offset:1024
	v_pk_fma_f32 v[38:39], v[38:39], v[86:87], v[84:85] op_sel_hi:[1,0,1]
	v_xor_b32_e32 v84, 0x80000000, v67
	v_mov_b32_e32 v85, v66
	s_waitcnt vmcnt(2)
	v_pk_fma_f32 v[10:11], v[64:65], v[88:89], v[36:37] op_sel_hi:[1,0,1]
	v_pk_fma_f32 v[36:37], v[66:67], v[88:89], v[8:9] op_sel_hi:[1,0,1]
	v_xor_b32_e32 v66, 0x80000000, v15
	v_mov_b32_e32 v67, v14
	v_pk_fma_f32 v[86:87], v[12:13], v[88:89], v[96:97] op_sel_hi:[1,0,1]
	v_pk_fma_f32 v[38:39], v[14:15], v[88:89], v[38:39] op_sel_hi:[1,0,1]
	v_pk_fma_f32 v[64:65], v[64:65], v[88:89], v[10:11] op_sel:[1,1,0] op_sel_hi:[0,1,1] neg_lo:[1,0,0]
	v_pk_fma_f32 v[86:87], v[12:13], v[88:89], v[86:87] op_sel:[1,1,0] op_sel_hi:[0,1,1] neg_lo:[1,0,0]
	v_pk_fma_f32 v[84:85], v[84:85], v[88:89], v[36:37] op_sel:[0,1,0]
	v_pk_fma_f32 v[66:67], v[66:67], v[88:89], v[38:39] op_sel:[0,1,0]
	v_pk_fma_f32 v[64:65], v[60:61], v[90:91], v[64:65] op_sel_hi:[1,0,1]
	v_pk_fma_f32 v[84:85], v[62:63], v[90:91], v[84:85] op_sel_hi:[1,0,1]
	;; [unrolled: 1-line block ×4, first 2 shown]
	v_mov_b32_e32 v88, v91
	v_xor_b32_e32 v90, 0x80000000, v63
	v_mov_b32_e32 v63, v58
	v_subrev_u32_e32 v58, s16, v98
	v_pk_fma_f32 v[86:87], v[56:57], v[88:89], v[86:87] op_sel:[1,0,0] op_sel_hi:[0,0,1] neg_lo:[1,0,0]
	v_lshlrev_b32_e32 v56, 2, v58
	v_ashrrev_i32_e32 v57, 31, v56
	v_lshlrev_b64 v[56:57], 3, v[56:57]
	v_pk_fma_f32 v[60:61], v[60:61], v[88:89], v[64:65] op_sel:[1,0,0] op_sel_hi:[0,0,1] neg_lo:[1,0,0]
	v_add_co_u32_e32 v64, vcc, s6, v56
	v_addc_co_u32_e32 v65, vcc, v73, v57, vcc
	v_mov_b32_e32 v91, v62
	v_xor_b32_e32 v62, 0x80000000, v59
	global_load_dwordx4 v[56:59], v[64:65], off
	v_pk_fma_f32 v[84:85], v[90:91], v[88:89], v[84:85] op_sel_hi:[1,0,1]
	v_pk_fma_f32 v[88:89], v[62:63], v[88:89], v[66:67] op_sel_hi:[1,0,1]
	global_load_dwordx4 v[64:67], v[64:65], off offset:16
	v_xor_b32_e32 v96, 0x80000000, v43
	v_mov_b32_e32 v97, v42
	global_load_dwordx4 v[16:19], v[80:81], off offset:1072
	global_load_dwordx4 v[28:31], v[80:81], off offset:1056
	global_load_dwordx4 v[44:47], v[80:81], off offset:1040
	global_load_dwordx4 v[8:11], v[80:81], off offset:1136
	global_load_dwordx4 v[12:15], v[80:81], off offset:1120
	global_load_dwordx4 v[36:39], v[80:81], off offset:1104
	s_waitcnt vmcnt(8)
	v_xor_b32_e32 v98, 0x80000000, v51
	s_waitcnt vmcnt(7)
	v_pk_fma_f32 v[60:61], v[40:41], v[56:57], v[60:61] op_sel_hi:[1,0,1]
	v_pk_fma_f32 v[42:43], v[42:43], v[56:57], v[84:85] op_sel_hi:[1,0,1]
	v_pk_fma_f32 v[84:85], v[40:41], v[56:57], v[60:61] op_sel:[1,1,0] op_sel_hi:[0,1,1] neg_lo:[1,0,0]
	v_xor_b32_e32 v40, 0x80000000, v35
	v_mov_b32_e32 v41, v34
	v_pk_fma_f32 v[86:87], v[32:33], v[56:57], v[86:87] op_sel_hi:[1,0,1]
	v_pk_fma_f32 v[88:89], v[34:35], v[56:57], v[88:89] op_sel_hi:[1,0,1]
	v_pk_fma_f32 v[86:87], v[32:33], v[56:57], v[86:87] op_sel:[1,1,0] op_sel_hi:[0,1,1] neg_lo:[1,0,0]
	v_pk_fma_f32 v[90:91], v[96:97], v[56:57], v[42:43] op_sel:[0,1,0]
	v_pk_fma_f32 v[56:57], v[40:41], v[56:57], v[88:89] op_sel:[0,1,0]
	v_pk_fma_f32 v[84:85], v[24:25], v[58:59], v[84:85] op_sel_hi:[1,0,1]
	v_pk_fma_f32 v[88:89], v[26:27], v[58:59], v[90:91] op_sel_hi:[1,0,1]
	;; [unrolled: 1-line block ×4, first 2 shown]
	v_mov_b32_e32 v96, v59
	v_xor_b32_e32 v56, 0x80000000, v27
	v_mov_b32_e32 v57, v26
	v_pk_fma_f32 v[24:25], v[24:25], v[96:97], v[84:85] op_sel:[1,0,0] op_sel_hi:[0,0,1] neg_lo:[1,0,0]
	v_xor_b32_e32 v26, 0x80000000, v23
	v_mov_b32_e32 v27, v22
	v_pk_fma_f32 v[84:85], v[20:21], v[96:97], v[86:87] op_sel:[1,0,0] op_sel_hi:[0,0,1] neg_lo:[1,0,0]
	v_pk_fma_f32 v[86:87], v[56:57], v[96:97], v[88:89] op_sel_hi:[1,0,1]
	v_pk_fma_f32 v[88:89], v[26:27], v[96:97], v[90:91] op_sel_hi:[1,0,1]
	v_xor_b32_e32 v90, 0x80000000, v95
	v_mov_b32_e32 v91, v94
	s_waitcnt vmcnt(6)
	v_pk_fma_f32 v[86:87], v[94:95], v[64:65], v[86:87] op_sel_hi:[1,0,1]
	v_pk_fma_f32 v[24:25], v[92:93], v[64:65], v[24:25] op_sel_hi:[1,0,1]
	v_xor_b32_e32 v94, 0x80000000, v55
	v_mov_b32_e32 v95, v54
	v_pk_fma_f32 v[84:85], v[52:53], v[64:65], v[84:85] op_sel_hi:[1,0,1]
	v_pk_fma_f32 v[88:89], v[54:55], v[64:65], v[88:89] op_sel_hi:[1,0,1]
	v_pk_fma_f32 v[90:91], v[90:91], v[64:65], v[86:87] op_sel:[0,1,0]
	v_pk_fma_f32 v[92:93], v[92:93], v[64:65], v[24:25] op_sel:[1,1,0] op_sel_hi:[0,1,1] neg_lo:[1,0,0]
	v_pk_fma_f32 v[96:97], v[52:53], v[64:65], v[84:85] op_sel:[1,1,0] op_sel_hi:[0,1,1] neg_lo:[1,0,0]
	v_pk_fma_f32 v[64:65], v[94:95], v[64:65], v[88:89] op_sel:[0,1,0]
	v_pk_fma_f32 v[90:91], v[6:7], v[66:67], v[90:91] op_sel_hi:[1,0,1]
	v_mov_b32_e32 v95, v6
	v_subrev_u32_e32 v6, s16, v99
	v_pk_fma_f32 v[88:89], v[4:5], v[66:67], v[92:93] op_sel_hi:[1,0,1]
	v_pk_fma_f32 v[92:93], v[0:1], v[66:67], v[96:97] op_sel_hi:[1,0,1]
	;; [unrolled: 1-line block ×3, first 2 shown]
	v_mov_b32_e32 v66, v67
	v_lshlrev_b32_e32 v6, 2, v6
	global_load_dwordx4 v[60:63], v[80:81], off offset:1088
	global_load_dwordx4 v[32:35], v[80:81], off offset:1584
	;; [unrolled: 1-line block ×8, first 2 shown]
	v_xor_b32_e32 v94, 0x80000000, v7
	v_pk_fma_f32 v[88:89], v[4:5], v[66:67], v[88:89] op_sel:[1,0,0] op_sel_hi:[0,0,1] neg_lo:[1,0,0]
	v_xor_b32_e32 v4, 0x80000000, v3
	v_mov_b32_e32 v5, v2
	v_pk_fma_f32 v[92:93], v[0:1], v[66:67], v[92:93] op_sel:[1,0,0] op_sel_hi:[0,0,1] neg_lo:[1,0,0]
	global_load_dwordx4 v[0:3], v[80:81], off offset:1600
	v_add_co_u32_e32 v80, vcc, 0x800, v80
	v_ashrrev_i32_e32 v7, 31, v6
	v_addc_co_u32_e32 v81, vcc, 0, v81, vcc
	v_lshlrev_b64 v[6:7], 3, v[6:7]
	v_add_co_u32_e32 v96, vcc, s6, v6
	v_addc_co_u32_e32 v97, vcc, v73, v7, vcc
	v_pk_fma_f32 v[90:91], v[94:95], v[66:67], v[90:91] op_sel_hi:[1,0,1]
	v_pk_fma_f32 v[94:95], v[4:5], v[66:67], v[64:65] op_sel_hi:[1,0,1]
	global_load_dwordx4 v[4:7], v[96:97], off
	global_load_dwordx4 v[64:67], v[96:97], off offset:16
	v_mov_b32_e32 v99, v50
	s_waitcnt vmcnt(1)
	v_pk_fma_f32 v[92:93], v[44:45], v[4:5], v[92:93] op_sel_hi:[1,0,1]
	v_pk_fma_f32 v[92:93], v[44:45], v[4:5], v[92:93] op_sel:[1,1,0] op_sel_hi:[0,1,1] neg_lo:[1,0,0]
	v_lshlrev_b32_e32 v44, 2, v75
	v_ashrrev_i32_e32 v45, 31, v44
	v_lshlrev_b64 v[44:45], 3, v[44:45]
	v_add_co_u32_e32 v96, vcc, s6, v44
	v_pk_fma_f32 v[88:89], v[48:49], v[4:5], v[88:89] op_sel_hi:[1,0,1]
	v_addc_co_u32_e32 v97, vcc, v73, v45, vcc
	v_pk_fma_f32 v[88:89], v[48:49], v[4:5], v[88:89] op_sel:[1,1,0] op_sel_hi:[0,1,1] neg_lo:[1,0,0]
	v_xor_b32_e32 v48, 0x80000000, v47
	v_mov_b32_e32 v49, v46
	v_pk_fma_f32 v[94:95], v[46:47], v[4:5], v[94:95] op_sel_hi:[1,0,1]
	global_load_dwordx4 v[44:47], v[96:97], off
	v_pk_fma_f32 v[50:51], v[50:51], v[4:5], v[90:91] op_sel_hi:[1,0,1]
	v_pk_fma_f32 v[98:99], v[98:99], v[4:5], v[50:51] op_sel:[0,1,0]
	v_pk_fma_f32 v[4:5], v[48:49], v[4:5], v[94:95] op_sel:[0,1,0]
	global_load_dwordx4 v[48:51], v[96:97], off offset:16
	v_xor_b32_e32 v90, 0x80000000, v31
	v_mov_b32_e32 v91, v30
	v_pk_fma_f32 v[88:89], v[28:29], v[6:7], v[88:89] op_sel_hi:[1,0,1]
	v_pk_fma_f32 v[30:31], v[30:31], v[6:7], v[98:99] op_sel_hi:[1,0,1]
	;; [unrolled: 1-line block ×4, first 2 shown]
	v_mov_b32_e32 v6, v7
	v_xor_b32_e32 v94, 0x80000000, v19
	v_mov_b32_e32 v95, v18
	v_pk_fma_f32 v[18:19], v[28:29], v[6:7], v[88:89] op_sel:[1,0,0] op_sel_hi:[0,0,1] neg_lo:[1,0,0]
	v_pk_fma_f32 v[16:17], v[16:17], v[6:7], v[92:93] op_sel:[1,0,0] op_sel_hi:[0,0,1] neg_lo:[1,0,0]
	v_pk_fma_f32 v[30:31], v[90:91], v[6:7], v[30:31] op_sel_hi:[1,0,1]
	v_pk_fma_f32 v[4:5], v[94:95], v[6:7], v[4:5] op_sel_hi:[1,0,1]
	v_xor_b32_e32 v28, 0x80000000, v63
	v_xor_b32_e32 v88, 0x80000000, v39
	v_mov_b32_e32 v29, v62
	v_mov_b32_e32 v89, v38
	s_waitcnt vmcnt(2)
	v_pk_fma_f32 v[18:19], v[60:61], v[64:65], v[18:19] op_sel_hi:[1,0,1]
	v_pk_fma_f32 v[30:31], v[62:63], v[64:65], v[30:31] op_sel_hi:[1,0,1]
	;; [unrolled: 1-line block ×4, first 2 shown]
	v_pk_fma_f32 v[18:19], v[60:61], v[64:65], v[18:19] op_sel:[1,1,0] op_sel_hi:[0,1,1] neg_lo:[1,0,0]
	v_pk_fma_f32 v[16:17], v[36:37], v[64:65], v[16:17] op_sel:[1,1,0] op_sel_hi:[0,1,1] neg_lo:[1,0,0]
	v_pk_fma_f32 v[28:29], v[28:29], v[64:65], v[30:31] op_sel:[0,1,0]
	v_pk_fma_f32 v[4:5], v[88:89], v[64:65], v[4:5] op_sel:[0,1,0]
	v_xor_b32_e32 v92, 0x80000000, v15
	v_mov_b32_e32 v93, v14
	v_xor_b32_e32 v60, 0x80000000, v11
	v_mov_b32_e32 v61, v10
	v_mov_b32_e32 v64, v67
	v_pk_fma_f32 v[18:19], v[12:13], v[66:67], v[18:19] op_sel_hi:[1,0,1]
	v_pk_fma_f32 v[14:15], v[14:15], v[66:67], v[28:29] op_sel_hi:[1,0,1]
	;; [unrolled: 1-line block ×4, first 2 shown]
	v_pk_fma_f32 v[12:13], v[12:13], v[64:65], v[18:19] op_sel:[1,0,0] op_sel_hi:[0,0,1] neg_lo:[1,0,0]
	v_pk_fma_f32 v[14:15], v[92:93], v[64:65], v[14:15] op_sel_hi:[1,0,1]
	v_pk_fma_f32 v[8:9], v[8:9], v[64:65], v[16:17] op_sel:[1,0,0] op_sel_hi:[0,0,1] neg_lo:[1,0,0]
	v_pk_fma_f32 v[4:5], v[60:61], v[64:65], v[4:5] op_sel_hi:[1,0,1]
	v_xor_b32_e32 v96, 0x80000000, v59
	v_mov_b32_e32 v97, v58
	v_xor_b32_e32 v62, 0x80000000, v23
	v_mov_b32_e32 v63, v22
	;; [unrolled: 2-line block ×8, first 2 shown]
	s_waitcnt vmcnt(1)
	v_pk_fma_f32 v[12:13], v[56:57], v[44:45], v[12:13] op_sel_hi:[1,0,1]
	v_pk_fma_f32 v[14:15], v[58:59], v[44:45], v[14:15] op_sel_hi:[1,0,1]
	;; [unrolled: 1-line block ×4, first 2 shown]
	v_pk_fma_f32 v[12:13], v[56:57], v[44:45], v[12:13] op_sel:[1,1,0] op_sel_hi:[0,1,1] neg_lo:[1,0,0]
	v_pk_fma_f32 v[14:15], v[96:97], v[44:45], v[14:15] op_sel:[0,1,0]
	v_pk_fma_f32 v[8:9], v[20:21], v[44:45], v[8:9] op_sel:[1,1,0] op_sel_hi:[0,1,1] neg_lo:[1,0,0]
	v_pk_fma_f32 v[4:5], v[62:63], v[44:45], v[4:5] op_sel:[0,1,0]
	v_mov_b32_e32 v10, v47
	v_pk_fma_f32 v[12:13], v[40:41], v[46:47], v[12:13] op_sel_hi:[1,0,1]
	v_pk_fma_f32 v[14:15], v[42:43], v[46:47], v[14:15] op_sel_hi:[1,0,1]
	;; [unrolled: 1-line block ×4, first 2 shown]
	v_pk_fma_f32 v[12:13], v[40:41], v[10:11], v[12:13] op_sel:[1,0,0] op_sel_hi:[0,0,1] neg_lo:[1,0,0]
	v_pk_fma_f32 v[14:15], v[90:91], v[10:11], v[14:15] op_sel_hi:[1,0,1]
	v_pk_fma_f32 v[8:9], v[32:33], v[10:11], v[8:9] op_sel:[1,0,0] op_sel_hi:[0,0,1] neg_lo:[1,0,0]
	v_pk_fma_f32 v[4:5], v[36:37], v[10:11], v[4:5] op_sel_hi:[1,0,1]
	s_waitcnt vmcnt(0)
	v_pk_fma_f32 v[10:11], v[0:1], v[48:49], v[12:13] op_sel_hi:[1,0,1]
	v_pk_fma_f32 v[2:3], v[2:3], v[48:49], v[14:15] op_sel_hi:[1,0,1]
	v_pk_fma_f32 v[8:9], v[84:85], v[48:49], v[8:9] op_sel_hi:[1,0,1]
	v_pk_fma_f32 v[4:5], v[86:87], v[48:49], v[4:5] op_sel_hi:[1,0,1]
	v_pk_fma_f32 v[0:1], v[0:1], v[48:49], v[10:11] op_sel:[1,1,0] op_sel_hi:[0,1,1] neg_lo:[1,0,0]
	v_pk_fma_f32 v[2:3], v[6:7], v[48:49], v[2:3] op_sel:[0,1,0]
	v_pk_fma_f32 v[6:7], v[84:85], v[48:49], v[8:9] op_sel:[1,1,0] op_sel_hi:[0,1,1] neg_lo:[1,0,0]
	v_pk_fma_f32 v[4:5], v[38:39], v[48:49], v[4:5] op_sel:[0,1,0]
	v_mov_b32_e32 v28, v51
	v_pk_fma_f32 v[0:1], v[52:53], v[50:51], v[0:1] op_sel_hi:[1,0,1]
	v_pk_fma_f32 v[2:3], v[54:55], v[50:51], v[2:3] op_sel_hi:[1,0,1]
	;; [unrolled: 1-line block ×4, first 2 shown]
	v_pk_fma_f32 v[46:47], v[52:53], v[28:29], v[0:1] op_sel:[1,0,0] op_sel_hi:[0,0,1] neg_lo:[1,0,0]
	v_pk_fma_f32 v[44:45], v[94:95], v[28:29], v[2:3] op_sel_hi:[1,0,1]
	v_pk_fma_f32 v[50:51], v[24:25], v[28:29], v[6:7] op_sel:[1,0,0] op_sel_hi:[0,0,1] neg_lo:[1,0,0]
	v_pk_fma_f32 v[48:49], v[30:31], v[28:29], v[4:5] op_sel_hi:[1,0,1]
	s_andn2_b64 exec, exec, s[10:11]
	s_cbranch_execnz .LBB30_39
; %bb.40:
	s_or_b64 exec, exec, s[10:11]
.LBB30_41:
	s_or_b64 exec, exec, s[8:9]
.LBB30_42:
	s_or_b64 exec, exec, s[2:3]
.LBB30_43:
	v_mov_b32_dpp v6, v45 row_shr:1 row_mask:0xf bank_mask:0xf
	v_add_f32_e32 v7, v45, v6
	v_mov_b32_dpp v0, v46 row_shr:1 row_mask:0xf bank_mask:0xf
	v_mov_b32_dpp v6, v50 row_shr:1 row_mask:0xf bank_mask:0xf
	v_add_f32_e32 v10, v50, v6
	v_mov_b32_dpp v2, v47 row_shr:1 row_mask:0xf bank_mask:0xf
	;; [unrolled: 3-line block ×3, first 2 shown]
	v_mov_b32_dpp v6, v48 row_shr:1 row_mask:0xf bank_mask:0xf
	v_add_f32_e32 v16, v48, v6
	v_add_f32_e32 v0, v46, v0
	v_mov_b32_dpp v6, v49 row_shr:1 row_mask:0xf bank_mask:0xf
	v_add_f32_e32 v2, v47, v2
	v_add_f32_e32 v4, v44, v4
	;; [unrolled: 1-line block ×3, first 2 shown]
	v_mov_b32_dpp v1, v0 row_shr:2 row_mask:0xf bank_mask:0xf
	v_mov_b32_dpp v3, v2 row_shr:2 row_mask:0xf bank_mask:0xf
	;; [unrolled: 1-line block ×8, first 2 shown]
	v_cmp_eq_u32_e32 vcc, 3, v74
	s_and_b64 exec, exec, vcc
	s_cbranch_execz .LBB30_14
; %bb.44:
	s_load_dwordx2 s[2:3], s[4:5], 0x50
	v_add_f32_e32 v8, v0, v1
	v_and_b32_e32 v1, 0x7fffffff, v70
	v_cmp_eq_u32_e32 vcc, 0, v1
	v_cmp_eq_f32_e64 s[0:1], 0, v71
	v_add_f32_e32 v14, v2, v3
	v_add_f32_e32 v6, v4, v5
	;; [unrolled: 1-line block ×7, first 2 shown]
	s_and_b64 s[0:1], vcc, s[0:1]
	v_lshlrev_b32_e32 v16, 2, v72
	s_and_saveexec_b64 s[4:5], s[0:1]
	s_xor_b64 s[0:1], exec, s[4:5]
	s_cbranch_execz .LBB30_46
; %bb.45:
	v_xor_b32_e32 v18, 0x80000000, v69
	v_ashrrev_i32_e32 v17, 31, v16
	v_mov_b32_e32 v19, v68
	v_lshlrev_b64 v[16:17], 3, v[16:17]
	v_pk_mul_f32 v[14:15], v[14:15], v[18:19] op_sel_hi:[0,1]
	s_waitcnt lgkmcnt(0)
	v_mov_b32_e32 v1, s3
	v_add_co_u32_e32 v20, vcc, s2, v16
	v_pk_fma_f32 v[14:15], v[68:69], v[8:9], v[14:15] op_sel_hi:[1,0,1]
	v_pk_mul_f32 v[8:9], v[12:13], v[18:19] op_sel_hi:[0,1]
	v_addc_co_u32_e32 v21, vcc, v1, v17, vcc
	v_pk_fma_f32 v[16:17], v[68:69], v[6:7], v[8:9] op_sel_hi:[1,0,1]
	v_pk_mul_f32 v[6:7], v[10:11], v[18:19] op_sel_hi:[0,1]
	v_pk_mul_f32 v[4:5], v[4:5], v[18:19] op_sel_hi:[0,1]
	v_pk_fma_f32 v[2:3], v[68:69], v[2:3], v[6:7] op_sel_hi:[1,0,1]
	v_pk_fma_f32 v[4:5], v[68:69], v[0:1], v[4:5] op_sel_hi:[1,0,1]
	global_store_dwordx4 v[20:21], v[14:17], off
	global_store_dwordx4 v[20:21], v[2:5], off offset:16
                                        ; implicit-def: $vgpr69
                                        ; implicit-def: $vgpr70
                                        ; implicit-def: $vgpr8
                                        ; implicit-def: $vgpr14
                                        ; implicit-def: $vgpr6
                                        ; implicit-def: $vgpr12
                                        ; implicit-def: $vgpr2
                                        ; implicit-def: $vgpr10
                                        ; implicit-def: $vgpr0
                                        ; implicit-def: $vgpr4
                                        ; implicit-def: $vgpr16
.LBB30_46:
	s_andn2_saveexec_b64 s[0:1], s[0:1]
	s_cbranch_execz .LBB30_14
; %bb.47:
	v_ashrrev_i32_e32 v17, 31, v16
	v_lshlrev_b64 v[16:17], 3, v[16:17]
	s_waitcnt lgkmcnt(0)
	v_mov_b32_e32 v1, s3
	v_add_co_u32_e32 v24, vcc, s2, v16
	v_addc_co_u32_e32 v25, vcc, v1, v17, vcc
	global_load_dwordx4 v[16:19], v[24:25], off
	global_load_dwordx4 v[20:23], v[24:25], off offset:16
	v_xor_b32_e32 v26, 0x80000000, v69
	v_mov_b32_e32 v27, v68
	v_pk_mul_f32 v[14:15], v[14:15], v[26:27] op_sel_hi:[0,1]
	v_pk_mul_f32 v[12:13], v[12:13], v[26:27] op_sel_hi:[0,1]
	;; [unrolled: 1-line block ×4, first 2 shown]
	v_pk_fma_f32 v[8:9], v[68:69], v[8:9], v[14:15] op_sel_hi:[1,0,1]
	v_pk_fma_f32 v[6:7], v[68:69], v[6:7], v[12:13] op_sel_hi:[1,0,1]
	v_xor_b32_e32 v28, 0x80000000, v71
	v_mov_b32_e32 v29, v70
	v_pk_fma_f32 v[2:3], v[68:69], v[2:3], v[10:11] op_sel_hi:[1,0,1]
	v_pk_fma_f32 v[0:1], v[68:69], v[0:1], v[4:5] op_sel_hi:[1,0,1]
	s_waitcnt vmcnt(1)
	v_pk_fma_f32 v[4:5], v[70:71], v[16:17], v[8:9] op_sel_hi:[1,0,1]
	v_pk_fma_f32 v[6:7], v[70:71], v[18:19], v[6:7] op_sel_hi:[1,0,1]
	v_mov_b32_e32 v8, v19
	s_waitcnt vmcnt(0)
	v_pk_fma_f32 v[10:11], v[70:71], v[20:21], v[2:3] op_sel_hi:[1,0,1]
	v_pk_fma_f32 v[12:13], v[70:71], v[22:23], v[0:1] op_sel_hi:[1,0,1]
	v_mov_b32_e32 v14, v23
	v_pk_fma_f32 v[0:1], v[28:29], v[16:17], v[4:5] op_sel:[0,1,0]
	v_pk_fma_f32 v[2:3], v[28:29], v[8:9], v[6:7] op_sel_hi:[1,0,1]
	v_pk_fma_f32 v[4:5], v[28:29], v[20:21], v[10:11] op_sel:[0,1,0]
	v_pk_fma_f32 v[6:7], v[28:29], v[14:15], v[12:13] op_sel_hi:[1,0,1]
	global_store_dwordx4 v[24:25], v[0:3], off
	global_store_dwordx4 v[24:25], v[4:7], off offset:16
	s_endpgm
	.section	.rodata,"a",@progbits
	.p2align	6, 0x0
	.amdhsa_kernel _ZN9rocsparseL18bsrxmvn_4x4_kernelILj128ELj4E21rocsparse_complex_numIfEliS2_S2_S2_EEvT3_20rocsparse_direction_NS_24const_host_device_scalarIT1_EES3_PKS3_PKT2_SC_S9_PKT4_PKT5_S7_PT6_21rocsparse_index_base_b
		.amdhsa_group_segment_fixed_size 0
		.amdhsa_private_segment_fixed_size 0
		.amdhsa_kernarg_size 96
		.amdhsa_user_sgpr_count 6
		.amdhsa_user_sgpr_private_segment_buffer 1
		.amdhsa_user_sgpr_dispatch_ptr 0
		.amdhsa_user_sgpr_queue_ptr 0
		.amdhsa_user_sgpr_kernarg_segment_ptr 1
		.amdhsa_user_sgpr_dispatch_id 0
		.amdhsa_user_sgpr_flat_scratch_init 0
		.amdhsa_user_sgpr_kernarg_preload_length 0
		.amdhsa_user_sgpr_kernarg_preload_offset 0
		.amdhsa_user_sgpr_private_segment_size 0
		.amdhsa_uses_dynamic_stack 0
		.amdhsa_system_sgpr_private_segment_wavefront_offset 0
		.amdhsa_system_sgpr_workgroup_id_x 1
		.amdhsa_system_sgpr_workgroup_id_y 0
		.amdhsa_system_sgpr_workgroup_id_z 0
		.amdhsa_system_sgpr_workgroup_info 0
		.amdhsa_system_vgpr_workitem_id 0
		.amdhsa_next_free_vgpr 101
		.amdhsa_next_free_sgpr 18
		.amdhsa_accum_offset 104
		.amdhsa_reserve_vcc 1
		.amdhsa_reserve_flat_scratch 0
		.amdhsa_float_round_mode_32 0
		.amdhsa_float_round_mode_16_64 0
		.amdhsa_float_denorm_mode_32 3
		.amdhsa_float_denorm_mode_16_64 3
		.amdhsa_dx10_clamp 1
		.amdhsa_ieee_mode 1
		.amdhsa_fp16_overflow 0
		.amdhsa_tg_split 0
		.amdhsa_exception_fp_ieee_invalid_op 0
		.amdhsa_exception_fp_denorm_src 0
		.amdhsa_exception_fp_ieee_div_zero 0
		.amdhsa_exception_fp_ieee_overflow 0
		.amdhsa_exception_fp_ieee_underflow 0
		.amdhsa_exception_fp_ieee_inexact 0
		.amdhsa_exception_int_div_zero 0
	.end_amdhsa_kernel
	.section	.text._ZN9rocsparseL18bsrxmvn_4x4_kernelILj128ELj4E21rocsparse_complex_numIfEliS2_S2_S2_EEvT3_20rocsparse_direction_NS_24const_host_device_scalarIT1_EES3_PKS3_PKT2_SC_S9_PKT4_PKT5_S7_PT6_21rocsparse_index_base_b,"axG",@progbits,_ZN9rocsparseL18bsrxmvn_4x4_kernelILj128ELj4E21rocsparse_complex_numIfEliS2_S2_S2_EEvT3_20rocsparse_direction_NS_24const_host_device_scalarIT1_EES3_PKS3_PKT2_SC_S9_PKT4_PKT5_S7_PT6_21rocsparse_index_base_b,comdat
.Lfunc_end30:
	.size	_ZN9rocsparseL18bsrxmvn_4x4_kernelILj128ELj4E21rocsparse_complex_numIfEliS2_S2_S2_EEvT3_20rocsparse_direction_NS_24const_host_device_scalarIT1_EES3_PKS3_PKT2_SC_S9_PKT4_PKT5_S7_PT6_21rocsparse_index_base_b, .Lfunc_end30-_ZN9rocsparseL18bsrxmvn_4x4_kernelILj128ELj4E21rocsparse_complex_numIfEliS2_S2_S2_EEvT3_20rocsparse_direction_NS_24const_host_device_scalarIT1_EES3_PKS3_PKT2_SC_S9_PKT4_PKT5_S7_PT6_21rocsparse_index_base_b
                                        ; -- End function
	.section	.AMDGPU.csdata,"",@progbits
; Kernel info:
; codeLenInByte = 7020
; NumSgprs: 22
; NumVgprs: 101
; NumAgprs: 0
; TotalNumVgprs: 101
; ScratchSize: 0
; MemoryBound: 0
; FloatMode: 240
; IeeeMode: 1
; LDSByteSize: 0 bytes/workgroup (compile time only)
; SGPRBlocks: 2
; VGPRBlocks: 12
; NumSGPRsForWavesPerEU: 22
; NumVGPRsForWavesPerEU: 101
; AccumOffset: 104
; Occupancy: 4
; WaveLimiterHint : 1
; COMPUTE_PGM_RSRC2:SCRATCH_EN: 0
; COMPUTE_PGM_RSRC2:USER_SGPR: 6
; COMPUTE_PGM_RSRC2:TRAP_HANDLER: 0
; COMPUTE_PGM_RSRC2:TGID_X_EN: 1
; COMPUTE_PGM_RSRC2:TGID_Y_EN: 0
; COMPUTE_PGM_RSRC2:TGID_Z_EN: 0
; COMPUTE_PGM_RSRC2:TIDIG_COMP_CNT: 0
; COMPUTE_PGM_RSRC3_GFX90A:ACCUM_OFFSET: 25
; COMPUTE_PGM_RSRC3_GFX90A:TG_SPLIT: 0
	.section	.text._ZN9rocsparseL18bsrxmvn_4x4_kernelILj128ELj8E21rocsparse_complex_numIfEliS2_S2_S2_EEvT3_20rocsparse_direction_NS_24const_host_device_scalarIT1_EES3_PKS3_PKT2_SC_S9_PKT4_PKT5_S7_PT6_21rocsparse_index_base_b,"axG",@progbits,_ZN9rocsparseL18bsrxmvn_4x4_kernelILj128ELj8E21rocsparse_complex_numIfEliS2_S2_S2_EEvT3_20rocsparse_direction_NS_24const_host_device_scalarIT1_EES3_PKS3_PKT2_SC_S9_PKT4_PKT5_S7_PT6_21rocsparse_index_base_b,comdat
	.globl	_ZN9rocsparseL18bsrxmvn_4x4_kernelILj128ELj8E21rocsparse_complex_numIfEliS2_S2_S2_EEvT3_20rocsparse_direction_NS_24const_host_device_scalarIT1_EES3_PKS3_PKT2_SC_S9_PKT4_PKT5_S7_PT6_21rocsparse_index_base_b ; -- Begin function _ZN9rocsparseL18bsrxmvn_4x4_kernelILj128ELj8E21rocsparse_complex_numIfEliS2_S2_S2_EEvT3_20rocsparse_direction_NS_24const_host_device_scalarIT1_EES3_PKS3_PKT2_SC_S9_PKT4_PKT5_S7_PT6_21rocsparse_index_base_b
	.p2align	8
	.type	_ZN9rocsparseL18bsrxmvn_4x4_kernelILj128ELj8E21rocsparse_complex_numIfEliS2_S2_S2_EEvT3_20rocsparse_direction_NS_24const_host_device_scalarIT1_EES3_PKS3_PKT2_SC_S9_PKT4_PKT5_S7_PT6_21rocsparse_index_base_b,@function
_ZN9rocsparseL18bsrxmvn_4x4_kernelILj128ELj8E21rocsparse_complex_numIfEliS2_S2_S2_EEvT3_20rocsparse_direction_NS_24const_host_device_scalarIT1_EES3_PKS3_PKT2_SC_S9_PKT4_PKT5_S7_PT6_21rocsparse_index_base_b: ; @_ZN9rocsparseL18bsrxmvn_4x4_kernelILj128ELj8E21rocsparse_complex_numIfEliS2_S2_S2_EEvT3_20rocsparse_direction_NS_24const_host_device_scalarIT1_EES3_PKS3_PKT2_SC_S9_PKT4_PKT5_S7_PT6_21rocsparse_index_base_b
; %bb.0:
	s_load_dwordx2 s[16:17], s[4:5], 0x58
	s_load_dwordx2 s[8:9], s[4:5], 0x8
	s_load_dwordx2 s[2:3], s[4:5], 0x48
	s_waitcnt lgkmcnt(0)
	s_bitcmp1_b32 s17, 0
	s_cselect_b64 s[0:1], -1, 0
	s_xor_b64 s[10:11], s[0:1], -1
	s_and_b64 vcc, exec, s[0:1]
	v_mov_b32_e32 v68, s8
	s_cbranch_vccnz .LBB31_2
; %bb.1:
	v_pk_mov_b32 v[2:3], s[8:9], s[8:9] op_sel:[0,1]
	flat_load_dword v68, v[2:3]
.LBB31_2:
	v_cndmask_b32_e64 v1, 0, 1, s[10:11]
	v_cmp_ne_u32_e64 s[0:1], 1, v1
	s_andn2_b64 vcc, exec, s[10:11]
	v_mov_b32_e32 v69, s9
	s_cbranch_vccz .LBB31_15
; %bb.3:
	s_and_b64 vcc, exec, s[0:1]
	v_mov_b32_e32 v70, s2
	s_cbranch_vccz .LBB31_16
.LBB31_4:
	s_and_b64 vcc, exec, s[0:1]
	v_mov_b32_e32 v71, s3
	s_cbranch_vccnz .LBB31_6
.LBB31_5:
	v_pk_mov_b32 v[2:3], s[2:3], s[2:3] op_sel:[0,1]
	flat_load_dword v71, v[2:3] offset:4
.LBB31_6:
	s_waitcnt vmcnt(0) lgkmcnt(0)
	v_and_b32_e32 v1, 0x7fffffff, v68
	v_cmp_eq_u32_e32 vcc, 0, v1
	v_cmp_eq_f32_e64 s[0:1], 0, v69
	s_and_b64 s[8:9], vcc, s[0:1]
	s_mov_b64 s[0:1], -1
	s_and_saveexec_b64 s[2:3], s[8:9]
; %bb.7:
	v_and_b32_e32 v1, 0x7fffffff, v71
	v_cmp_neq_f32_e32 vcc, 1.0, v70
	v_cmp_ne_u32_e64 s[0:1], 0, v1
	s_or_b64 s[0:1], vcc, s[0:1]
	s_orn2_b64 s[0:1], s[0:1], exec
; %bb.8:
	s_or_b64 exec, exec, s[2:3]
	s_and_saveexec_b64 s[2:3], s[0:1]
	s_cbranch_execz .LBB31_14
; %bb.9:
	s_load_dwordx2 s[8:9], s[4:5], 0x18
	s_load_dwordx2 s[0:1], s[4:5], 0x0
	v_lshrrev_b32_e32 v1, 3, v0
	v_lshl_or_b32 v72, s6, 4, v1
	s_mov_b64 s[2:3], 0
	s_waitcnt lgkmcnt(0)
	s_cmp_lg_u64 s[8:9], 0
	s_cbranch_scc0 .LBB31_17
; %bb.10:
	s_load_dword s6, s[4:5], 0x10
                                        ; implicit-def: $vgpr1
	s_waitcnt lgkmcnt(0)
	v_cmp_gt_i32_e32 vcc, s6, v72
	s_and_saveexec_b64 s[6:7], vcc
	s_xor_b64 s[6:7], exec, s[6:7]
	s_cbranch_execz .LBB31_12
; %bb.11:
	v_ashrrev_i32_e32 v73, 31, v72
	v_lshlrev_b64 v[2:3], 2, v[72:73]
	v_mov_b32_e32 v1, s9
	v_add_co_u32_e32 v2, vcc, s8, v2
	v_addc_co_u32_e32 v3, vcc, v1, v3, vcc
	global_load_dword v1, v[2:3], off
	s_mov_b64 s[2:3], exec
	s_waitcnt vmcnt(0)
	v_subrev_u32_e32 v1, s16, v1
.LBB31_12:
	s_or_b64 exec, exec, s[6:7]
	s_branch .LBB31_18
.LBB31_13:
	v_cmp_gt_i32_e32 vcc, s0, v72
	s_andn2_b64 s[2:3], s[2:3], exec
	s_and_b64 s[6:7], vcc, exec
	s_or_b64 s[2:3], s[2:3], s[6:7]
	s_and_b64 exec, exec, s[2:3]
	s_cbranch_execnz .LBB31_19
.LBB31_14:
	s_endpgm
.LBB31_15:
	v_pk_mov_b32 v[2:3], s[8:9], s[8:9] op_sel:[0,1]
	flat_load_dword v69, v[2:3] offset:4
	s_and_b64 vcc, exec, s[0:1]
	v_mov_b32_e32 v70, s2
	s_cbranch_vccnz .LBB31_4
.LBB31_16:
	v_pk_mov_b32 v[2:3], s[2:3], s[2:3] op_sel:[0,1]
	flat_load_dword v70, v[2:3]
	s_and_b64 vcc, exec, s[0:1]
	v_mov_b32_e32 v71, s3
	s_cbranch_vccz .LBB31_5
	s_branch .LBB31_6
.LBB31_17:
                                        ; implicit-def: $vgpr1
	s_cbranch_execnz .LBB31_13
.LBB31_18:
	v_mov_b32_e32 v72, v1
	s_and_b64 exec, exec, s[2:3]
	s_cbranch_execz .LBB31_14
.LBB31_19:
	s_load_dwordx8 s[8:15], s[4:5], 0x20
	v_ashrrev_i32_e32 v73, 31, v72
	v_lshlrev_b64 v[2:3], 3, v[72:73]
	v_and_b32_e32 v74, 7, v0
	s_load_dwordx2 s[6:7], s[4:5], 0x40
	s_waitcnt lgkmcnt(0)
	v_mov_b32_e32 v1, s9
	v_add_co_u32_e32 v4, vcc, s8, v2
	v_addc_co_u32_e32 v5, vcc, v1, v3, vcc
	v_add_co_u32_e32 v1, vcc, 8, v4
	global_load_dwordx2 v[34:35], v[4:5], off
	v_addc_co_u32_e32 v4, vcc, 0, v5, vcc
	v_mov_b32_e32 v5, s11
	v_add_co_u32_e32 v2, vcc, s10, v2
	s_cmp_eq_u64 s[10:11], 0
	v_addc_co_u32_e32 v3, vcc, v5, v3, vcc
	s_cselect_b64 vcc, -1, 0
	v_cndmask_b32_e32 v3, v3, v4, vcc
	v_cndmask_b32_e32 v2, v2, v1, vcc
	global_load_dwordx2 v[2:3], v[2:3], off
	v_mov_b32_e32 v4, s15
	s_mov_b32 s17, 0
	v_mov_b32_e32 v49, 0
	s_cmp_eq_u32 s1, 1
	s_waitcnt vmcnt(1)
	v_subrev_co_u32_e32 v0, vcc, s16, v34
	v_subbrev_co_u32_e32 v1, vcc, 0, v35, vcc
	v_add_co_u32_e32 v76, vcc, v0, v74
	v_addc_co_u32_e32 v77, vcc, 0, v1, vcc
	v_lshlrev_b64 v[0:1], 7, v[76:77]
	s_waitcnt vmcnt(0)
	v_subrev_co_u32_e32 v78, vcc, s16, v2
	v_subbrev_co_u32_e32 v79, vcc, 0, v3, vcc
	v_add_co_u32_e32 v80, vcc, s14, v0
	v_addc_co_u32_e32 v81, vcc, v4, v1, vcc
	v_cmp_lt_i64_e64 s[0:1], v[76:77], v[78:79]
	s_cbranch_scc1 .LBB31_31
; %bb.20:
	v_mov_b32_e32 v48, 0
	v_mov_b32_e32 v47, 0
	;; [unrolled: 1-line block ×7, first 2 shown]
	s_and_saveexec_b64 s[8:9], s[0:1]
	s_cbranch_execz .LBB31_30
; %bb.21:
	v_or_b32_e32 v0, 8, v74
	v_mov_b32_e32 v1, s17
	v_subrev_co_u32_e32 v0, vcc, s16, v0
	v_subb_co_u32_e32 v1, vcc, 0, v1, vcc
	v_add_co_u32_e32 v0, vcc, v0, v34
	v_addc_co_u32_e32 v1, vcc, v1, v35, vcc
	v_cmp_gt_i64_e32 vcc, v[0:1], v[78:79]
	v_cndmask_b32_e32 v1, v79, v1, vcc
	v_cndmask_b32_e32 v0, v78, v0, vcc
	v_mov_b32_e32 v4, s17
	v_sub_co_u32_e32 v5, vcc, s16, v74
	v_not_b32_e32 v3, v34
	v_subbrev_co_u32_e32 v4, vcc, 0, v4, vcc
	v_not_b32_e32 v2, v35
	v_add_co_u32_e32 v3, vcc, v5, v3
	v_addc_co_u32_e32 v2, vcc, v4, v2, vcc
	v_add_co_u32_e32 v0, vcc, v3, v0
	v_addc_co_u32_e32 v1, vcc, v2, v1, vcc
	v_lshrrev_b32_e32 v2, 3, v0
	v_add_u32_e32 v2, 1, v2
	v_and_b32_e32 v2, 3, v2
	v_mov_b32_e32 v45, 0
	v_cmp_ne_u32_e32 vcc, 0, v2
	v_mov_b32_e32 v44, v45
	v_mov_b32_e32 v51, v45
	v_mov_b32_e32 v50, v45
	v_mov_b32_e32 v47, v45
	v_mov_b32_e32 v46, v45
	v_mov_b32_e32 v48, v45
	v_mov_b32_e32 v49, v45
	v_pk_mov_b32 v[36:37], v[80:81], v[80:81] op_sel:[0,1]
	v_pk_mov_b32 v[38:39], v[76:77], v[76:77] op_sel:[0,1]
	s_and_saveexec_b64 s[2:3], vcc
	s_cbranch_execz .LBB31_25
; %bb.22:
	v_lshlrev_b64 v[4:5], 2, v[76:77]
	v_mov_b32_e32 v3, 0
	v_mov_b32_e32 v6, s13
	v_add_co_u32_e32 v4, vcc, s12, v4
	v_addc_co_u32_e32 v5, vcc, v6, v5, vcc
	v_lshlrev_b32_e32 v2, 2, v2
	s_mov_b64 s[10:11], 0
	s_movk_i32 s14, 0x400
	v_mov_b32_e32 v6, s7
	v_pk_mov_b32 v[38:39], v[76:77], v[76:77] op_sel:[0,1]
	v_pk_mov_b32 v[36:37], v[80:81], v[80:81] op_sel:[0,1]
	v_mov_b32_e32 v44, v3
	v_mov_b32_e32 v45, v3
	;; [unrolled: 1-line block ×8, first 2 shown]
.LBB31_23:                              ; =>This Inner Loop Header: Depth=1
	global_load_dword v7, v[4:5], off
	global_load_dwordx4 v[8:11], v[36:37], off
	global_load_dwordx4 v[12:15], v[36:37], off offset:16
	global_load_dwordx4 v[16:19], v[36:37], off offset:48
	;; [unrolled: 1-line block ×7, first 2 shown]
	s_waitcnt vmcnt(8)
	v_subrev_u32_e32 v7, s16, v7
	v_lshlrev_b32_e32 v32, 2, v7
	v_ashrrev_i32_e32 v33, 31, v32
	v_lshlrev_b64 v[32:33], 3, v[32:33]
	v_add_co_u32_e32 v32, vcc, s6, v32
	v_addc_co_u32_e32 v33, vcc, v6, v33, vcc
	global_load_dwordx4 v[56:59], v[32:33], off
	global_load_dwordx4 v[60:63], v[32:33], off offset:16
	v_add_co_u32_e32 v36, vcc, s14, v36
	v_addc_co_u32_e32 v37, vcc, 0, v37, vcc
	v_add_co_u32_e32 v38, vcc, 8, v38
	v_addc_co_u32_e32 v39, vcc, 0, v39, vcc
	v_add_co_u32_e32 v4, vcc, 32, v4
	s_waitcnt vmcnt(9)
	v_xor_b32_e32 v32, 0x80000000, v11
	v_mov_b32_e32 v33, v10
	s_waitcnt vmcnt(6)
	v_xor_b32_e32 v66, 0x80000000, v23
	v_mov_b32_e32 v67, v22
	s_waitcnt vmcnt(2)
	v_xor_b32_e32 v84, 0x80000000, v55
	v_mov_b32_e32 v85, v54
	v_xor_b32_e32 v88, 0x80000000, v31
	v_mov_b32_e32 v89, v30
	v_addc_co_u32_e32 v5, vcc, 0, v5, vcc
	v_add_co_u32_e32 v2, vcc, -4, v2
	v_addc_co_u32_e32 v3, vcc, -1, v3, vcc
	v_cmp_eq_u64_e32 vcc, 0, v[2:3]
	v_xor_b32_e32 v64, 0x80000000, v15
	v_mov_b32_e32 v65, v14
	v_xor_b32_e32 v82, 0x80000000, v19
	v_mov_b32_e32 v83, v18
	;; [unrolled: 2-line block ×4, first 2 shown]
	s_or_b64 s[10:11], vcc, s[10:11]
	s_waitcnt vmcnt(1)
	v_pk_fma_f32 v[48:49], v[8:9], v[56:57], v[48:49] op_sel_hi:[1,0,1]
	v_pk_fma_f32 v[44:45], v[20:21], v[56:57], v[44:45] op_sel_hi:[1,0,1]
	;; [unrolled: 1-line block ×4, first 2 shown]
	v_pk_fma_f32 v[8:9], v[8:9], v[56:57], v[48:49] op_sel:[1,1,0] op_sel_hi:[0,1,1] neg_lo:[1,0,0]
	v_pk_fma_f32 v[20:21], v[20:21], v[56:57], v[44:45] op_sel:[1,1,0] op_sel_hi:[0,1,1] neg_lo:[1,0,0]
	;; [unrolled: 1-line block ×4, first 2 shown]
	v_mov_b32_e32 v92, v59
	v_pk_fma_f32 v[8:9], v[10:11], v[58:59], v[8:9] op_sel_hi:[1,0,1]
	v_pk_fma_f32 v[10:11], v[22:23], v[58:59], v[20:21] op_sel_hi:[1,0,1]
	;; [unrolled: 1-line block ×8, first 2 shown]
	s_waitcnt vmcnt(0)
	v_pk_fma_f32 v[8:9], v[12:13], v[60:61], v[8:9] op_sel_hi:[1,0,1]
	v_pk_fma_f32 v[10:11], v[16:17], v[60:61], v[10:11] op_sel_hi:[1,0,1]
	;; [unrolled: 1-line block ×4, first 2 shown]
	v_pk_fma_f32 v[8:9], v[12:13], v[60:61], v[8:9] op_sel:[1,1,0] op_sel_hi:[0,1,1] neg_lo:[1,0,0]
	v_pk_fma_f32 v[10:11], v[16:17], v[60:61], v[10:11] op_sel:[1,1,0] op_sel_hi:[0,1,1] neg_lo:[1,0,0]
	;; [unrolled: 1-line block ×4, first 2 shown]
	v_mov_b32_e32 v94, v63
	v_pk_fma_f32 v[8:9], v[14:15], v[62:63], v[8:9] op_sel_hi:[1,0,1]
	v_pk_fma_f32 v[10:11], v[18:19], v[62:63], v[10:11] op_sel_hi:[1,0,1]
	;; [unrolled: 1-line block ×8, first 2 shown]
	s_andn2_b64 exec, exec, s[10:11]
	s_cbranch_execnz .LBB31_23
; %bb.24:
	s_or_b64 exec, exec, s[10:11]
.LBB31_25:
	s_or_b64 exec, exec, s[2:3]
	v_cmp_lt_u64_e32 vcc, 23, v[0:1]
	s_and_saveexec_b64 s[10:11], vcc
	s_cbranch_execz .LBB31_29
; %bb.26:
	v_lshlrev_b64 v[0:1], 2, v[38:39]
	v_mov_b32_e32 v2, s13
	v_add_co_u32_e32 v0, vcc, s12, v0
	v_addc_co_u32_e32 v1, vcc, v1, v2, vcc
	v_add_co_u32_e32 v40, vcc, 64, v0
	v_addc_co_u32_e32 v41, vcc, 0, v1, vcc
	s_mov_b64 s[14:15], 0
	v_mov_b32_e32 v52, s7
.LBB31_27:                              ; =>This Inner Loop Header: Depth=1
	global_load_dword v0, v[40:41], off offset:-64
	s_waitcnt vmcnt(0)
	v_subrev_u32_e32 v0, s16, v0
	v_lshlrev_b32_e32 v0, 2, v0
	v_ashrrev_i32_e32 v1, 31, v0
	v_lshlrev_b64 v[0:1], 3, v[0:1]
	v_add_co_u32_e32 v4, vcc, s6, v0
	v_addc_co_u32_e32 v5, vcc, v52, v1, vcc
	global_load_dwordx4 v[0:3], v[4:5], off offset:16
	global_load_dwordx4 v[26:29], v[4:5], off
	global_load_dword v6, v[40:41], off offset:-32
	s_waitcnt vmcnt(2)
	v_mov_b32_e32 v86, v3
	s_waitcnt vmcnt(1)
	v_mov_b32_e32 v66, v29
	s_waitcnt vmcnt(0)
	v_subrev_u32_e32 v4, s16, v6
	v_lshlrev_b32_e32 v4, 2, v4
	v_ashrrev_i32_e32 v5, 31, v4
	v_lshlrev_b64 v[4:5], 3, v[4:5]
	v_add_co_u32_e32 v20, vcc, s6, v4
	v_addc_co_u32_e32 v21, vcc, v52, v5, vcc
	global_load_dwordx4 v[4:7], v[20:21], off offset:16
	global_load_dwordx4 v[8:11], v[20:21], off
	global_load_dwordx4 v[22:25], v[36:37], off offset:48
	global_load_dwordx4 v[30:33], v[36:37], off offset:32
	;; [unrolled: 1-line block ×3, first 2 shown]
	global_load_dwordx4 v[16:19], v[36:37], off
	s_waitcnt vmcnt(0)
	v_pk_fma_f32 v[20:21], v[16:17], v[26:27], v[48:49] op_sel_hi:[1,0,1]
	v_pk_fma_f32 v[16:17], v[16:17], v[26:27], v[20:21] op_sel:[1,1,0] op_sel_hi:[0,1,1] neg_lo:[1,0,0]
	v_xor_b32_e32 v20, 0x80000000, v19
	v_pk_fma_f32 v[16:17], v[18:19], v[28:29], v[16:17] op_sel_hi:[1,0,1]
	v_mov_b32_e32 v21, v18
	v_pk_fma_f32 v[16:17], v[20:21], v[66:67], v[16:17] op_sel_hi:[1,0,1]
	v_pk_fma_f32 v[16:17], v[12:13], v[0:1], v[16:17] op_sel_hi:[1,0,1]
	v_pk_fma_f32 v[12:13], v[12:13], v[0:1], v[16:17] op_sel:[1,1,0] op_sel_hi:[0,1,1] neg_lo:[1,0,0]
	v_xor_b32_e32 v16, 0x80000000, v15
	v_pk_fma_f32 v[12:13], v[14:15], v[2:3], v[12:13] op_sel_hi:[1,0,1]
	v_mov_b32_e32 v17, v14
	v_pk_fma_f32 v[16:17], v[16:17], v[86:87], v[12:13] op_sel_hi:[1,0,1]
	global_load_dwordx4 v[12:15], v[36:37], off offset:1072
	global_load_dwordx4 v[18:21], v[36:37], off offset:1056
	;; [unrolled: 1-line block ×4, first 2 shown]
	s_waitcnt vmcnt(2)
	v_xor_b32_e32 v42, 0x80000000, v21
	v_mov_b32_e32 v43, v20
	s_waitcnt vmcnt(0)
	v_pk_fma_f32 v[16:17], v[58:59], v[8:9], v[16:17] op_sel_hi:[1,0,1]
	v_pk_fma_f32 v[58:59], v[58:59], v[8:9], v[16:17] op_sel:[1,1,0] op_sel_hi:[0,1,1] neg_lo:[1,0,0]
	v_pk_fma_f32 v[16:17], v[30:31], v[26:27], v[44:45] op_sel_hi:[1,0,1]
	v_pk_fma_f32 v[16:17], v[30:31], v[26:27], v[16:17] op_sel:[1,1,0] op_sel_hi:[0,1,1] neg_lo:[1,0,0]
	v_xor_b32_e32 v30, 0x80000000, v33
	v_pk_fma_f32 v[16:17], v[32:33], v[28:29], v[16:17] op_sel_hi:[1,0,1]
	v_mov_b32_e32 v31, v32
	v_pk_fma_f32 v[16:17], v[30:31], v[66:67], v[16:17] op_sel_hi:[1,0,1]
	v_pk_fma_f32 v[16:17], v[22:23], v[0:1], v[16:17] op_sel_hi:[1,0,1]
	v_pk_fma_f32 v[16:17], v[22:23], v[0:1], v[16:17] op_sel:[1,1,0] op_sel_hi:[0,1,1] neg_lo:[1,0,0]
	v_xor_b32_e32 v22, 0x80000000, v25
	v_pk_fma_f32 v[16:17], v[24:25], v[2:3], v[16:17] op_sel_hi:[1,0,1]
	v_mov_b32_e32 v23, v24
	v_pk_fma_f32 v[16:17], v[22:23], v[86:87], v[16:17] op_sel_hi:[1,0,1]
	v_pk_fma_f32 v[16:17], v[18:19], v[8:9], v[16:17] op_sel_hi:[1,0,1]
	v_pk_fma_f32 v[44:45], v[18:19], v[8:9], v[16:17] op_sel:[1,1,0] op_sel_hi:[0,1,1] neg_lo:[1,0,0]
	global_load_dwordx4 v[16:19], v[36:37], off offset:112
	global_load_dwordx4 v[62:65], v[36:37], off offset:96
	;; [unrolled: 1-line block ×4, first 2 shown]
	v_xor_b32_e32 v88, 0x80000000, v61
	v_mov_b32_e32 v89, v60
	s_waitcnt vmcnt(2)
	v_pk_fma_f32 v[46:47], v[62:63], v[26:27], v[46:47] op_sel_hi:[1,0,1]
	s_waitcnt vmcnt(0)
	v_pk_fma_f32 v[48:49], v[30:31], v[26:27], v[50:51] op_sel_hi:[1,0,1]
	v_pk_fma_f32 v[30:31], v[30:31], v[26:27], v[48:49] op_sel:[1,1,0] op_sel_hi:[0,1,1] neg_lo:[1,0,0]
	v_xor_b32_e32 v48, 0x80000000, v33
	v_pk_fma_f32 v[30:31], v[32:33], v[28:29], v[30:31] op_sel_hi:[1,0,1]
	v_mov_b32_e32 v49, v32
	v_pk_fma_f32 v[30:31], v[48:49], v[66:67], v[30:31] op_sel_hi:[1,0,1]
	v_pk_fma_f32 v[30:31], v[22:23], v[0:1], v[30:31] op_sel_hi:[1,0,1]
	v_pk_fma_f32 v[22:23], v[22:23], v[0:1], v[30:31] op_sel:[1,1,0] op_sel_hi:[0,1,1] neg_lo:[1,0,0]
	v_xor_b32_e32 v30, 0x80000000, v25
	v_pk_fma_f32 v[22:23], v[24:25], v[2:3], v[22:23] op_sel_hi:[1,0,1]
	v_mov_b32_e32 v31, v24
	v_pk_fma_f32 v[90:91], v[30:31], v[86:87], v[22:23] op_sel_hi:[1,0,1]
	global_load_dwordx4 v[22:25], v[36:37], off offset:1136
	global_load_dwordx4 v[30:33], v[36:37], off offset:1120
	;; [unrolled: 1-line block ×4, first 2 shown]
	v_pk_fma_f32 v[26:27], v[62:63], v[26:27], v[46:47] op_sel:[1,1,0] op_sel_hi:[0,1,1] neg_lo:[1,0,0]
	v_xor_b32_e32 v46, 0x80000000, v65
	v_pk_fma_f32 v[26:27], v[64:65], v[28:29], v[26:27] op_sel_hi:[1,0,1]
	v_mov_b32_e32 v47, v64
	v_pk_fma_f32 v[26:27], v[46:47], v[66:67], v[26:27] op_sel_hi:[1,0,1]
	v_pk_fma_f32 v[26:27], v[16:17], v[0:1], v[26:27] op_sel_hi:[1,0,1]
	v_pk_fma_f32 v[0:1], v[16:17], v[0:1], v[26:27] op_sel:[1,1,0] op_sel_hi:[0,1,1] neg_lo:[1,0,0]
	v_xor_b32_e32 v16, 0x80000000, v19
	v_pk_fma_f32 v[0:1], v[18:19], v[2:3], v[0:1] op_sel_hi:[1,0,1]
	v_mov_b32_e32 v17, v18
	v_pk_fma_f32 v[0:1], v[16:17], v[86:87], v[0:1] op_sel_hi:[1,0,1]
	v_mov_b32_e32 v66, v11
	v_xor_b32_e32 v18, 0x80000000, v57
	v_mov_b32_e32 v19, v56
	v_mov_b32_e32 v86, v7
	s_waitcnt vmcnt(2)
	v_pk_fma_f32 v[0:1], v[30:31], v[8:9], v[0:1] op_sel_hi:[1,0,1]
	v_pk_fma_f32 v[46:47], v[30:31], v[8:9], v[0:1] op_sel:[1,1,0] op_sel_hi:[0,1,1] neg_lo:[1,0,0]
	global_load_dword v0, v[40:41], off
	s_waitcnt vmcnt(1)
	v_pk_fma_f32 v[90:91], v[82:83], v[8:9], v[90:91] op_sel_hi:[1,0,1]
	v_pk_fma_f32 v[82:83], v[82:83], v[8:9], v[90:91] op_sel:[1,1,0] op_sel_hi:[0,1,1] neg_lo:[1,0,0]
	v_xor_b32_e32 v90, 0x80000000, v85
	v_mov_b32_e32 v91, v84
	v_xor_b32_e32 v8, 0x80000000, v33
	v_mov_b32_e32 v9, v32
	s_waitcnt vmcnt(0)
	v_subrev_u32_e32 v0, s16, v0
	v_lshlrev_b32_e32 v0, 2, v0
	v_ashrrev_i32_e32 v1, 31, v0
	v_lshlrev_b64 v[0:1], 3, v[0:1]
	v_add_co_u32_e32 v16, vcc, s6, v0
	v_addc_co_u32_e32 v17, vcc, v52, v1, vcc
	global_load_dwordx4 v[0:3], v[16:17], off offset:16
	global_load_dwordx4 v[26:29], v[16:17], off
	v_pk_fma_f32 v[16:17], v[60:61], v[10:11], v[58:59] op_sel_hi:[1,0,1]
	v_pk_fma_f32 v[16:17], v[88:89], v[66:67], v[16:17] op_sel_hi:[1,0,1]
	;; [unrolled: 1-line block ×3, first 2 shown]
	v_pk_fma_f32 v[16:17], v[54:55], v[4:5], v[16:17] op_sel:[1,1,0] op_sel_hi:[0,1,1] neg_lo:[1,0,0]
	v_pk_fma_f32 v[16:17], v[56:57], v[6:7], v[16:17] op_sel_hi:[1,0,1]
	v_pk_fma_f32 v[30:31], v[18:19], v[86:87], v[16:17] op_sel_hi:[1,0,1]
	global_load_dwordx4 v[16:19], v[36:37], off offset:2096
	global_load_dwordx4 v[54:57], v[36:37], off offset:2080
	;; [unrolled: 1-line block ×4, first 2 shown]
	s_waitcnt vmcnt(0)
	v_pk_fma_f32 v[30:31], v[62:63], v[26:27], v[30:31] op_sel_hi:[1,0,1]
	v_pk_fma_f32 v[30:31], v[62:63], v[26:27], v[30:31] op_sel:[1,1,0] op_sel_hi:[0,1,1] neg_lo:[1,0,0]
	v_xor_b32_e32 v62, 0x80000000, v65
	v_pk_fma_f32 v[30:31], v[64:65], v[28:29], v[30:31] op_sel_hi:[1,0,1]
	v_mov_b32_e32 v63, v64
	v_mov_b32_e32 v64, v29
	v_pk_fma_f32 v[30:31], v[62:63], v[64:65], v[30:31] op_sel_hi:[1,0,1]
	v_pk_fma_f32 v[62:63], v[58:59], v[0:1], v[30:31] op_sel_hi:[1,0,1]
	;; [unrolled: 1-line block ×5, first 2 shown]
	v_pk_fma_f32 v[12:13], v[12:13], v[4:5], v[20:21] op_sel:[1,1,0] op_sel_hi:[0,1,1] neg_lo:[1,0,0]
	v_xor_b32_e32 v20, 0x80000000, v15
	v_pk_fma_f32 v[12:13], v[14:15], v[6:7], v[12:13] op_sel_hi:[1,0,1]
	v_mov_b32_e32 v21, v14
	v_pk_fma_f32 v[12:13], v[20:21], v[86:87], v[12:13] op_sel_hi:[1,0,1]
	v_pk_fma_f32 v[12:13], v[54:55], v[26:27], v[12:13] op_sel_hi:[1,0,1]
	v_pk_fma_f32 v[12:13], v[54:55], v[26:27], v[12:13] op_sel:[1,1,0] op_sel_hi:[0,1,1] neg_lo:[1,0,0]
	v_xor_b32_e32 v14, 0x80000000, v57
	v_pk_fma_f32 v[12:13], v[56:57], v[28:29], v[12:13] op_sel_hi:[1,0,1]
	v_mov_b32_e32 v15, v56
	v_pk_fma_f32 v[12:13], v[14:15], v[64:65], v[12:13] op_sel_hi:[1,0,1]
	v_pk_fma_f32 v[30:31], v[16:17], v[0:1], v[12:13] op_sel_hi:[1,0,1]
	;; [unrolled: 1-line block ×5, first 2 shown]
	v_pk_fma_f32 v[12:13], v[48:49], v[4:5], v[12:13] op_sel:[1,1,0] op_sel_hi:[0,1,1] neg_lo:[1,0,0]
	v_xor_b32_e32 v14, 0x80000000, v51
	v_pk_fma_f32 v[12:13], v[50:51], v[6:7], v[12:13] op_sel_hi:[1,0,1]
	v_mov_b32_e32 v15, v50
	v_pk_fma_f32 v[20:21], v[14:15], v[86:87], v[12:13] op_sel_hi:[1,0,1]
	global_load_dwordx4 v[12:15], v[36:37], off offset:2160
	global_load_dwordx4 v[42:45], v[36:37], off offset:2144
	;; [unrolled: 1-line block ×4, first 2 shown]
	v_pk_fma_f32 v[10:11], v[32:33], v[10:11], v[46:47] op_sel_hi:[1,0,1]
	v_pk_fma_f32 v[8:9], v[8:9], v[66:67], v[10:11] op_sel_hi:[1,0,1]
	v_pk_fma_f32 v[8:9], v[22:23], v[4:5], v[8:9] op_sel_hi:[1,0,1]
	v_pk_fma_f32 v[4:5], v[22:23], v[4:5], v[8:9] op_sel:[1,1,0] op_sel_hi:[0,1,1] neg_lo:[1,0,0]
	v_xor_b32_e32 v8, 0x80000000, v25
	v_pk_fma_f32 v[4:5], v[24:25], v[6:7], v[4:5] op_sel_hi:[1,0,1]
	v_mov_b32_e32 v9, v24
	v_pk_fma_f32 v[4:5], v[8:9], v[86:87], v[4:5] op_sel_hi:[1,0,1]
	v_xor_b32_e32 v24, 0x80000000, v61
	v_mov_b32_e32 v25, v60
	v_pk_fma_f32 v[16:17], v[16:17], v[0:1], v[30:31] op_sel:[1,1,0] op_sel_hi:[0,1,1] neg_lo:[1,0,0]
	v_pk_fma_f32 v[16:17], v[18:19], v[2:3], v[16:17] op_sel_hi:[1,0,1]
	s_waitcnt vmcnt(2)
	v_pk_fma_f32 v[4:5], v[42:43], v[26:27], v[4:5] op_sel_hi:[1,0,1]
	v_pk_fma_f32 v[4:5], v[42:43], v[26:27], v[4:5] op_sel:[1,1,0] op_sel_hi:[0,1,1] neg_lo:[1,0,0]
	s_waitcnt vmcnt(0)
	v_pk_fma_f32 v[20:21], v[48:49], v[26:27], v[20:21] op_sel_hi:[1,0,1]
	v_pk_fma_f32 v[20:21], v[48:49], v[26:27], v[20:21] op_sel:[1,1,0] op_sel_hi:[0,1,1] neg_lo:[1,0,0]
	v_xor_b32_e32 v48, 0x80000000, v51
	v_pk_fma_f32 v[20:21], v[50:51], v[28:29], v[20:21] op_sel_hi:[1,0,1]
	v_mov_b32_e32 v49, v50
	v_xor_b32_e32 v6, 0x80000000, v45
	v_pk_fma_f32 v[4:5], v[44:45], v[28:29], v[4:5] op_sel_hi:[1,0,1]
	v_mov_b32_e32 v7, v44
	v_pk_fma_f32 v[20:21], v[48:49], v[64:65], v[20:21] op_sel_hi:[1,0,1]
	v_pk_fma_f32 v[4:5], v[6:7], v[64:65], v[4:5] op_sel_hi:[1,0,1]
	;; [unrolled: 1-line block ×4, first 2 shown]
	global_load_dword v4, v[40:41], off offset:32
	s_waitcnt vmcnt(0)
	v_subrev_u32_e32 v4, s16, v4
	v_lshlrev_b32_e32 v4, 2, v4
	v_ashrrev_i32_e32 v5, 31, v4
	v_lshlrev_b64 v[4:5], 3, v[4:5]
	v_add_co_u32_e32 v22, vcc, s6, v4
	v_addc_co_u32_e32 v23, vcc, v52, v5, vcc
	global_load_dwordx4 v[4:7], v[22:23], off offset:16
	global_load_dwordx4 v[8:11], v[22:23], off
	v_pk_fma_f32 v[22:23], v[58:59], v[0:1], v[62:63] op_sel:[1,1,0] op_sel_hi:[0,1,1] neg_lo:[1,0,0]
	v_pk_fma_f32 v[26:27], v[60:61], v[2:3], v[22:23] op_sel_hi:[1,0,1]
	v_mov_b32_e32 v22, v3
	v_pk_fma_f32 v[28:29], v[24:25], v[22:23], v[26:27] op_sel_hi:[1,0,1]
	global_load_dwordx4 v[24:27], v[36:37], off offset:3120
	global_load_dwordx4 v[42:45], v[36:37], off offset:3104
	;; [unrolled: 1-line block ×4, first 2 shown]
	v_add_co_u32_e32 v38, vcc, 32, v38
	v_addc_co_u32_e32 v39, vcc, 0, v39, vcc
	v_add_co_u32_e32 v40, vcc, 0x80, v40
	v_addc_co_u32_e32 v41, vcc, 0, v41, vcc
	v_cmp_ge_i64_e64 s[2:3], v[38:39], v[78:79]
	s_or_b64 s[14:15], s[2:3], s[14:15]
	s_waitcnt vmcnt(0)
	v_pk_fma_f32 v[28:29], v[58:59], v[8:9], v[28:29] op_sel_hi:[1,0,1]
	v_pk_fma_f32 v[28:29], v[58:59], v[8:9], v[28:29] op_sel:[1,1,0] op_sel_hi:[0,1,1] neg_lo:[1,0,0]
	v_xor_b32_e32 v32, 0x80000000, v61
	v_pk_fma_f32 v[28:29], v[60:61], v[10:11], v[28:29] op_sel_hi:[1,0,1]
	v_mov_b32_e32 v33, v60
	v_mov_b32_e32 v58, v11
	v_pk_fma_f32 v[28:29], v[32:33], v[58:59], v[28:29] op_sel_hi:[1,0,1]
	v_pk_fma_f32 v[28:29], v[46:47], v[4:5], v[28:29] op_sel_hi:[1,0,1]
	v_pk_fma_f32 v[28:29], v[46:47], v[4:5], v[28:29] op_sel:[1,1,0] op_sel_hi:[0,1,1] neg_lo:[1,0,0]
	v_xor_b32_e32 v32, 0x80000000, v49
	v_pk_fma_f32 v[28:29], v[48:49], v[6:7], v[28:29] op_sel_hi:[1,0,1]
	v_mov_b32_e32 v33, v48
	v_mov_b32_e32 v46, v7
	v_pk_fma_f32 v[48:49], v[32:33], v[46:47], v[28:29] op_sel_hi:[1,0,1]
	v_xor_b32_e32 v28, 0x80000000, v19
	v_mov_b32_e32 v29, v18
	v_pk_fma_f32 v[16:17], v[28:29], v[22:23], v[16:17] op_sel_hi:[1,0,1]
	v_pk_fma_f32 v[16:17], v[42:43], v[8:9], v[16:17] op_sel_hi:[1,0,1]
	v_pk_fma_f32 v[16:17], v[42:43], v[8:9], v[16:17] op_sel:[1,1,0] op_sel_hi:[0,1,1] neg_lo:[1,0,0]
	v_xor_b32_e32 v18, 0x80000000, v45
	v_pk_fma_f32 v[16:17], v[44:45], v[10:11], v[16:17] op_sel_hi:[1,0,1]
	v_mov_b32_e32 v19, v44
	v_pk_fma_f32 v[16:17], v[18:19], v[58:59], v[16:17] op_sel_hi:[1,0,1]
	v_pk_fma_f32 v[16:17], v[24:25], v[4:5], v[16:17] op_sel_hi:[1,0,1]
	v_pk_fma_f32 v[16:17], v[24:25], v[4:5], v[16:17] op_sel:[1,1,0] op_sel_hi:[0,1,1] neg_lo:[1,0,0]
	v_xor_b32_e32 v18, 0x80000000, v27
	v_pk_fma_f32 v[16:17], v[26:27], v[6:7], v[16:17] op_sel_hi:[1,0,1]
	v_mov_b32_e32 v19, v26
	v_pk_fma_f32 v[44:45], v[18:19], v[46:47], v[16:17] op_sel_hi:[1,0,1]
	v_pk_fma_f32 v[16:17], v[54:55], v[0:1], v[50:51] op_sel:[1,1,0] op_sel_hi:[0,1,1] neg_lo:[1,0,0]
	v_xor_b32_e32 v18, 0x80000000, v57
	v_pk_fma_f32 v[16:17], v[56:57], v[2:3], v[16:17] op_sel_hi:[1,0,1]
	v_mov_b32_e32 v19, v56
	v_pk_fma_f32 v[32:33], v[18:19], v[22:23], v[16:17] op_sel_hi:[1,0,1]
	global_load_dwordx4 v[16:19], v[36:37], off offset:3184
	global_load_dwordx4 v[24:27], v[36:37], off offset:3168
	;; [unrolled: 1-line block ×4, first 2 shown]
	v_pk_fma_f32 v[0:1], v[12:13], v[0:1], v[20:21] op_sel:[1,1,0] op_sel_hi:[0,1,1] neg_lo:[1,0,0]
	v_xor_b32_e32 v12, 0x80000000, v15
	v_pk_fma_f32 v[0:1], v[14:15], v[2:3], v[0:1] op_sel_hi:[1,0,1]
	v_mov_b32_e32 v13, v14
	v_pk_fma_f32 v[0:1], v[12:13], v[22:23], v[0:1] op_sel_hi:[1,0,1]
	v_add_co_u32_e32 v36, vcc, 0x1000, v36
	v_addc_co_u32_e32 v37, vcc, 0, v37, vcc
	s_waitcnt vmcnt(2)
	v_pk_fma_f32 v[0:1], v[24:25], v[8:9], v[0:1] op_sel_hi:[1,0,1]
	v_pk_fma_f32 v[0:1], v[24:25], v[8:9], v[0:1] op_sel:[1,1,0] op_sel_hi:[0,1,1] neg_lo:[1,0,0]
	s_waitcnt vmcnt(0)
	v_pk_fma_f32 v[32:33], v[54:55], v[8:9], v[32:33] op_sel_hi:[1,0,1]
	v_pk_fma_f32 v[32:33], v[54:55], v[8:9], v[32:33] op_sel:[1,1,0] op_sel_hi:[0,1,1] neg_lo:[1,0,0]
	v_xor_b32_e32 v42, 0x80000000, v57
	v_pk_fma_f32 v[32:33], v[56:57], v[10:11], v[32:33] op_sel_hi:[1,0,1]
	v_mov_b32_e32 v43, v56
	v_xor_b32_e32 v2, 0x80000000, v27
	v_pk_fma_f32 v[0:1], v[26:27], v[10:11], v[0:1] op_sel_hi:[1,0,1]
	v_mov_b32_e32 v3, v26
	v_pk_fma_f32 v[32:33], v[42:43], v[58:59], v[32:33] op_sel_hi:[1,0,1]
	v_pk_fma_f32 v[0:1], v[2:3], v[58:59], v[0:1] op_sel_hi:[1,0,1]
	v_pk_fma_f32 v[32:33], v[28:29], v[4:5], v[32:33] op_sel_hi:[1,0,1]
	v_pk_fma_f32 v[0:1], v[16:17], v[4:5], v[0:1] op_sel_hi:[1,0,1]
	v_pk_fma_f32 v[28:29], v[28:29], v[4:5], v[32:33] op_sel:[1,1,0] op_sel_hi:[0,1,1] neg_lo:[1,0,0]
	v_pk_fma_f32 v[0:1], v[16:17], v[4:5], v[0:1] op_sel:[1,1,0] op_sel_hi:[0,1,1] neg_lo:[1,0,0]
	v_xor_b32_e32 v32, 0x80000000, v31
	v_pk_fma_f32 v[28:29], v[30:31], v[6:7], v[28:29] op_sel_hi:[1,0,1]
	v_mov_b32_e32 v33, v30
	v_xor_b32_e32 v2, 0x80000000, v19
	v_pk_fma_f32 v[0:1], v[18:19], v[6:7], v[0:1] op_sel_hi:[1,0,1]
	v_mov_b32_e32 v3, v18
	v_pk_fma_f32 v[50:51], v[32:33], v[46:47], v[28:29] op_sel_hi:[1,0,1]
	v_pk_fma_f32 v[46:47], v[2:3], v[46:47], v[0:1] op_sel_hi:[1,0,1]
	s_andn2_b64 exec, exec, s[14:15]
	s_cbranch_execnz .LBB31_27
; %bb.28:
	s_or_b64 exec, exec, s[14:15]
.LBB31_29:
	s_or_b64 exec, exec, s[10:11]
.LBB31_30:
	s_or_b64 exec, exec, s[8:9]
	s_cbranch_execz .LBB31_32
	s_branch .LBB31_43
.LBB31_31:
                                        ; implicit-def: $vgpr49
                                        ; implicit-def: $vgpr47
                                        ; implicit-def: $vgpr51
                                        ; implicit-def: $vgpr45
.LBB31_32:
	v_mov_b32_e32 v49, 0
	v_mov_b32_e32 v48, 0
	;; [unrolled: 1-line block ×8, first 2 shown]
	s_and_saveexec_b64 s[2:3], s[0:1]
	s_cbranch_execz .LBB31_42
; %bb.33:
	v_or_b32_e32 v0, 8, v74
	v_mov_b32_e32 v1, s17
	v_subrev_co_u32_e32 v0, vcc, s16, v0
	v_subb_co_u32_e32 v1, vcc, 0, v1, vcc
	v_add_co_u32_e32 v0, vcc, v0, v34
	v_addc_co_u32_e32 v1, vcc, v1, v35, vcc
	v_cmp_gt_i64_e32 vcc, v[0:1], v[78:79]
	v_cndmask_b32_e32 v1, v79, v1, vcc
	v_cndmask_b32_e32 v0, v78, v0, vcc
	v_mov_b32_e32 v4, s17
	v_sub_co_u32_e32 v5, vcc, s16, v74
	v_not_b32_e32 v3, v34
	v_subbrev_co_u32_e32 v4, vcc, 0, v4, vcc
	v_not_b32_e32 v2, v35
	v_add_co_u32_e32 v3, vcc, v5, v3
	v_addc_co_u32_e32 v2, vcc, v4, v2, vcc
	v_add_co_u32_e32 v0, vcc, v3, v0
	v_addc_co_u32_e32 v1, vcc, v2, v1, vcc
	v_lshrrev_b32_e32 v2, 3, v0
	v_add_u32_e32 v2, 1, v2
	v_and_b32_e32 v2, 3, v2
	v_mov_b32_e32 v45, 0
	v_cmp_ne_u32_e32 vcc, 0, v2
	v_mov_b32_e32 v44, v45
	v_mov_b32_e32 v51, v45
	;; [unrolled: 1-line block ×7, first 2 shown]
	s_and_saveexec_b64 s[0:1], vcc
	s_cbranch_execz .LBB31_37
; %bb.34:
	v_lshlrev_b64 v[4:5], 2, v[76:77]
	v_mov_b32_e32 v3, 0
	v_mov_b32_e32 v6, s13
	v_add_co_u32_e32 v4, vcc, s12, v4
	v_addc_co_u32_e32 v5, vcc, v6, v5, vcc
	v_lshlrev_b32_e32 v2, 2, v2
	s_mov_b64 s[8:9], 0
	s_movk_i32 s10, 0x400
	v_mov_b32_e32 v6, s7
	v_mov_b32_e32 v44, v3
	;; [unrolled: 1-line block ×9, first 2 shown]
.LBB31_35:                              ; =>This Inner Loop Header: Depth=1
	global_load_dword v7, v[4:5], off
	global_load_dwordx4 v[8:11], v[80:81], off offset:48
	global_load_dwordx4 v[12:15], v[80:81], off offset:32
	;; [unrolled: 1-line block ×3, first 2 shown]
	global_load_dwordx4 v[20:23], v[80:81], off
	global_load_dwordx4 v[24:27], v[80:81], off offset:96
	global_load_dwordx4 v[28:31], v[80:81], off offset:80
	;; [unrolled: 1-line block ×3, first 2 shown]
	s_waitcnt vmcnt(7)
	v_subrev_u32_e32 v7, s16, v7
	v_lshlrev_b32_e32 v36, 2, v7
	v_ashrrev_i32_e32 v37, 31, v36
	v_lshlrev_b64 v[36:37], 3, v[36:37]
	v_add_co_u32_e32 v56, vcc, s6, v36
	v_addc_co_u32_e32 v57, vcc, v6, v37, vcc
	global_load_dwordx4 v[36:39], v[56:57], off offset:16
	global_load_dwordx4 v[40:43], v[56:57], off
	global_load_dwordx4 v[52:55], v[80:81], off offset:112
	v_add_co_u32_e32 v80, vcc, s10, v80
	v_addc_co_u32_e32 v81, vcc, 0, v81, vcc
	v_add_co_u32_e32 v76, vcc, 8, v76
	s_waitcnt vmcnt(6)
	v_xor_b32_e32 v56, 0x80000000, v23
	v_mov_b32_e32 v57, v22
	v_xor_b32_e32 v64, 0x80000000, v19
	v_mov_b32_e32 v65, v18
	v_addc_co_u32_e32 v77, vcc, 0, v77, vcc
	v_add_co_u32_e32 v4, vcc, 32, v4
	v_xor_b32_e32 v58, 0x80000000, v15
	v_mov_b32_e32 v59, v14
	v_xor_b32_e32 v66, 0x80000000, v11
	v_mov_b32_e32 v67, v10
	v_addc_co_u32_e32 v5, vcc, 0, v5, vcc
	v_add_co_u32_e32 v2, vcc, -4, v2
	s_waitcnt vmcnt(3)
	v_xor_b32_e32 v60, 0x80000000, v35
	v_mov_b32_e32 v61, v34
	v_xor_b32_e32 v82, 0x80000000, v31
	v_mov_b32_e32 v83, v30
	v_addc_co_u32_e32 v3, vcc, -1, v3, vcc
	v_cmp_eq_u64_e32 vcc, 0, v[2:3]
	v_xor_b32_e32 v62, 0x80000000, v27
	v_mov_b32_e32 v63, v26
	s_or_b64 s[8:9], vcc, s[8:9]
	s_waitcnt vmcnt(2)
	v_mov_b32_e32 v88, v39
	s_waitcnt vmcnt(1)
	v_pk_fma_f32 v[48:49], v[20:21], v[40:41], v[48:49] op_sel_hi:[1,0,1]
	v_pk_fma_f32 v[22:23], v[22:23], v[40:41], v[44:45] op_sel_hi:[1,0,1]
	;; [unrolled: 1-line block ×4, first 2 shown]
	v_pk_fma_f32 v[20:21], v[20:21], v[40:41], v[48:49] op_sel:[1,1,0] op_sel_hi:[0,1,1] neg_lo:[1,0,0]
	v_pk_fma_f32 v[22:23], v[56:57], v[40:41], v[22:23] op_sel:[0,1,0]
	v_pk_fma_f32 v[16:17], v[16:17], v[40:41], v[44:45] op_sel:[1,1,0] op_sel_hi:[0,1,1] neg_lo:[1,0,0]
	v_pk_fma_f32 v[18:19], v[64:65], v[40:41], v[18:19] op_sel:[0,1,0]
	v_mov_b32_e32 v86, v43
	v_pk_fma_f32 v[20:21], v[12:13], v[42:43], v[20:21] op_sel_hi:[1,0,1]
	v_pk_fma_f32 v[14:15], v[14:15], v[42:43], v[22:23] op_sel_hi:[1,0,1]
	;; [unrolled: 1-line block ×4, first 2 shown]
	v_pk_fma_f32 v[12:13], v[12:13], v[86:87], v[20:21] op_sel:[1,0,0] op_sel_hi:[0,0,1] neg_lo:[1,0,0]
	v_pk_fma_f32 v[14:15], v[58:59], v[86:87], v[14:15] op_sel_hi:[1,0,1]
	v_pk_fma_f32 v[8:9], v[8:9], v[86:87], v[16:17] op_sel:[1,0,0] op_sel_hi:[0,0,1] neg_lo:[1,0,0]
	v_pk_fma_f32 v[10:11], v[66:67], v[86:87], v[10:11] op_sel_hi:[1,0,1]
	v_pk_fma_f32 v[12:13], v[32:33], v[36:37], v[12:13] op_sel_hi:[1,0,1]
	;; [unrolled: 1-line block ×5, first 2 shown]
	v_pk_fma_f32 v[12:13], v[32:33], v[36:37], v[12:13] op_sel:[1,1,0] op_sel_hi:[0,1,1] neg_lo:[1,0,0]
	v_pk_fma_f32 v[14:15], v[60:61], v[36:37], v[14:15] op_sel:[0,1,0]
	v_pk_fma_f32 v[8:9], v[28:29], v[36:37], v[8:9] op_sel:[1,1,0] op_sel_hi:[0,1,1] neg_lo:[1,0,0]
	v_pk_fma_f32 v[10:11], v[82:83], v[36:37], v[10:11] op_sel:[0,1,0]
	s_waitcnt vmcnt(0)
	v_xor_b32_e32 v84, 0x80000000, v55
	v_mov_b32_e32 v85, v54
	v_pk_fma_f32 v[12:13], v[24:25], v[38:39], v[12:13] op_sel_hi:[1,0,1]
	v_pk_fma_f32 v[14:15], v[26:27], v[38:39], v[14:15] op_sel_hi:[1,0,1]
	;; [unrolled: 1-line block ×4, first 2 shown]
	v_pk_fma_f32 v[48:49], v[24:25], v[88:89], v[12:13] op_sel:[1,0,0] op_sel_hi:[0,0,1] neg_lo:[1,0,0]
	v_pk_fma_f32 v[44:45], v[62:63], v[88:89], v[14:15] op_sel_hi:[1,0,1]
	v_pk_fma_f32 v[50:51], v[52:53], v[88:89], v[8:9] op_sel:[1,0,0] op_sel_hi:[0,0,1] neg_lo:[1,0,0]
	v_pk_fma_f32 v[46:47], v[84:85], v[88:89], v[10:11] op_sel_hi:[1,0,1]
	s_andn2_b64 exec, exec, s[8:9]
	s_cbranch_execnz .LBB31_35
; %bb.36:
	s_or_b64 exec, exec, s[8:9]
.LBB31_37:
	s_or_b64 exec, exec, s[0:1]
	v_cmp_lt_u64_e32 vcc, 23, v[0:1]
	s_and_saveexec_b64 s[8:9], vcc
	s_cbranch_execz .LBB31_41
; %bb.38:
	v_lshlrev_b64 v[0:1], 2, v[76:77]
	v_mov_b32_e32 v2, s13
	v_add_co_u32_e32 v0, vcc, s12, v0
	v_addc_co_u32_e32 v1, vcc, v1, v2, vcc
	v_add_co_u32_e32 v82, vcc, 64, v0
	v_addc_co_u32_e32 v83, vcc, 0, v1, vcc
	s_mov_b64 s[10:11], 0
	v_mov_b32_e32 v73, s7
.LBB31_39:                              ; =>This Inner Loop Header: Depth=1
	global_load_dword v75, v[82:83], off offset:-64
	global_load_dwordx4 v[24:27], v[80:81], off
	global_load_dwordx4 v[16:19], v[80:81], off offset:16
	global_load_dwordx4 v[8:11], v[80:81], off offset:48
	;; [unrolled: 1-line block ×14, first 2 shown]
	global_load_dword v100, v[82:83], off offset:-32
	global_load_dword v101, v[82:83], off
	global_load_dword v102, v[82:83], off offset:32
	s_waitcnt vmcnt(18)
	v_subrev_u32_e32 v75, s16, v75
	v_lshlrev_b32_e32 v84, 2, v75
	v_ashrrev_i32_e32 v85, 31, v84
	v_lshlrev_b64 v[84:85], 3, v[84:85]
	v_add_co_u32_e32 v92, vcc, s6, v84
	v_addc_co_u32_e32 v93, vcc, v73, v85, vcc
	global_load_dwordx4 v[84:87], v[92:93], off
	global_load_dwordx4 v[88:91], v[92:93], off offset:16
	s_waitcnt vmcnt(19)
	v_xor_b32_e32 v96, 0x80000000, v27
	v_mov_b32_e32 v97, v26
	global_load_dwordx4 v[92:95], v[80:81], off offset:1088
	s_waitcnt vmcnt(3)
	v_subrev_u32_e32 v75, s16, v102
	s_waitcnt vmcnt(2)
	v_pk_fma_f32 v[48:49], v[24:25], v[84:85], v[48:49] op_sel_hi:[1,0,1]
	v_pk_fma_f32 v[26:27], v[26:27], v[84:85], v[44:45] op_sel_hi:[1,0,1]
	v_pk_fma_f32 v[44:45], v[24:25], v[84:85], v[48:49] op_sel:[1,1,0] op_sel_hi:[0,1,1] neg_lo:[1,0,0]
	v_xor_b32_e32 v24, 0x80000000, v19
	v_mov_b32_e32 v25, v18
	v_pk_fma_f32 v[48:49], v[16:17], v[84:85], v[50:51] op_sel_hi:[1,0,1]
	v_pk_fma_f32 v[46:47], v[18:19], v[84:85], v[46:47] op_sel_hi:[1,0,1]
	v_pk_fma_f32 v[48:49], v[16:17], v[84:85], v[48:49] op_sel:[1,1,0] op_sel_hi:[0,1,1] neg_lo:[1,0,0]
	v_pk_fma_f32 v[50:51], v[96:97], v[84:85], v[26:27] op_sel:[0,1,0]
	v_pk_fma_f32 v[46:47], v[24:25], v[84:85], v[46:47] op_sel:[0,1,0]
	v_pk_fma_f32 v[44:45], v[36:37], v[86:87], v[44:45] op_sel_hi:[1,0,1]
	v_pk_fma_f32 v[50:51], v[38:39], v[86:87], v[50:51] op_sel_hi:[1,0,1]
	;; [unrolled: 1-line block ×4, first 2 shown]
	v_mov_b32_e32 v86, v87
	v_xor_b32_e32 v96, 0x80000000, v39
	v_mov_b32_e32 v97, v38
	v_xor_b32_e32 v38, 0x80000000, v11
	v_mov_b32_e32 v39, v10
	v_pk_fma_f32 v[36:37], v[36:37], v[86:87], v[44:45] op_sel:[1,0,0] op_sel_hi:[0,0,1] neg_lo:[1,0,0]
	v_pk_fma_f32 v[98:99], v[8:9], v[86:87], v[48:49] op_sel:[1,0,0] op_sel_hi:[0,0,1] neg_lo:[1,0,0]
	v_pk_fma_f32 v[8:9], v[96:97], v[86:87], v[50:51] op_sel_hi:[1,0,1]
	global_load_dwordx4 v[48:51], v[80:81], off offset:2048
	v_pk_fma_f32 v[38:39], v[38:39], v[86:87], v[84:85] op_sel_hi:[1,0,1]
	v_xor_b32_e32 v84, 0x80000000, v67
	v_mov_b32_e32 v85, v66
	s_waitcnt vmcnt(2)
	v_pk_fma_f32 v[10:11], v[64:65], v[88:89], v[36:37] op_sel_hi:[1,0,1]
	v_pk_fma_f32 v[36:37], v[66:67], v[88:89], v[8:9] op_sel_hi:[1,0,1]
	v_xor_b32_e32 v66, 0x80000000, v15
	v_mov_b32_e32 v67, v14
	v_pk_fma_f32 v[86:87], v[12:13], v[88:89], v[98:99] op_sel_hi:[1,0,1]
	v_pk_fma_f32 v[38:39], v[14:15], v[88:89], v[38:39] op_sel_hi:[1,0,1]
	v_pk_fma_f32 v[64:65], v[64:65], v[88:89], v[10:11] op_sel:[1,1,0] op_sel_hi:[0,1,1] neg_lo:[1,0,0]
	v_pk_fma_f32 v[86:87], v[12:13], v[88:89], v[86:87] op_sel:[1,1,0] op_sel_hi:[0,1,1] neg_lo:[1,0,0]
	v_pk_fma_f32 v[84:85], v[84:85], v[88:89], v[36:37] op_sel:[0,1,0]
	v_pk_fma_f32 v[66:67], v[66:67], v[88:89], v[38:39] op_sel:[0,1,0]
	v_pk_fma_f32 v[64:65], v[60:61], v[90:91], v[64:65] op_sel_hi:[1,0,1]
	v_pk_fma_f32 v[84:85], v[62:63], v[90:91], v[84:85] op_sel_hi:[1,0,1]
	;; [unrolled: 1-line block ×4, first 2 shown]
	v_mov_b32_e32 v88, v91
	v_xor_b32_e32 v90, 0x80000000, v63
	v_mov_b32_e32 v63, v58
	v_subrev_u32_e32 v58, s16, v100
	v_pk_fma_f32 v[86:87], v[56:57], v[88:89], v[86:87] op_sel:[1,0,0] op_sel_hi:[0,0,1] neg_lo:[1,0,0]
	v_lshlrev_b32_e32 v56, 2, v58
	v_ashrrev_i32_e32 v57, 31, v56
	v_lshlrev_b64 v[56:57], 3, v[56:57]
	v_pk_fma_f32 v[60:61], v[60:61], v[88:89], v[64:65] op_sel:[1,0,0] op_sel_hi:[0,0,1] neg_lo:[1,0,0]
	v_add_co_u32_e32 v64, vcc, s6, v56
	v_addc_co_u32_e32 v65, vcc, v73, v57, vcc
	v_mov_b32_e32 v91, v62
	v_xor_b32_e32 v62, 0x80000000, v59
	global_load_dwordx4 v[56:59], v[64:65], off
	v_pk_fma_f32 v[84:85], v[90:91], v[88:89], v[84:85] op_sel_hi:[1,0,1]
	v_pk_fma_f32 v[88:89], v[62:63], v[88:89], v[66:67] op_sel_hi:[1,0,1]
	global_load_dwordx4 v[64:67], v[64:65], off offset:16
	v_xor_b32_e32 v96, 0x80000000, v43
	v_mov_b32_e32 v97, v42
	v_add_co_u32_e32 v82, vcc, 0x80, v82
	s_mov_b64 s[0:1], vcc
	v_add_co_u32_e32 v76, vcc, 32, v76
	v_addc_co_u32_e32 v77, vcc, 0, v77, vcc
	global_load_dwordx4 v[16:19], v[80:81], off offset:2096
	global_load_dwordx4 v[24:27], v[80:81], off offset:2080
	;; [unrolled: 1-line block ×6, first 2 shown]
	v_addc_co_u32_e64 v83, s[0:1], 0, v83, s[0:1]
	v_cmp_ge_i64_e64 s[0:1], v[76:77], v[78:79]
	s_or_b64 s[10:11], s[0:1], s[10:11]
	s_waitcnt vmcnt(8)
	v_xor_b32_e32 v98, 0x80000000, v51
	v_mov_b32_e32 v99, v50
	s_waitcnt vmcnt(7)
	v_pk_fma_f32 v[60:61], v[40:41], v[56:57], v[60:61] op_sel_hi:[1,0,1]
	v_pk_fma_f32 v[42:43], v[42:43], v[56:57], v[84:85] op_sel_hi:[1,0,1]
	v_pk_fma_f32 v[84:85], v[40:41], v[56:57], v[60:61] op_sel:[1,1,0] op_sel_hi:[0,1,1] neg_lo:[1,0,0]
	v_xor_b32_e32 v40, 0x80000000, v35
	v_mov_b32_e32 v41, v34
	v_pk_fma_f32 v[86:87], v[32:33], v[56:57], v[86:87] op_sel_hi:[1,0,1]
	v_pk_fma_f32 v[88:89], v[34:35], v[56:57], v[88:89] op_sel_hi:[1,0,1]
	v_pk_fma_f32 v[86:87], v[32:33], v[56:57], v[86:87] op_sel:[1,1,0] op_sel_hi:[0,1,1] neg_lo:[1,0,0]
	v_pk_fma_f32 v[90:91], v[96:97], v[56:57], v[42:43] op_sel:[0,1,0]
	v_pk_fma_f32 v[56:57], v[40:41], v[56:57], v[88:89] op_sel:[0,1,0]
	v_pk_fma_f32 v[84:85], v[28:29], v[58:59], v[84:85] op_sel_hi:[1,0,1]
	v_pk_fma_f32 v[88:89], v[30:31], v[58:59], v[90:91] op_sel_hi:[1,0,1]
	;; [unrolled: 1-line block ×4, first 2 shown]
	v_mov_b32_e32 v96, v59
	v_xor_b32_e32 v56, 0x80000000, v31
	v_mov_b32_e32 v57, v30
	v_pk_fma_f32 v[28:29], v[28:29], v[96:97], v[84:85] op_sel:[1,0,0] op_sel_hi:[0,0,1] neg_lo:[1,0,0]
	v_xor_b32_e32 v30, 0x80000000, v23
	v_mov_b32_e32 v31, v22
	v_pk_fma_f32 v[84:85], v[20:21], v[96:97], v[86:87] op_sel:[1,0,0] op_sel_hi:[0,0,1] neg_lo:[1,0,0]
	v_pk_fma_f32 v[86:87], v[56:57], v[96:97], v[88:89] op_sel_hi:[1,0,1]
	v_pk_fma_f32 v[88:89], v[30:31], v[96:97], v[90:91] op_sel_hi:[1,0,1]
	v_xor_b32_e32 v90, 0x80000000, v95
	v_mov_b32_e32 v91, v94
	s_waitcnt vmcnt(6)
	v_pk_fma_f32 v[86:87], v[94:95], v[64:65], v[86:87] op_sel_hi:[1,0,1]
	v_pk_fma_f32 v[28:29], v[92:93], v[64:65], v[28:29] op_sel_hi:[1,0,1]
	v_xor_b32_e32 v94, 0x80000000, v55
	v_mov_b32_e32 v95, v54
	v_pk_fma_f32 v[84:85], v[52:53], v[64:65], v[84:85] op_sel_hi:[1,0,1]
	v_pk_fma_f32 v[88:89], v[54:55], v[64:65], v[88:89] op_sel_hi:[1,0,1]
	v_pk_fma_f32 v[90:91], v[90:91], v[64:65], v[86:87] op_sel:[0,1,0]
	v_pk_fma_f32 v[92:93], v[92:93], v[64:65], v[28:29] op_sel:[1,1,0] op_sel_hi:[0,1,1] neg_lo:[1,0,0]
	v_pk_fma_f32 v[96:97], v[52:53], v[64:65], v[84:85] op_sel:[1,1,0] op_sel_hi:[0,1,1] neg_lo:[1,0,0]
	v_pk_fma_f32 v[64:65], v[94:95], v[64:65], v[88:89] op_sel:[0,1,0]
	v_pk_fma_f32 v[90:91], v[6:7], v[66:67], v[90:91] op_sel_hi:[1,0,1]
	v_mov_b32_e32 v95, v6
	v_subrev_u32_e32 v6, s16, v101
	v_pk_fma_f32 v[88:89], v[4:5], v[66:67], v[92:93] op_sel_hi:[1,0,1]
	v_pk_fma_f32 v[92:93], v[0:1], v[66:67], v[96:97] op_sel_hi:[1,0,1]
	;; [unrolled: 1-line block ×3, first 2 shown]
	v_mov_b32_e32 v66, v67
	v_lshlrev_b32_e32 v6, 2, v6
	global_load_dwordx4 v[60:63], v[80:81], off offset:2112
	global_load_dwordx4 v[32:35], v[80:81], off offset:3120
	;; [unrolled: 1-line block ×8, first 2 shown]
	v_xor_b32_e32 v94, 0x80000000, v7
	v_pk_fma_f32 v[88:89], v[4:5], v[66:67], v[88:89] op_sel:[1,0,0] op_sel_hi:[0,0,1] neg_lo:[1,0,0]
	v_xor_b32_e32 v4, 0x80000000, v3
	v_mov_b32_e32 v5, v2
	v_pk_fma_f32 v[92:93], v[0:1], v[66:67], v[92:93] op_sel:[1,0,0] op_sel_hi:[0,0,1] neg_lo:[1,0,0]
	global_load_dwordx4 v[0:3], v[80:81], off offset:3136
	v_add_co_u32_e32 v80, vcc, 0x1000, v80
	v_ashrrev_i32_e32 v7, 31, v6
	v_addc_co_u32_e32 v81, vcc, 0, v81, vcc
	v_lshlrev_b64 v[6:7], 3, v[6:7]
	v_add_co_u32_e32 v96, vcc, s6, v6
	v_addc_co_u32_e32 v97, vcc, v73, v7, vcc
	v_pk_fma_f32 v[90:91], v[94:95], v[66:67], v[90:91] op_sel_hi:[1,0,1]
	v_pk_fma_f32 v[94:95], v[4:5], v[66:67], v[64:65] op_sel_hi:[1,0,1]
	global_load_dwordx4 v[4:7], v[96:97], off
	global_load_dwordx4 v[64:67], v[96:97], off offset:16
	s_waitcnt vmcnt(1)
	v_pk_fma_f32 v[92:93], v[44:45], v[4:5], v[92:93] op_sel_hi:[1,0,1]
	v_pk_fma_f32 v[92:93], v[44:45], v[4:5], v[92:93] op_sel:[1,1,0] op_sel_hi:[0,1,1] neg_lo:[1,0,0]
	v_lshlrev_b32_e32 v44, 2, v75
	v_ashrrev_i32_e32 v45, 31, v44
	v_lshlrev_b64 v[44:45], 3, v[44:45]
	v_add_co_u32_e32 v96, vcc, s6, v44
	v_pk_fma_f32 v[88:89], v[48:49], v[4:5], v[88:89] op_sel_hi:[1,0,1]
	v_addc_co_u32_e32 v97, vcc, v73, v45, vcc
	v_pk_fma_f32 v[88:89], v[48:49], v[4:5], v[88:89] op_sel:[1,1,0] op_sel_hi:[0,1,1] neg_lo:[1,0,0]
	v_xor_b32_e32 v48, 0x80000000, v47
	v_mov_b32_e32 v49, v46
	v_pk_fma_f32 v[94:95], v[46:47], v[4:5], v[94:95] op_sel_hi:[1,0,1]
	global_load_dwordx4 v[44:47], v[96:97], off
	v_pk_fma_f32 v[50:51], v[50:51], v[4:5], v[90:91] op_sel_hi:[1,0,1]
	v_pk_fma_f32 v[98:99], v[98:99], v[4:5], v[50:51] op_sel:[0,1,0]
	v_pk_fma_f32 v[4:5], v[48:49], v[4:5], v[94:95] op_sel:[0,1,0]
	global_load_dwordx4 v[48:51], v[96:97], off offset:16
	v_xor_b32_e32 v90, 0x80000000, v27
	v_mov_b32_e32 v91, v26
	v_pk_fma_f32 v[88:89], v[24:25], v[6:7], v[88:89] op_sel_hi:[1,0,1]
	v_pk_fma_f32 v[26:27], v[26:27], v[6:7], v[98:99] op_sel_hi:[1,0,1]
	;; [unrolled: 1-line block ×4, first 2 shown]
	v_mov_b32_e32 v6, v7
	v_xor_b32_e32 v94, 0x80000000, v19
	v_mov_b32_e32 v95, v18
	v_pk_fma_f32 v[18:19], v[24:25], v[6:7], v[88:89] op_sel:[1,0,0] op_sel_hi:[0,0,1] neg_lo:[1,0,0]
	v_pk_fma_f32 v[16:17], v[16:17], v[6:7], v[92:93] op_sel:[1,0,0] op_sel_hi:[0,0,1] neg_lo:[1,0,0]
	v_pk_fma_f32 v[26:27], v[90:91], v[6:7], v[26:27] op_sel_hi:[1,0,1]
	v_pk_fma_f32 v[4:5], v[94:95], v[6:7], v[4:5] op_sel_hi:[1,0,1]
	v_xor_b32_e32 v24, 0x80000000, v63
	v_xor_b32_e32 v88, 0x80000000, v39
	v_mov_b32_e32 v25, v62
	v_mov_b32_e32 v89, v38
	s_waitcnt vmcnt(2)
	v_pk_fma_f32 v[18:19], v[60:61], v[64:65], v[18:19] op_sel_hi:[1,0,1]
	v_pk_fma_f32 v[26:27], v[62:63], v[64:65], v[26:27] op_sel_hi:[1,0,1]
	;; [unrolled: 1-line block ×4, first 2 shown]
	v_pk_fma_f32 v[18:19], v[60:61], v[64:65], v[18:19] op_sel:[1,1,0] op_sel_hi:[0,1,1] neg_lo:[1,0,0]
	v_pk_fma_f32 v[16:17], v[36:37], v[64:65], v[16:17] op_sel:[1,1,0] op_sel_hi:[0,1,1] neg_lo:[1,0,0]
	v_pk_fma_f32 v[24:25], v[24:25], v[64:65], v[26:27] op_sel:[0,1,0]
	v_pk_fma_f32 v[4:5], v[88:89], v[64:65], v[4:5] op_sel:[0,1,0]
	v_xor_b32_e32 v92, 0x80000000, v15
	v_mov_b32_e32 v93, v14
	v_xor_b32_e32 v60, 0x80000000, v11
	v_mov_b32_e32 v61, v10
	v_mov_b32_e32 v64, v67
	v_pk_fma_f32 v[18:19], v[12:13], v[66:67], v[18:19] op_sel_hi:[1,0,1]
	v_pk_fma_f32 v[14:15], v[14:15], v[66:67], v[24:25] op_sel_hi:[1,0,1]
	;; [unrolled: 1-line block ×4, first 2 shown]
	v_pk_fma_f32 v[12:13], v[12:13], v[64:65], v[18:19] op_sel:[1,0,0] op_sel_hi:[0,0,1] neg_lo:[1,0,0]
	v_pk_fma_f32 v[14:15], v[92:93], v[64:65], v[14:15] op_sel_hi:[1,0,1]
	v_pk_fma_f32 v[8:9], v[8:9], v[64:65], v[16:17] op_sel:[1,0,0] op_sel_hi:[0,0,1] neg_lo:[1,0,0]
	v_pk_fma_f32 v[4:5], v[60:61], v[64:65], v[4:5] op_sel_hi:[1,0,1]
	v_xor_b32_e32 v96, 0x80000000, v59
	v_mov_b32_e32 v97, v58
	v_xor_b32_e32 v62, 0x80000000, v23
	v_mov_b32_e32 v63, v22
	v_xor_b32_e32 v90, 0x80000000, v43
	v_mov_b32_e32 v91, v42
	v_xor_b32_e32 v36, 0x80000000, v35
	v_mov_b32_e32 v37, v34
	v_xor_b32_e32 v6, 0x80000000, v3
	v_mov_b32_e32 v7, v2
	v_xor_b32_e32 v38, 0x80000000, v87
	v_mov_b32_e32 v39, v86
	v_xor_b32_e32 v94, 0x80000000, v55
	v_mov_b32_e32 v95, v54
	v_xor_b32_e32 v26, 0x80000000, v31
	v_mov_b32_e32 v27, v30
	s_waitcnt vmcnt(1)
	v_pk_fma_f32 v[12:13], v[56:57], v[44:45], v[12:13] op_sel_hi:[1,0,1]
	v_pk_fma_f32 v[14:15], v[58:59], v[44:45], v[14:15] op_sel_hi:[1,0,1]
	;; [unrolled: 1-line block ×4, first 2 shown]
	v_pk_fma_f32 v[12:13], v[56:57], v[44:45], v[12:13] op_sel:[1,1,0] op_sel_hi:[0,1,1] neg_lo:[1,0,0]
	v_pk_fma_f32 v[14:15], v[96:97], v[44:45], v[14:15] op_sel:[0,1,0]
	v_pk_fma_f32 v[8:9], v[20:21], v[44:45], v[8:9] op_sel:[1,1,0] op_sel_hi:[0,1,1] neg_lo:[1,0,0]
	v_pk_fma_f32 v[4:5], v[62:63], v[44:45], v[4:5] op_sel:[0,1,0]
	v_mov_b32_e32 v10, v47
	v_pk_fma_f32 v[12:13], v[40:41], v[46:47], v[12:13] op_sel_hi:[1,0,1]
	v_pk_fma_f32 v[14:15], v[42:43], v[46:47], v[14:15] op_sel_hi:[1,0,1]
	;; [unrolled: 1-line block ×4, first 2 shown]
	v_pk_fma_f32 v[12:13], v[40:41], v[10:11], v[12:13] op_sel:[1,0,0] op_sel_hi:[0,0,1] neg_lo:[1,0,0]
	v_pk_fma_f32 v[14:15], v[90:91], v[10:11], v[14:15] op_sel_hi:[1,0,1]
	v_pk_fma_f32 v[8:9], v[32:33], v[10:11], v[8:9] op_sel:[1,0,0] op_sel_hi:[0,0,1] neg_lo:[1,0,0]
	v_pk_fma_f32 v[4:5], v[36:37], v[10:11], v[4:5] op_sel_hi:[1,0,1]
	s_waitcnt vmcnt(0)
	v_pk_fma_f32 v[10:11], v[0:1], v[48:49], v[12:13] op_sel_hi:[1,0,1]
	v_pk_fma_f32 v[2:3], v[2:3], v[48:49], v[14:15] op_sel_hi:[1,0,1]
	;; [unrolled: 1-line block ×4, first 2 shown]
	v_pk_fma_f32 v[0:1], v[0:1], v[48:49], v[10:11] op_sel:[1,1,0] op_sel_hi:[0,1,1] neg_lo:[1,0,0]
	v_pk_fma_f32 v[2:3], v[6:7], v[48:49], v[2:3] op_sel:[0,1,0]
	v_pk_fma_f32 v[6:7], v[84:85], v[48:49], v[8:9] op_sel:[1,1,0] op_sel_hi:[0,1,1] neg_lo:[1,0,0]
	v_pk_fma_f32 v[4:5], v[38:39], v[48:49], v[4:5] op_sel:[0,1,0]
	v_mov_b32_e32 v24, v51
	v_pk_fma_f32 v[0:1], v[52:53], v[50:51], v[0:1] op_sel_hi:[1,0,1]
	v_pk_fma_f32 v[2:3], v[54:55], v[50:51], v[2:3] op_sel_hi:[1,0,1]
	;; [unrolled: 1-line block ×4, first 2 shown]
	v_pk_fma_f32 v[48:49], v[52:53], v[24:25], v[0:1] op_sel:[1,0,0] op_sel_hi:[0,0,1] neg_lo:[1,0,0]
	v_pk_fma_f32 v[44:45], v[94:95], v[24:25], v[2:3] op_sel_hi:[1,0,1]
	v_pk_fma_f32 v[50:51], v[28:29], v[24:25], v[6:7] op_sel:[1,0,0] op_sel_hi:[0,0,1] neg_lo:[1,0,0]
	v_pk_fma_f32 v[46:47], v[26:27], v[24:25], v[4:5] op_sel_hi:[1,0,1]
	s_andn2_b64 exec, exec, s[10:11]
	s_cbranch_execnz .LBB31_39
; %bb.40:
	s_or_b64 exec, exec, s[10:11]
.LBB31_41:
	s_or_b64 exec, exec, s[8:9]
.LBB31_42:
	s_or_b64 exec, exec, s[2:3]
.LBB31_43:
	v_mov_b32_dpp v6, v45 row_shr:1 row_mask:0xf bank_mask:0xf
	v_add_f32_e32 v6, v45, v6
	v_mov_b32_dpp v0, v48 row_shr:1 row_mask:0xf bank_mask:0xf
	v_mov_b32_dpp v2, v49 row_shr:1 row_mask:0xf bank_mask:0xf
	;; [unrolled: 1-line block ×3, first 2 shown]
	v_add_f32_e32 v7, v6, v7
	v_mov_b32_dpp v6, v50 row_shr:1 row_mask:0xf bank_mask:0xf
	v_add_f32_e32 v6, v50, v6
	v_mov_b32_dpp v4, v44 row_shr:1 row_mask:0xf bank_mask:0xf
	;; [unrolled: 2-line block ×4, first 2 shown]
	v_add_f32_e32 v6, v51, v6
	v_add_f32_e32 v2, v49, v2
	v_add_f32_e32 v4, v44, v4
	v_mov_b32_dpp v8, v6 row_shr:2 row_mask:0xf bank_mask:0xf
	v_add_f32_e32 v13, v6, v8
	v_mov_b32_dpp v6, v46 row_shr:1 row_mask:0xf bank_mask:0xf
	v_add_f32_e32 v6, v46, v6
	v_mov_b32_dpp v1, v0 row_shr:2 row_mask:0xf bank_mask:0xf
	v_mov_b32_dpp v3, v2 row_shr:2 row_mask:0xf bank_mask:0xf
	;; [unrolled: 1-line block ×3, first 2 shown]
	v_add_f32_e32 v16, v6, v8
	v_mov_b32_dpp v6, v47 row_shr:1 row_mask:0xf bank_mask:0xf
	v_add_f32_e32 v6, v47, v6
	v_mov_b32_dpp v5, v4 row_shr:2 row_mask:0xf bank_mask:0xf
	v_add_f32_e32 v0, v0, v1
	v_mov_b32_dpp v8, v6 row_shr:2 row_mask:0xf bank_mask:0xf
	v_add_f32_e32 v2, v2, v3
	v_add_f32_e32 v4, v4, v5
	;; [unrolled: 1-line block ×3, first 2 shown]
	v_mov_b32_dpp v1, v0 row_shr:4 row_mask:0xf bank_mask:0xe
	v_mov_b32_dpp v3, v2 row_shr:4 row_mask:0xf bank_mask:0xe
	;; [unrolled: 1-line block ×8, first 2 shown]
	v_cmp_eq_u32_e32 vcc, 7, v74
	s_and_b64 exec, exec, vcc
	s_cbranch_execz .LBB31_14
; %bb.44:
	s_load_dwordx2 s[2:3], s[4:5], 0x50
	v_add_f32_e32 v8, v0, v1
	v_and_b32_e32 v1, 0x7fffffff, v70
	v_cmp_eq_u32_e32 vcc, 0, v1
	v_cmp_eq_f32_e64 s[0:1], 0, v71
	v_add_f32_e32 v14, v2, v3
	v_add_f32_e32 v6, v4, v5
	;; [unrolled: 1-line block ×7, first 2 shown]
	s_and_b64 s[0:1], vcc, s[0:1]
	v_lshlrev_b32_e32 v16, 2, v72
	s_and_saveexec_b64 s[4:5], s[0:1]
	s_xor_b64 s[0:1], exec, s[4:5]
	s_cbranch_execz .LBB31_46
; %bb.45:
	v_xor_b32_e32 v18, 0x80000000, v69
	v_ashrrev_i32_e32 v17, 31, v16
	v_mov_b32_e32 v19, v68
	v_lshlrev_b64 v[16:17], 3, v[16:17]
	v_pk_mul_f32 v[14:15], v[14:15], v[18:19] op_sel_hi:[0,1]
	s_waitcnt lgkmcnt(0)
	v_mov_b32_e32 v1, s3
	v_add_co_u32_e32 v20, vcc, s2, v16
	v_pk_fma_f32 v[14:15], v[68:69], v[8:9], v[14:15] op_sel_hi:[1,0,1]
	v_pk_mul_f32 v[8:9], v[12:13], v[18:19] op_sel_hi:[0,1]
	v_addc_co_u32_e32 v21, vcc, v1, v17, vcc
	v_pk_fma_f32 v[16:17], v[68:69], v[6:7], v[8:9] op_sel_hi:[1,0,1]
	v_pk_mul_f32 v[6:7], v[10:11], v[18:19] op_sel_hi:[0,1]
	v_pk_mul_f32 v[4:5], v[4:5], v[18:19] op_sel_hi:[0,1]
	v_pk_fma_f32 v[2:3], v[68:69], v[2:3], v[6:7] op_sel_hi:[1,0,1]
	v_pk_fma_f32 v[4:5], v[68:69], v[0:1], v[4:5] op_sel_hi:[1,0,1]
	global_store_dwordx4 v[20:21], v[14:17], off
	global_store_dwordx4 v[20:21], v[2:5], off offset:16
                                        ; implicit-def: $vgpr69
                                        ; implicit-def: $vgpr70
                                        ; implicit-def: $vgpr8
                                        ; implicit-def: $vgpr14
                                        ; implicit-def: $vgpr6
                                        ; implicit-def: $vgpr12
                                        ; implicit-def: $vgpr2
                                        ; implicit-def: $vgpr10
                                        ; implicit-def: $vgpr0
                                        ; implicit-def: $vgpr4
                                        ; implicit-def: $vgpr16
.LBB31_46:
	s_andn2_saveexec_b64 s[0:1], s[0:1]
	s_cbranch_execz .LBB31_14
; %bb.47:
	v_ashrrev_i32_e32 v17, 31, v16
	v_lshlrev_b64 v[16:17], 3, v[16:17]
	s_waitcnt lgkmcnt(0)
	v_mov_b32_e32 v1, s3
	v_add_co_u32_e32 v24, vcc, s2, v16
	v_addc_co_u32_e32 v25, vcc, v1, v17, vcc
	global_load_dwordx4 v[16:19], v[24:25], off
	global_load_dwordx4 v[20:23], v[24:25], off offset:16
	v_xor_b32_e32 v26, 0x80000000, v69
	v_mov_b32_e32 v27, v68
	v_pk_mul_f32 v[14:15], v[14:15], v[26:27] op_sel_hi:[0,1]
	v_pk_mul_f32 v[12:13], v[12:13], v[26:27] op_sel_hi:[0,1]
	;; [unrolled: 1-line block ×4, first 2 shown]
	v_pk_fma_f32 v[8:9], v[68:69], v[8:9], v[14:15] op_sel_hi:[1,0,1]
	v_pk_fma_f32 v[6:7], v[68:69], v[6:7], v[12:13] op_sel_hi:[1,0,1]
	v_xor_b32_e32 v28, 0x80000000, v71
	v_mov_b32_e32 v29, v70
	v_pk_fma_f32 v[2:3], v[68:69], v[2:3], v[10:11] op_sel_hi:[1,0,1]
	v_pk_fma_f32 v[0:1], v[68:69], v[0:1], v[4:5] op_sel_hi:[1,0,1]
	s_waitcnt vmcnt(1)
	v_pk_fma_f32 v[4:5], v[70:71], v[16:17], v[8:9] op_sel_hi:[1,0,1]
	v_pk_fma_f32 v[6:7], v[70:71], v[18:19], v[6:7] op_sel_hi:[1,0,1]
	v_mov_b32_e32 v8, v19
	s_waitcnt vmcnt(0)
	v_pk_fma_f32 v[10:11], v[70:71], v[20:21], v[2:3] op_sel_hi:[1,0,1]
	v_pk_fma_f32 v[12:13], v[70:71], v[22:23], v[0:1] op_sel_hi:[1,0,1]
	v_mov_b32_e32 v14, v23
	v_pk_fma_f32 v[0:1], v[28:29], v[16:17], v[4:5] op_sel:[0,1,0]
	v_pk_fma_f32 v[2:3], v[28:29], v[8:9], v[6:7] op_sel_hi:[1,0,1]
	v_pk_fma_f32 v[4:5], v[28:29], v[20:21], v[10:11] op_sel:[0,1,0]
	v_pk_fma_f32 v[6:7], v[28:29], v[14:15], v[12:13] op_sel_hi:[1,0,1]
	global_store_dwordx4 v[24:25], v[0:3], off
	global_store_dwordx4 v[24:25], v[4:7], off offset:16
	s_endpgm
	.section	.rodata,"a",@progbits
	.p2align	6, 0x0
	.amdhsa_kernel _ZN9rocsparseL18bsrxmvn_4x4_kernelILj128ELj8E21rocsparse_complex_numIfEliS2_S2_S2_EEvT3_20rocsparse_direction_NS_24const_host_device_scalarIT1_EES3_PKS3_PKT2_SC_S9_PKT4_PKT5_S7_PT6_21rocsparse_index_base_b
		.amdhsa_group_segment_fixed_size 0
		.amdhsa_private_segment_fixed_size 0
		.amdhsa_kernarg_size 96
		.amdhsa_user_sgpr_count 6
		.amdhsa_user_sgpr_private_segment_buffer 1
		.amdhsa_user_sgpr_dispatch_ptr 0
		.amdhsa_user_sgpr_queue_ptr 0
		.amdhsa_user_sgpr_kernarg_segment_ptr 1
		.amdhsa_user_sgpr_dispatch_id 0
		.amdhsa_user_sgpr_flat_scratch_init 0
		.amdhsa_user_sgpr_kernarg_preload_length 0
		.amdhsa_user_sgpr_kernarg_preload_offset 0
		.amdhsa_user_sgpr_private_segment_size 0
		.amdhsa_uses_dynamic_stack 0
		.amdhsa_system_sgpr_private_segment_wavefront_offset 0
		.amdhsa_system_sgpr_workgroup_id_x 1
		.amdhsa_system_sgpr_workgroup_id_y 0
		.amdhsa_system_sgpr_workgroup_id_z 0
		.amdhsa_system_sgpr_workgroup_info 0
		.amdhsa_system_vgpr_workitem_id 0
		.amdhsa_next_free_vgpr 103
		.amdhsa_next_free_sgpr 18
		.amdhsa_accum_offset 104
		.amdhsa_reserve_vcc 1
		.amdhsa_reserve_flat_scratch 0
		.amdhsa_float_round_mode_32 0
		.amdhsa_float_round_mode_16_64 0
		.amdhsa_float_denorm_mode_32 3
		.amdhsa_float_denorm_mode_16_64 3
		.amdhsa_dx10_clamp 1
		.amdhsa_ieee_mode 1
		.amdhsa_fp16_overflow 0
		.amdhsa_tg_split 0
		.amdhsa_exception_fp_ieee_invalid_op 0
		.amdhsa_exception_fp_denorm_src 0
		.amdhsa_exception_fp_ieee_div_zero 0
		.amdhsa_exception_fp_ieee_overflow 0
		.amdhsa_exception_fp_ieee_underflow 0
		.amdhsa_exception_fp_ieee_inexact 0
		.amdhsa_exception_int_div_zero 0
	.end_amdhsa_kernel
	.section	.text._ZN9rocsparseL18bsrxmvn_4x4_kernelILj128ELj8E21rocsparse_complex_numIfEliS2_S2_S2_EEvT3_20rocsparse_direction_NS_24const_host_device_scalarIT1_EES3_PKS3_PKT2_SC_S9_PKT4_PKT5_S7_PT6_21rocsparse_index_base_b,"axG",@progbits,_ZN9rocsparseL18bsrxmvn_4x4_kernelILj128ELj8E21rocsparse_complex_numIfEliS2_S2_S2_EEvT3_20rocsparse_direction_NS_24const_host_device_scalarIT1_EES3_PKS3_PKT2_SC_S9_PKT4_PKT5_S7_PT6_21rocsparse_index_base_b,comdat
.Lfunc_end31:
	.size	_ZN9rocsparseL18bsrxmvn_4x4_kernelILj128ELj8E21rocsparse_complex_numIfEliS2_S2_S2_EEvT3_20rocsparse_direction_NS_24const_host_device_scalarIT1_EES3_PKS3_PKT2_SC_S9_PKT4_PKT5_S7_PT6_21rocsparse_index_base_b, .Lfunc_end31-_ZN9rocsparseL18bsrxmvn_4x4_kernelILj128ELj8E21rocsparse_complex_numIfEliS2_S2_S2_EEvT3_20rocsparse_direction_NS_24const_host_device_scalarIT1_EES3_PKS3_PKT2_SC_S9_PKT4_PKT5_S7_PT6_21rocsparse_index_base_b
                                        ; -- End function
	.section	.AMDGPU.csdata,"",@progbits
; Kernel info:
; codeLenInByte = 7116
; NumSgprs: 22
; NumVgprs: 103
; NumAgprs: 0
; TotalNumVgprs: 103
; ScratchSize: 0
; MemoryBound: 0
; FloatMode: 240
; IeeeMode: 1
; LDSByteSize: 0 bytes/workgroup (compile time only)
; SGPRBlocks: 2
; VGPRBlocks: 12
; NumSGPRsForWavesPerEU: 22
; NumVGPRsForWavesPerEU: 103
; AccumOffset: 104
; Occupancy: 4
; WaveLimiterHint : 1
; COMPUTE_PGM_RSRC2:SCRATCH_EN: 0
; COMPUTE_PGM_RSRC2:USER_SGPR: 6
; COMPUTE_PGM_RSRC2:TRAP_HANDLER: 0
; COMPUTE_PGM_RSRC2:TGID_X_EN: 1
; COMPUTE_PGM_RSRC2:TGID_Y_EN: 0
; COMPUTE_PGM_RSRC2:TGID_Z_EN: 0
; COMPUTE_PGM_RSRC2:TIDIG_COMP_CNT: 0
; COMPUTE_PGM_RSRC3_GFX90A:ACCUM_OFFSET: 25
; COMPUTE_PGM_RSRC3_GFX90A:TG_SPLIT: 0
	.section	.text._ZN9rocsparseL18bsrxmvn_4x4_kernelILj128ELj16E21rocsparse_complex_numIfEliS2_S2_S2_EEvT3_20rocsparse_direction_NS_24const_host_device_scalarIT1_EES3_PKS3_PKT2_SC_S9_PKT4_PKT5_S7_PT6_21rocsparse_index_base_b,"axG",@progbits,_ZN9rocsparseL18bsrxmvn_4x4_kernelILj128ELj16E21rocsparse_complex_numIfEliS2_S2_S2_EEvT3_20rocsparse_direction_NS_24const_host_device_scalarIT1_EES3_PKS3_PKT2_SC_S9_PKT4_PKT5_S7_PT6_21rocsparse_index_base_b,comdat
	.globl	_ZN9rocsparseL18bsrxmvn_4x4_kernelILj128ELj16E21rocsparse_complex_numIfEliS2_S2_S2_EEvT3_20rocsparse_direction_NS_24const_host_device_scalarIT1_EES3_PKS3_PKT2_SC_S9_PKT4_PKT5_S7_PT6_21rocsparse_index_base_b ; -- Begin function _ZN9rocsparseL18bsrxmvn_4x4_kernelILj128ELj16E21rocsparse_complex_numIfEliS2_S2_S2_EEvT3_20rocsparse_direction_NS_24const_host_device_scalarIT1_EES3_PKS3_PKT2_SC_S9_PKT4_PKT5_S7_PT6_21rocsparse_index_base_b
	.p2align	8
	.type	_ZN9rocsparseL18bsrxmvn_4x4_kernelILj128ELj16E21rocsparse_complex_numIfEliS2_S2_S2_EEvT3_20rocsparse_direction_NS_24const_host_device_scalarIT1_EES3_PKS3_PKT2_SC_S9_PKT4_PKT5_S7_PT6_21rocsparse_index_base_b,@function
_ZN9rocsparseL18bsrxmvn_4x4_kernelILj128ELj16E21rocsparse_complex_numIfEliS2_S2_S2_EEvT3_20rocsparse_direction_NS_24const_host_device_scalarIT1_EES3_PKS3_PKT2_SC_S9_PKT4_PKT5_S7_PT6_21rocsparse_index_base_b: ; @_ZN9rocsparseL18bsrxmvn_4x4_kernelILj128ELj16E21rocsparse_complex_numIfEliS2_S2_S2_EEvT3_20rocsparse_direction_NS_24const_host_device_scalarIT1_EES3_PKS3_PKT2_SC_S9_PKT4_PKT5_S7_PT6_21rocsparse_index_base_b
; %bb.0:
	s_load_dwordx2 s[16:17], s[4:5], 0x58
	s_load_dwordx2 s[8:9], s[4:5], 0x8
	;; [unrolled: 1-line block ×3, first 2 shown]
	s_waitcnt lgkmcnt(0)
	s_bitcmp1_b32 s17, 0
	s_cselect_b64 s[0:1], -1, 0
	s_xor_b64 s[10:11], s[0:1], -1
	s_and_b64 vcc, exec, s[0:1]
	v_mov_b32_e32 v64, s8
	s_cbranch_vccnz .LBB32_2
; %bb.1:
	v_pk_mov_b32 v[2:3], s[8:9], s[8:9] op_sel:[0,1]
	flat_load_dword v64, v[2:3]
.LBB32_2:
	v_cndmask_b32_e64 v1, 0, 1, s[10:11]
	v_cmp_ne_u32_e64 s[0:1], 1, v1
	s_andn2_b64 vcc, exec, s[10:11]
	v_mov_b32_e32 v65, s9
	s_cbranch_vccz .LBB32_15
; %bb.3:
	s_and_b64 vcc, exec, s[0:1]
	v_mov_b32_e32 v66, s2
	s_cbranch_vccz .LBB32_16
.LBB32_4:
	s_and_b64 vcc, exec, s[0:1]
	v_mov_b32_e32 v67, s3
	s_cbranch_vccnz .LBB32_6
.LBB32_5:
	v_pk_mov_b32 v[2:3], s[2:3], s[2:3] op_sel:[0,1]
	flat_load_dword v67, v[2:3] offset:4
.LBB32_6:
	s_waitcnt vmcnt(0) lgkmcnt(0)
	v_and_b32_e32 v1, 0x7fffffff, v64
	v_cmp_eq_u32_e32 vcc, 0, v1
	v_cmp_eq_f32_e64 s[0:1], 0, v65
	s_and_b64 s[8:9], vcc, s[0:1]
	s_mov_b64 s[0:1], -1
	s_and_saveexec_b64 s[2:3], s[8:9]
; %bb.7:
	v_and_b32_e32 v1, 0x7fffffff, v67
	v_cmp_neq_f32_e32 vcc, 1.0, v66
	v_cmp_ne_u32_e64 s[0:1], 0, v1
	s_or_b64 s[0:1], vcc, s[0:1]
	s_orn2_b64 s[0:1], s[0:1], exec
; %bb.8:
	s_or_b64 exec, exec, s[2:3]
	s_and_saveexec_b64 s[2:3], s[0:1]
	s_cbranch_execz .LBB32_14
; %bb.9:
	s_load_dwordx2 s[8:9], s[4:5], 0x18
	s_load_dwordx2 s[0:1], s[4:5], 0x0
	v_lshrrev_b32_e32 v1, 4, v0
	v_lshl_or_b32 v68, s6, 3, v1
	s_mov_b64 s[2:3], 0
	s_waitcnt lgkmcnt(0)
	s_cmp_lg_u64 s[8:9], 0
	s_cbranch_scc0 .LBB32_17
; %bb.10:
	s_load_dword s6, s[4:5], 0x10
                                        ; implicit-def: $vgpr1
	s_waitcnt lgkmcnt(0)
	v_cmp_gt_i32_e32 vcc, s6, v68
	s_and_saveexec_b64 s[6:7], vcc
	s_xor_b64 s[6:7], exec, s[6:7]
	s_cbranch_execz .LBB32_12
; %bb.11:
	v_ashrrev_i32_e32 v69, 31, v68
	v_lshlrev_b64 v[2:3], 2, v[68:69]
	v_mov_b32_e32 v1, s9
	v_add_co_u32_e32 v2, vcc, s8, v2
	v_addc_co_u32_e32 v3, vcc, v1, v3, vcc
	global_load_dword v1, v[2:3], off
	s_mov_b64 s[2:3], exec
	s_waitcnt vmcnt(0)
	v_subrev_u32_e32 v1, s16, v1
.LBB32_12:
	s_or_b64 exec, exec, s[6:7]
	s_branch .LBB32_18
.LBB32_13:
	v_cmp_gt_i32_e32 vcc, s0, v68
	s_andn2_b64 s[2:3], s[2:3], exec
	s_and_b64 s[6:7], vcc, exec
	s_or_b64 s[2:3], s[2:3], s[6:7]
	s_and_b64 exec, exec, s[2:3]
	s_cbranch_execnz .LBB32_19
.LBB32_14:
	s_endpgm
.LBB32_15:
	v_pk_mov_b32 v[2:3], s[8:9], s[8:9] op_sel:[0,1]
	flat_load_dword v65, v[2:3] offset:4
	s_and_b64 vcc, exec, s[0:1]
	v_mov_b32_e32 v66, s2
	s_cbranch_vccnz .LBB32_4
.LBB32_16:
	v_pk_mov_b32 v[2:3], s[2:3], s[2:3] op_sel:[0,1]
	flat_load_dword v66, v[2:3]
	s_and_b64 vcc, exec, s[0:1]
	v_mov_b32_e32 v67, s3
	s_cbranch_vccz .LBB32_5
	s_branch .LBB32_6
.LBB32_17:
                                        ; implicit-def: $vgpr1
	s_cbranch_execnz .LBB32_13
.LBB32_18:
	v_mov_b32_e32 v68, v1
	s_and_b64 exec, exec, s[2:3]
	s_cbranch_execz .LBB32_14
.LBB32_19:
	s_load_dwordx8 s[8:15], s[4:5], 0x20
	v_ashrrev_i32_e32 v69, 31, v68
	v_lshlrev_b64 v[2:3], 3, v[68:69]
	v_and_b32_e32 v70, 15, v0
	s_load_dwordx2 s[6:7], s[4:5], 0x40
	s_waitcnt lgkmcnt(0)
	v_mov_b32_e32 v1, s9
	v_add_co_u32_e32 v4, vcc, s8, v2
	v_addc_co_u32_e32 v5, vcc, v1, v3, vcc
	v_add_co_u32_e32 v1, vcc, 8, v4
	global_load_dwordx2 v[24:25], v[4:5], off
	v_addc_co_u32_e32 v4, vcc, 0, v5, vcc
	v_mov_b32_e32 v5, s11
	v_add_co_u32_e32 v2, vcc, s10, v2
	s_cmp_eq_u64 s[10:11], 0
	v_addc_co_u32_e32 v3, vcc, v5, v3, vcc
	s_cselect_b64 vcc, -1, 0
	v_cndmask_b32_e32 v3, v3, v4, vcc
	v_cndmask_b32_e32 v2, v2, v1, vcc
	global_load_dwordx2 v[2:3], v[2:3], off
	v_mov_b32_e32 v4, s15
	s_mov_b32 s17, 0
	v_mov_b32_e32 v81, 0
	s_cmp_eq_u32 s1, 1
	s_waitcnt vmcnt(1)
	v_subrev_co_u32_e32 v0, vcc, s16, v24
	v_subbrev_co_u32_e32 v1, vcc, 0, v25, vcc
	v_add_co_u32_e32 v72, vcc, v0, v70
	v_addc_co_u32_e32 v73, vcc, 0, v1, vcc
	v_lshlrev_b64 v[0:1], 7, v[72:73]
	s_waitcnt vmcnt(0)
	v_subrev_co_u32_e32 v74, vcc, s16, v2
	v_subbrev_co_u32_e32 v75, vcc, 0, v3, vcc
	v_add_co_u32_e32 v76, vcc, s14, v0
	v_addc_co_u32_e32 v77, vcc, v4, v1, vcc
	v_cmp_lt_i64_e64 s[0:1], v[72:73], v[74:75]
	s_cbranch_scc1 .LBB32_31
; %bb.20:
	v_mov_b32_e32 v80, 0
	v_mov_b32_e32 v61, 0
	;; [unrolled: 1-line block ×7, first 2 shown]
	s_and_saveexec_b64 s[8:9], s[0:1]
	s_cbranch_execz .LBB32_30
; %bb.21:
	v_or_b32_e32 v0, 16, v70
	v_mov_b32_e32 v1, s17
	v_subrev_co_u32_e32 v0, vcc, s16, v0
	v_subb_co_u32_e32 v1, vcc, 0, v1, vcc
	v_add_co_u32_e32 v0, vcc, v0, v24
	v_addc_co_u32_e32 v1, vcc, v1, v25, vcc
	v_cmp_gt_i64_e32 vcc, v[0:1], v[74:75]
	v_cndmask_b32_e32 v1, v75, v1, vcc
	v_cndmask_b32_e32 v0, v74, v0, vcc
	v_mov_b32_e32 v4, s17
	v_sub_co_u32_e32 v5, vcc, s16, v70
	v_not_b32_e32 v3, v24
	v_subbrev_co_u32_e32 v4, vcc, 0, v4, vcc
	v_not_b32_e32 v2, v25
	v_add_co_u32_e32 v3, vcc, v5, v3
	v_addc_co_u32_e32 v2, vcc, v4, v2, vcc
	v_add_co_u32_e32 v0, vcc, v3, v0
	v_addc_co_u32_e32 v1, vcc, v2, v1, vcc
	v_lshrrev_b32_e32 v2, 4, v0
	v_add_u32_e32 v2, 1, v2
	v_and_b32_e32 v2, 3, v2
	v_mov_b32_e32 v79, 0
	v_cmp_ne_u32_e32 vcc, 0, v2
	v_mov_b32_e32 v78, v79
	v_mov_b32_e32 v63, v79
	;; [unrolled: 1-line block ×7, first 2 shown]
	v_pk_mov_b32 v[26:27], v[76:77], v[76:77] op_sel:[0,1]
	v_pk_mov_b32 v[28:29], v[72:73], v[72:73] op_sel:[0,1]
	s_and_saveexec_b64 s[2:3], vcc
	s_cbranch_execz .LBB32_25
; %bb.22:
	v_lshlrev_b64 v[4:5], 2, v[72:73]
	v_mov_b32_e32 v3, 0
	v_mov_b32_e32 v6, s13
	v_add_co_u32_e32 v4, vcc, s12, v4
	v_addc_co_u32_e32 v5, vcc, v6, v5, vcc
	v_lshlrev_b32_e32 v2, 2, v2
	s_mov_b64 s[10:11], 0
	s_movk_i32 s14, 0x800
	v_mov_b32_e32 v6, s7
	v_pk_mov_b32 v[28:29], v[72:73], v[72:73] op_sel:[0,1]
	v_pk_mov_b32 v[26:27], v[76:77], v[76:77] op_sel:[0,1]
	v_mov_b32_e32 v78, v3
	v_mov_b32_e32 v79, v3
	;; [unrolled: 1-line block ×8, first 2 shown]
.LBB32_23:                              ; =>This Inner Loop Header: Depth=1
	global_load_dword v7, v[4:5], off
	global_load_dwordx4 v[8:11], v[26:27], off
	global_load_dwordx4 v[12:15], v[26:27], off offset:16
	global_load_dwordx4 v[16:19], v[26:27], off offset:48
	;; [unrolled: 1-line block ×7, first 2 shown]
	s_waitcnt vmcnt(8)
	v_subrev_u32_e32 v7, s16, v7
	v_lshlrev_b32_e32 v46, 2, v7
	v_ashrrev_i32_e32 v47, 31, v46
	v_lshlrev_b64 v[46:47], 3, v[46:47]
	v_add_co_u32_e32 v54, vcc, s6, v46
	v_addc_co_u32_e32 v55, vcc, v6, v47, vcc
	global_load_dwordx4 v[46:49], v[54:55], off
	global_load_dwordx4 v[50:53], v[54:55], off offset:16
	v_add_co_u32_e32 v26, vcc, s14, v26
	v_addc_co_u32_e32 v27, vcc, 0, v27, vcc
	v_add_co_u32_e32 v28, vcc, 16, v28
	v_addc_co_u32_e32 v29, vcc, 0, v29, vcc
	v_add_co_u32_e32 v4, vcc, 64, v4
	s_waitcnt vmcnt(9)
	v_xor_b32_e32 v54, 0x80000000, v11
	v_mov_b32_e32 v55, v10
	s_waitcnt vmcnt(6)
	v_xor_b32_e32 v58, 0x80000000, v23
	v_mov_b32_e32 v59, v22
	;; [unrolled: 3-line block ×3, first 2 shown]
	v_xor_b32_e32 v88, 0x80000000, v37
	v_mov_b32_e32 v89, v36
	v_addc_co_u32_e32 v5, vcc, 0, v5, vcc
	v_add_co_u32_e32 v2, vcc, -4, v2
	v_addc_co_u32_e32 v3, vcc, -1, v3, vcc
	v_cmp_eq_u64_e32 vcc, 0, v[2:3]
	v_xor_b32_e32 v56, 0x80000000, v15
	v_mov_b32_e32 v57, v14
	v_xor_b32_e32 v82, 0x80000000, v19
	v_mov_b32_e32 v83, v18
	;; [unrolled: 2-line block ×4, first 2 shown]
	s_or_b64 s[10:11], vcc, s[10:11]
	s_waitcnt vmcnt(1)
	v_pk_fma_f32 v[80:81], v[8:9], v[46:47], v[80:81] op_sel_hi:[1,0,1]
	v_pk_fma_f32 v[78:79], v[20:21], v[46:47], v[78:79] op_sel_hi:[1,0,1]
	;; [unrolled: 1-line block ×4, first 2 shown]
	v_pk_fma_f32 v[8:9], v[8:9], v[46:47], v[80:81] op_sel:[1,1,0] op_sel_hi:[0,1,1] neg_lo:[1,0,0]
	v_pk_fma_f32 v[20:21], v[20:21], v[46:47], v[78:79] op_sel:[1,1,0] op_sel_hi:[0,1,1] neg_lo:[1,0,0]
	;; [unrolled: 1-line block ×4, first 2 shown]
	v_mov_b32_e32 v92, v49
	v_pk_fma_f32 v[8:9], v[10:11], v[48:49], v[8:9] op_sel_hi:[1,0,1]
	v_pk_fma_f32 v[10:11], v[22:23], v[48:49], v[20:21] op_sel_hi:[1,0,1]
	;; [unrolled: 1-line block ×8, first 2 shown]
	s_waitcnt vmcnt(0)
	v_pk_fma_f32 v[8:9], v[12:13], v[50:51], v[8:9] op_sel_hi:[1,0,1]
	v_pk_fma_f32 v[10:11], v[16:17], v[50:51], v[10:11] op_sel_hi:[1,0,1]
	;; [unrolled: 1-line block ×4, first 2 shown]
	v_pk_fma_f32 v[8:9], v[12:13], v[50:51], v[8:9] op_sel:[1,1,0] op_sel_hi:[0,1,1] neg_lo:[1,0,0]
	v_pk_fma_f32 v[10:11], v[16:17], v[50:51], v[10:11] op_sel:[1,1,0] op_sel_hi:[0,1,1] neg_lo:[1,0,0]
	;; [unrolled: 1-line block ×4, first 2 shown]
	v_mov_b32_e32 v94, v53
	v_pk_fma_f32 v[8:9], v[14:15], v[52:53], v[8:9] op_sel_hi:[1,0,1]
	v_pk_fma_f32 v[10:11], v[18:19], v[52:53], v[10:11] op_sel_hi:[1,0,1]
	;; [unrolled: 1-line block ×8, first 2 shown]
	s_andn2_b64 exec, exec, s[10:11]
	s_cbranch_execnz .LBB32_23
; %bb.24:
	s_or_b64 exec, exec, s[10:11]
.LBB32_25:
	s_or_b64 exec, exec, s[2:3]
	v_cmp_lt_u64_e32 vcc, 47, v[0:1]
	s_and_saveexec_b64 s[10:11], vcc
	s_cbranch_execz .LBB32_29
; %bb.26:
	v_lshlrev_b64 v[0:1], 2, v[28:29]
	v_mov_b32_e32 v2, s13
	v_add_co_u32_e32 v0, vcc, s12, v0
	v_addc_co_u32_e32 v1, vcc, v1, v2, vcc
	v_add_co_u32_e32 v30, vcc, 0x80, v0
	v_addc_co_u32_e32 v31, vcc, 0, v1, vcc
	s_mov_b64 s[14:15], 0
	v_mov_b32_e32 v34, s7
	s_movk_i32 s18, 0x1000
.LBB32_27:                              ; =>This Inner Loop Header: Depth=1
	global_load_dword v0, v[30:31], off offset:-128
	s_waitcnt vmcnt(0)
	v_subrev_u32_e32 v0, s16, v0
	v_lshlrev_b32_e32 v0, 2, v0
	v_ashrrev_i32_e32 v1, 31, v0
	v_lshlrev_b64 v[0:1], 3, v[0:1]
	v_add_co_u32_e32 v0, vcc, s6, v0
	v_addc_co_u32_e32 v1, vcc, v34, v1, vcc
	global_load_dwordx4 v[8:11], v[0:1], off offset:16
	global_load_dwordx4 v[20:23], v[0:1], off
	global_load_dword v2, v[30:31], off offset:-64
	s_waitcnt vmcnt(2)
	v_mov_b32_e32 v88, v11
	s_waitcnt vmcnt(1)
	v_mov_b32_e32 v86, v23
	s_waitcnt vmcnt(0)
	v_subrev_u32_e32 v0, s16, v2
	v_lshlrev_b32_e32 v0, 2, v0
	v_ashrrev_i32_e32 v1, 31, v0
	v_lshlrev_b64 v[0:1], 3, v[0:1]
	v_add_co_u32_e32 v32, vcc, s6, v0
	v_addc_co_u32_e32 v33, vcc, v34, v1, vcc
	global_load_dwordx4 v[0:3], v[32:33], off offset:16
	global_load_dwordx4 v[4:7], v[32:33], off
	global_load_dwordx4 v[36:39], v[26:27], off offset:48
	global_load_dwordx4 v[40:43], v[26:27], off offset:32
	;; [unrolled: 1-line block ×3, first 2 shown]
	global_load_dwordx4 v[16:19], v[26:27], off
	s_waitcnt vmcnt(0)
	v_pk_fma_f32 v[32:33], v[16:17], v[20:21], v[80:81] op_sel_hi:[1,0,1]
	v_pk_fma_f32 v[16:17], v[16:17], v[20:21], v[32:33] op_sel:[1,1,0] op_sel_hi:[0,1,1] neg_lo:[1,0,0]
	v_xor_b32_e32 v32, 0x80000000, v19
	v_pk_fma_f32 v[16:17], v[18:19], v[22:23], v[16:17] op_sel_hi:[1,0,1]
	v_mov_b32_e32 v33, v18
	v_pk_fma_f32 v[16:17], v[32:33], v[86:87], v[16:17] op_sel_hi:[1,0,1]
	v_pk_fma_f32 v[16:17], v[12:13], v[8:9], v[16:17] op_sel_hi:[1,0,1]
	v_pk_fma_f32 v[12:13], v[12:13], v[8:9], v[16:17] op_sel:[1,1,0] op_sel_hi:[0,1,1] neg_lo:[1,0,0]
	v_xor_b32_e32 v16, 0x80000000, v15
	v_pk_fma_f32 v[12:13], v[14:15], v[10:11], v[12:13] op_sel_hi:[1,0,1]
	v_mov_b32_e32 v17, v14
	v_pk_fma_f32 v[32:33], v[16:17], v[88:89], v[12:13] op_sel_hi:[1,0,1]
	global_load_dwordx4 v[12:15], v[26:27], off offset:2096
	global_load_dwordx4 v[16:19], v[26:27], off offset:2080
	;; [unrolled: 1-line block ×4, first 2 shown]
	s_waitcnt vmcnt(0)
	v_pk_fma_f32 v[32:33], v[48:49], v[4:5], v[32:33] op_sel_hi:[1,0,1]
	v_pk_fma_f32 v[48:49], v[48:49], v[4:5], v[32:33] op_sel:[1,1,0] op_sel_hi:[0,1,1] neg_lo:[1,0,0]
	v_pk_fma_f32 v[32:33], v[40:41], v[20:21], v[78:79] op_sel_hi:[1,0,1]
	v_pk_fma_f32 v[32:33], v[40:41], v[20:21], v[32:33] op_sel:[1,1,0] op_sel_hi:[0,1,1] neg_lo:[1,0,0]
	v_xor_b32_e32 v40, 0x80000000, v43
	v_pk_fma_f32 v[32:33], v[42:43], v[22:23], v[32:33] op_sel_hi:[1,0,1]
	v_mov_b32_e32 v41, v42
	v_pk_fma_f32 v[32:33], v[40:41], v[86:87], v[32:33] op_sel_hi:[1,0,1]
	v_pk_fma_f32 v[32:33], v[36:37], v[8:9], v[32:33] op_sel_hi:[1,0,1]
	v_pk_fma_f32 v[32:33], v[36:37], v[8:9], v[32:33] op_sel:[1,1,0] op_sel_hi:[0,1,1] neg_lo:[1,0,0]
	v_xor_b32_e32 v36, 0x80000000, v39
	v_pk_fma_f32 v[32:33], v[38:39], v[10:11], v[32:33] op_sel_hi:[1,0,1]
	v_mov_b32_e32 v37, v38
	v_pk_fma_f32 v[32:33], v[36:37], v[88:89], v[32:33] op_sel_hi:[1,0,1]
	global_load_dwordx4 v[36:39], v[26:27], off offset:112
	global_load_dwordx4 v[40:43], v[26:27], off offset:96
	;; [unrolled: 1-line block ×4, first 2 shown]
	v_pk_fma_f32 v[32:33], v[16:17], v[4:5], v[32:33] op_sel_hi:[1,0,1]
	v_pk_fma_f32 v[32:33], v[16:17], v[4:5], v[32:33] op_sel:[1,1,0] op_sel_hi:[0,1,1] neg_lo:[1,0,0]
	v_xor_b32_e32 v90, 0x80000000, v51
	v_mov_b32_e32 v91, v50
	v_xor_b32_e32 v16, 0x80000000, v19
	v_pk_fma_f32 v[32:33], v[18:19], v[6:7], v[32:33] op_sel_hi:[1,0,1]
	v_mov_b32_e32 v17, v18
	s_waitcnt vmcnt(2)
	v_pk_fma_f32 v[60:61], v[40:41], v[20:21], v[60:61] op_sel_hi:[1,0,1]
	s_waitcnt vmcnt(0)
	v_pk_fma_f32 v[62:63], v[56:57], v[20:21], v[62:63] op_sel_hi:[1,0,1]
	v_pk_fma_f32 v[56:57], v[56:57], v[20:21], v[62:63] op_sel:[1,1,0] op_sel_hi:[0,1,1] neg_lo:[1,0,0]
	v_xor_b32_e32 v62, 0x80000000, v59
	v_pk_fma_f32 v[56:57], v[58:59], v[22:23], v[56:57] op_sel_hi:[1,0,1]
	v_mov_b32_e32 v63, v58
	v_pk_fma_f32 v[56:57], v[62:63], v[86:87], v[56:57] op_sel_hi:[1,0,1]
	v_pk_fma_f32 v[56:57], v[52:53], v[8:9], v[56:57] op_sel_hi:[1,0,1]
	v_pk_fma_f32 v[52:53], v[52:53], v[8:9], v[56:57] op_sel:[1,1,0] op_sel_hi:[0,1,1] neg_lo:[1,0,0]
	v_xor_b32_e32 v56, 0x80000000, v55
	v_pk_fma_f32 v[52:53], v[54:55], v[10:11], v[52:53] op_sel_hi:[1,0,1]
	v_mov_b32_e32 v57, v54
	v_pk_fma_f32 v[62:63], v[56:57], v[88:89], v[52:53] op_sel_hi:[1,0,1]
	global_load_dwordx4 v[52:55], v[26:27], off offset:2160
	global_load_dwordx4 v[56:59], v[26:27], off offset:2144
	;; [unrolled: 1-line block ×4, first 2 shown]
	v_pk_fma_f32 v[20:21], v[40:41], v[20:21], v[60:61] op_sel:[1,1,0] op_sel_hi:[0,1,1] neg_lo:[1,0,0]
	v_xor_b32_e32 v40, 0x80000000, v43
	v_pk_fma_f32 v[20:21], v[42:43], v[22:23], v[20:21] op_sel_hi:[1,0,1]
	v_mov_b32_e32 v41, v42
	v_pk_fma_f32 v[20:21], v[40:41], v[86:87], v[20:21] op_sel_hi:[1,0,1]
	v_pk_fma_f32 v[20:21], v[36:37], v[8:9], v[20:21] op_sel_hi:[1,0,1]
	v_pk_fma_f32 v[8:9], v[36:37], v[8:9], v[20:21] op_sel:[1,1,0] op_sel_hi:[0,1,1] neg_lo:[1,0,0]
	v_xor_b32_e32 v20, 0x80000000, v39
	v_pk_fma_f32 v[8:9], v[38:39], v[10:11], v[8:9] op_sel_hi:[1,0,1]
	v_mov_b32_e32 v21, v38
	v_pk_fma_f32 v[8:9], v[20:21], v[88:89], v[8:9] op_sel_hi:[1,0,1]
	v_mov_b32_e32 v86, v7
	v_xor_b32_e32 v20, 0x80000000, v47
	v_mov_b32_e32 v21, v46
	v_mov_b32_e32 v88, v3
	v_pk_fma_f32 v[16:17], v[16:17], v[86:87], v[32:33] op_sel_hi:[1,0,1]
	v_pk_fma_f32 v[16:17], v[12:13], v[0:1], v[16:17] op_sel_hi:[1,0,1]
	v_pk_fma_f32 v[12:13], v[12:13], v[0:1], v[16:17] op_sel:[1,1,0] op_sel_hi:[0,1,1] neg_lo:[1,0,0]
	v_xor_b32_e32 v16, 0x80000000, v15
	v_pk_fma_f32 v[12:13], v[14:15], v[2:3], v[12:13] op_sel_hi:[1,0,1]
	v_mov_b32_e32 v17, v14
	v_pk_fma_f32 v[12:13], v[16:17], v[88:89], v[12:13] op_sel_hi:[1,0,1]
	s_waitcnt vmcnt(2)
	v_pk_fma_f32 v[8:9], v[56:57], v[4:5], v[8:9] op_sel_hi:[1,0,1]
	v_pk_fma_f32 v[56:57], v[56:57], v[4:5], v[8:9] op_sel:[1,1,0] op_sel_hi:[0,1,1] neg_lo:[1,0,0]
	s_waitcnt vmcnt(0)
	v_pk_fma_f32 v[62:63], v[82:83], v[4:5], v[62:63] op_sel_hi:[1,0,1]
	v_pk_fma_f32 v[62:63], v[82:83], v[4:5], v[62:63] op_sel:[1,1,0] op_sel_hi:[0,1,1] neg_lo:[1,0,0]
	global_load_dword v4, v[30:31], off
	v_xor_b32_e32 v82, 0x80000000, v85
	v_mov_b32_e32 v83, v84
	v_xor_b32_e32 v60, 0x80000000, v59
	v_mov_b32_e32 v61, v58
	s_waitcnt vmcnt(0)
	v_subrev_u32_e32 v4, s16, v4
	v_lshlrev_b32_e32 v4, 2, v4
	v_ashrrev_i32_e32 v5, 31, v4
	v_lshlrev_b64 v[4:5], 3, v[4:5]
	v_add_co_u32_e32 v4, vcc, s6, v4
	v_addc_co_u32_e32 v5, vcc, v34, v5, vcc
	global_load_dwordx4 v[8:11], v[4:5], off offset:16
	global_load_dwordx4 v[36:39], v[4:5], off
	v_pk_fma_f32 v[4:5], v[50:51], v[6:7], v[48:49] op_sel_hi:[1,0,1]
	v_pk_fma_f32 v[4:5], v[90:91], v[86:87], v[4:5] op_sel_hi:[1,0,1]
	;; [unrolled: 1-line block ×3, first 2 shown]
	v_pk_fma_f32 v[4:5], v[44:45], v[0:1], v[4:5] op_sel:[1,1,0] op_sel_hi:[0,1,1] neg_lo:[1,0,0]
	v_pk_fma_f32 v[4:5], v[46:47], v[2:3], v[4:5] op_sel_hi:[1,0,1]
	v_pk_fma_f32 v[90:91], v[20:21], v[88:89], v[4:5] op_sel_hi:[1,0,1]
	v_add_co_u32_e32 v4, vcc, s18, v26
	v_addc_co_u32_e32 v5, vcc, 0, v27, vcc
	global_load_dwordx4 v[40:43], v[4:5], off
	global_load_dwordx4 v[20:23], v[4:5], off offset:48
	global_load_dwordx4 v[44:47], v[4:5], off offset:32
	global_load_dwordx4 v[48:51], v[4:5], off offset:16
	s_waitcnt vmcnt(4)
	v_mov_b32_e32 v92, v39
	s_waitcnt vmcnt(3)
	v_pk_fma_f32 v[90:91], v[40:41], v[36:37], v[90:91] op_sel_hi:[1,0,1]
	v_pk_fma_f32 v[40:41], v[40:41], v[36:37], v[90:91] op_sel:[1,1,0] op_sel_hi:[0,1,1] neg_lo:[1,0,0]
	s_waitcnt vmcnt(1)
	v_pk_fma_f32 v[12:13], v[44:45], v[36:37], v[12:13] op_sel_hi:[1,0,1]
	v_pk_fma_f32 v[12:13], v[44:45], v[36:37], v[12:13] op_sel:[1,1,0] op_sel_hi:[0,1,1] neg_lo:[1,0,0]
	v_xor_b32_e32 v14, 0x80000000, v47
	v_pk_fma_f32 v[12:13], v[46:47], v[38:39], v[12:13] op_sel_hi:[1,0,1]
	v_mov_b32_e32 v15, v46
	v_pk_fma_f32 v[12:13], v[14:15], v[92:93], v[12:13] op_sel_hi:[1,0,1]
	v_pk_fma_f32 v[32:33], v[20:21], v[8:9], v[12:13] op_sel_hi:[1,0,1]
	;; [unrolled: 1-line block ×5, first 2 shown]
	v_xor_b32_e32 v90, 0x80000000, v43
	v_pk_fma_f32 v[40:41], v[42:43], v[38:39], v[40:41] op_sel_hi:[1,0,1]
	v_mov_b32_e32 v91, v42
	v_pk_fma_f32 v[12:13], v[78:79], v[0:1], v[12:13] op_sel:[1,1,0] op_sel_hi:[0,1,1] neg_lo:[1,0,0]
	v_pk_fma_f32 v[40:41], v[90:91], v[92:93], v[40:41] op_sel_hi:[1,0,1]
	v_xor_b32_e32 v14, 0x80000000, v81
	v_pk_fma_f32 v[12:13], v[80:81], v[2:3], v[12:13] op_sel_hi:[1,0,1]
	v_mov_b32_e32 v15, v80
	s_waitcnt vmcnt(0)
	v_pk_fma_f32 v[90:91], v[48:49], v[8:9], v[40:41] op_sel_hi:[1,0,1]
	v_pk_fma_f32 v[62:63], v[14:15], v[88:89], v[12:13] op_sel_hi:[1,0,1]
	global_load_dwordx4 v[12:15], v[4:5], off offset:112
	global_load_dwordx4 v[40:43], v[4:5], off offset:96
	;; [unrolled: 1-line block ×4, first 2 shown]
	v_pk_fma_f32 v[6:7], v[58:59], v[6:7], v[56:57] op_sel_hi:[1,0,1]
	v_pk_fma_f32 v[6:7], v[60:61], v[86:87], v[6:7] op_sel_hi:[1,0,1]
	;; [unrolled: 1-line block ×3, first 2 shown]
	v_pk_fma_f32 v[0:1], v[52:53], v[0:1], v[6:7] op_sel:[1,1,0] op_sel_hi:[0,1,1] neg_lo:[1,0,0]
	v_xor_b32_e32 v6, 0x80000000, v55
	v_pk_fma_f32 v[0:1], v[54:55], v[2:3], v[0:1] op_sel_hi:[1,0,1]
	v_mov_b32_e32 v7, v54
	v_pk_fma_f32 v[0:1], v[6:7], v[88:89], v[0:1] op_sel_hi:[1,0,1]
	v_mov_b32_e32 v56, v11
	v_pk_fma_f32 v[20:21], v[20:21], v[8:9], v[32:33] op_sel:[1,1,0] op_sel_hi:[0,1,1] neg_lo:[1,0,0]
	v_xor_b32_e32 v32, 0x80000000, v23
	v_pk_fma_f32 v[20:21], v[22:23], v[10:11], v[20:21] op_sel_hi:[1,0,1]
	v_mov_b32_e32 v33, v22
	v_pk_fma_f32 v[20:21], v[32:33], v[56:57], v[20:21] op_sel_hi:[1,0,1]
	s_waitcnt vmcnt(2)
	v_pk_fma_f32 v[0:1], v[40:41], v[36:37], v[0:1] op_sel_hi:[1,0,1]
	v_pk_fma_f32 v[0:1], v[40:41], v[36:37], v[0:1] op_sel:[1,1,0] op_sel_hi:[0,1,1] neg_lo:[1,0,0]
	v_xor_b32_e32 v2, 0x80000000, v43
	v_pk_fma_f32 v[0:1], v[42:43], v[38:39], v[0:1] op_sel_hi:[1,0,1]
	v_mov_b32_e32 v3, v42
	v_pk_fma_f32 v[0:1], v[2:3], v[92:93], v[0:1] op_sel_hi:[1,0,1]
	v_pk_fma_f32 v[6:7], v[12:13], v[8:9], v[0:1] op_sel_hi:[1,0,1]
	global_load_dword v0, v[30:31], off offset:64
	s_waitcnt vmcnt(1)
	v_pk_fma_f32 v[62:63], v[44:45], v[36:37], v[62:63] op_sel_hi:[1,0,1]
	v_pk_fma_f32 v[44:45], v[44:45], v[36:37], v[62:63] op_sel:[1,1,0] op_sel_hi:[0,1,1] neg_lo:[1,0,0]
	v_xor_b32_e32 v62, 0x80000000, v47
	v_pk_fma_f32 v[44:45], v[46:47], v[38:39], v[44:45] op_sel_hi:[1,0,1]
	v_mov_b32_e32 v63, v46
	v_pk_fma_f32 v[44:45], v[62:63], v[92:93], v[44:45] op_sel_hi:[1,0,1]
	v_xor_b32_e32 v42, 0x80000000, v51
	v_mov_b32_e32 v43, v50
	v_pk_fma_f32 v[62:63], v[16:17], v[8:9], v[44:45] op_sel_hi:[1,0,1]
	v_pk_fma_f32 v[16:17], v[16:17], v[8:9], v[62:63] op_sel:[1,1,0] op_sel_hi:[0,1,1] neg_lo:[1,0,0]
	v_pk_fma_f32 v[16:17], v[18:19], v[10:11], v[16:17] op_sel_hi:[1,0,1]
	s_waitcnt vmcnt(0)
	v_subrev_u32_e32 v0, s16, v0
	v_lshlrev_b32_e32 v0, 2, v0
	v_ashrrev_i32_e32 v1, 31, v0
	v_lshlrev_b64 v[0:1], 3, v[0:1]
	v_add_co_u32_e32 v40, vcc, s6, v0
	v_addc_co_u32_e32 v41, vcc, v34, v1, vcc
	global_load_dwordx4 v[0:3], v[40:41], off offset:16
	global_load_dwordx4 v[36:39], v[40:41], off
	v_pk_fma_f32 v[40:41], v[48:49], v[8:9], v[90:91] op_sel:[1,1,0] op_sel_hi:[0,1,1] neg_lo:[1,0,0]
	v_pk_fma_f32 v[40:41], v[50:51], v[10:11], v[40:41] op_sel_hi:[1,0,1]
	v_pk_fma_f32 v[58:59], v[42:43], v[56:57], v[40:41] op_sel_hi:[1,0,1]
	global_load_dwordx4 v[40:43], v[4:5], off offset:2096
	global_load_dwordx4 v[44:47], v[4:5], off offset:2080
	;; [unrolled: 1-line block ×4, first 2 shown]
	v_add_co_u32_e32 v28, vcc, 64, v28
	v_addc_co_u32_e32 v29, vcc, 0, v29, vcc
	v_add_co_u32_e32 v30, vcc, 0x100, v30
	v_addc_co_u32_e32 v31, vcc, 0, v31, vcc
	v_cmp_ge_i64_e64 s[2:3], v[28:29], v[74:75]
	v_add_co_u32_e32 v26, vcc, 0x2000, v26
	v_addc_co_u32_e32 v27, vcc, 0, v27, vcc
	s_or_b64 s[14:15], s[2:3], s[14:15]
	s_waitcnt vmcnt(2)
	v_pk_fma_f32 v[20:21], v[44:45], v[36:37], v[20:21] op_sel_hi:[1,0,1]
	v_pk_fma_f32 v[20:21], v[44:45], v[36:37], v[20:21] op_sel:[1,1,0] op_sel_hi:[0,1,1] neg_lo:[1,0,0]
	s_waitcnt vmcnt(0)
	v_pk_fma_f32 v[58:59], v[52:53], v[36:37], v[58:59] op_sel_hi:[1,0,1]
	v_pk_fma_f32 v[52:53], v[52:53], v[36:37], v[58:59] op_sel:[1,1,0] op_sel_hi:[0,1,1] neg_lo:[1,0,0]
	v_xor_b32_e32 v58, 0x80000000, v55
	v_pk_fma_f32 v[52:53], v[54:55], v[38:39], v[52:53] op_sel_hi:[1,0,1]
	v_mov_b32_e32 v59, v54
	v_mov_b32_e32 v54, v39
	v_xor_b32_e32 v22, 0x80000000, v47
	v_pk_fma_f32 v[20:21], v[46:47], v[38:39], v[20:21] op_sel_hi:[1,0,1]
	v_mov_b32_e32 v23, v46
	v_pk_fma_f32 v[52:53], v[58:59], v[54:55], v[52:53] op_sel_hi:[1,0,1]
	v_pk_fma_f32 v[20:21], v[22:23], v[54:55], v[20:21] op_sel_hi:[1,0,1]
	;; [unrolled: 1-line block ×4, first 2 shown]
	v_pk_fma_f32 v[48:49], v[48:49], v[0:1], v[52:53] op_sel:[1,1,0] op_sel_hi:[0,1,1] neg_lo:[1,0,0]
	v_pk_fma_f32 v[20:21], v[40:41], v[0:1], v[20:21] op_sel:[1,1,0] op_sel_hi:[0,1,1] neg_lo:[1,0,0]
	v_pk_fma_f32 v[48:49], v[50:51], v[2:3], v[48:49] op_sel_hi:[1,0,1]
	v_mov_b32_e32 v53, v50
	v_mov_b32_e32 v50, v3
	v_xor_b32_e32 v22, 0x80000000, v43
	v_pk_fma_f32 v[20:21], v[42:43], v[2:3], v[20:21] op_sel_hi:[1,0,1]
	v_mov_b32_e32 v23, v42
	v_pk_fma_f32 v[78:79], v[22:23], v[50:51], v[20:21] op_sel_hi:[1,0,1]
	v_xor_b32_e32 v20, 0x80000000, v19
	v_mov_b32_e32 v21, v18
	v_pk_fma_f32 v[32:33], v[20:21], v[56:57], v[16:17] op_sel_hi:[1,0,1]
	global_load_dwordx4 v[16:19], v[4:5], off offset:2160
	global_load_dwordx4 v[20:23], v[4:5], off offset:2144
	;; [unrolled: 1-line block ×4, first 2 shown]
	v_xor_b32_e32 v52, 0x80000000, v51
	v_pk_fma_f32 v[80:81], v[52:53], v[50:51], v[48:49] op_sel_hi:[1,0,1]
	s_waitcnt vmcnt(0)
	v_pk_fma_f32 v[4:5], v[44:45], v[36:37], v[32:33] op_sel_hi:[1,0,1]
	v_pk_fma_f32 v[4:5], v[44:45], v[36:37], v[4:5] op_sel:[1,1,0] op_sel_hi:[0,1,1] neg_lo:[1,0,0]
	v_xor_b32_e32 v32, 0x80000000, v47
	v_pk_fma_f32 v[4:5], v[46:47], v[38:39], v[4:5] op_sel_hi:[1,0,1]
	v_mov_b32_e32 v33, v46
	v_pk_fma_f32 v[4:5], v[32:33], v[54:55], v[4:5] op_sel_hi:[1,0,1]
	v_pk_fma_f32 v[4:5], v[40:41], v[0:1], v[4:5] op_sel_hi:[1,0,1]
	v_pk_fma_f32 v[4:5], v[40:41], v[0:1], v[4:5] op_sel:[1,1,0] op_sel_hi:[0,1,1] neg_lo:[1,0,0]
	v_xor_b32_e32 v32, 0x80000000, v43
	v_pk_fma_f32 v[4:5], v[42:43], v[2:3], v[4:5] op_sel_hi:[1,0,1]
	v_mov_b32_e32 v33, v42
	v_pk_fma_f32 v[62:63], v[32:33], v[50:51], v[4:5] op_sel_hi:[1,0,1]
	v_pk_fma_f32 v[4:5], v[12:13], v[8:9], v[6:7] op_sel:[1,1,0] op_sel_hi:[0,1,1] neg_lo:[1,0,0]
	v_xor_b32_e32 v6, 0x80000000, v15
	v_pk_fma_f32 v[4:5], v[14:15], v[10:11], v[4:5] op_sel_hi:[1,0,1]
	v_mov_b32_e32 v7, v14
	v_pk_fma_f32 v[4:5], v[6:7], v[56:57], v[4:5] op_sel_hi:[1,0,1]
	v_pk_fma_f32 v[4:5], v[20:21], v[36:37], v[4:5] op_sel_hi:[1,0,1]
	v_pk_fma_f32 v[4:5], v[20:21], v[36:37], v[4:5] op_sel:[1,1,0] op_sel_hi:[0,1,1] neg_lo:[1,0,0]
	v_xor_b32_e32 v6, 0x80000000, v23
	v_pk_fma_f32 v[4:5], v[22:23], v[38:39], v[4:5] op_sel_hi:[1,0,1]
	v_mov_b32_e32 v7, v22
	v_pk_fma_f32 v[4:5], v[6:7], v[54:55], v[4:5] op_sel_hi:[1,0,1]
	;; [unrolled: 6-line block ×3, first 2 shown]
	s_andn2_b64 exec, exec, s[14:15]
	s_cbranch_execnz .LBB32_27
; %bb.28:
	s_or_b64 exec, exec, s[14:15]
.LBB32_29:
	s_or_b64 exec, exec, s[10:11]
.LBB32_30:
	s_or_b64 exec, exec, s[8:9]
	s_cbranch_execz .LBB32_32
	s_branch .LBB32_43
.LBB32_31:
                                        ; implicit-def: $vgpr81
                                        ; implicit-def: $vgpr61
                                        ; implicit-def: $vgpr63
                                        ; implicit-def: $vgpr79
.LBB32_32:
	v_mov_b32_e32 v81, 0
	v_mov_b32_e32 v80, 0
	;; [unrolled: 1-line block ×8, first 2 shown]
	s_and_saveexec_b64 s[8:9], s[0:1]
	s_cbranch_execz .LBB32_42
; %bb.33:
	v_or_b32_e32 v0, 16, v70
	v_mov_b32_e32 v1, s17
	v_subrev_co_u32_e32 v0, vcc, s16, v0
	v_subb_co_u32_e32 v1, vcc, 0, v1, vcc
	v_add_co_u32_e32 v0, vcc, v0, v24
	v_addc_co_u32_e32 v1, vcc, v1, v25, vcc
	v_cmp_gt_i64_e32 vcc, v[0:1], v[74:75]
	v_cndmask_b32_e32 v1, v75, v1, vcc
	v_cndmask_b32_e32 v0, v74, v0, vcc
	v_mov_b32_e32 v4, s17
	v_sub_co_u32_e32 v5, vcc, s16, v70
	v_not_b32_e32 v3, v24
	v_subbrev_co_u32_e32 v4, vcc, 0, v4, vcc
	v_not_b32_e32 v2, v25
	v_add_co_u32_e32 v3, vcc, v5, v3
	v_addc_co_u32_e32 v2, vcc, v4, v2, vcc
	v_add_co_u32_e32 v0, vcc, v3, v0
	v_addc_co_u32_e32 v1, vcc, v2, v1, vcc
	v_lshrrev_b32_e32 v2, 4, v0
	v_add_u32_e32 v2, 1, v2
	v_and_b32_e32 v2, 3, v2
	v_mov_b32_e32 v79, 0
	v_cmp_ne_u32_e32 vcc, 0, v2
	v_mov_b32_e32 v78, v79
	v_mov_b32_e32 v63, v79
	;; [unrolled: 1-line block ×7, first 2 shown]
	s_and_saveexec_b64 s[0:1], vcc
	s_cbranch_execz .LBB32_37
; %bb.34:
	v_lshlrev_b64 v[4:5], 2, v[72:73]
	v_mov_b32_e32 v3, 0
	v_mov_b32_e32 v6, s13
	v_add_co_u32_e32 v4, vcc, s12, v4
	v_addc_co_u32_e32 v5, vcc, v6, v5, vcc
	v_lshlrev_b32_e32 v2, 2, v2
	s_mov_b64 s[2:3], 0
	s_movk_i32 s10, 0x800
	v_mov_b32_e32 v6, s7
	v_mov_b32_e32 v78, v3
	;; [unrolled: 1-line block ×9, first 2 shown]
.LBB32_35:                              ; =>This Inner Loop Header: Depth=1
	global_load_dword v7, v[4:5], off
	global_load_dwordx4 v[8:11], v[76:77], off offset:48
	global_load_dwordx4 v[12:15], v[76:77], off offset:32
	;; [unrolled: 1-line block ×3, first 2 shown]
	global_load_dwordx4 v[20:23], v[76:77], off
	global_load_dwordx4 v[24:27], v[76:77], off offset:96
	global_load_dwordx4 v[28:31], v[76:77], off offset:80
	;; [unrolled: 1-line block ×3, first 2 shown]
	s_waitcnt vmcnt(7)
	v_subrev_u32_e32 v7, s16, v7
	v_lshlrev_b32_e32 v36, 2, v7
	v_ashrrev_i32_e32 v37, 31, v36
	v_lshlrev_b64 v[36:37], 3, v[36:37]
	v_add_co_u32_e32 v48, vcc, s6, v36
	v_addc_co_u32_e32 v49, vcc, v6, v37, vcc
	global_load_dwordx4 v[36:39], v[48:49], off offset:16
	global_load_dwordx4 v[40:43], v[48:49], off
	global_load_dwordx4 v[44:47], v[76:77], off offset:112
	v_add_co_u32_e32 v76, vcc, s10, v76
	v_addc_co_u32_e32 v77, vcc, 0, v77, vcc
	v_add_co_u32_e32 v72, vcc, 16, v72
	s_waitcnt vmcnt(6)
	v_xor_b32_e32 v48, 0x80000000, v23
	v_mov_b32_e32 v49, v22
	v_xor_b32_e32 v56, 0x80000000, v19
	v_mov_b32_e32 v57, v18
	v_addc_co_u32_e32 v73, vcc, 0, v73, vcc
	v_add_co_u32_e32 v4, vcc, 64, v4
	v_xor_b32_e32 v50, 0x80000000, v15
	v_mov_b32_e32 v51, v14
	v_xor_b32_e32 v58, 0x80000000, v11
	v_mov_b32_e32 v59, v10
	v_addc_co_u32_e32 v5, vcc, 0, v5, vcc
	v_add_co_u32_e32 v2, vcc, -4, v2
	s_waitcnt vmcnt(3)
	v_xor_b32_e32 v52, 0x80000000, v35
	v_mov_b32_e32 v53, v34
	v_xor_b32_e32 v82, 0x80000000, v31
	v_mov_b32_e32 v83, v30
	v_addc_co_u32_e32 v3, vcc, -1, v3, vcc
	v_cmp_eq_u64_e32 vcc, 0, v[2:3]
	v_xor_b32_e32 v54, 0x80000000, v27
	v_mov_b32_e32 v55, v26
	s_or_b64 s[2:3], vcc, s[2:3]
	s_waitcnt vmcnt(2)
	v_mov_b32_e32 v88, v39
	s_waitcnt vmcnt(1)
	v_pk_fma_f32 v[80:81], v[20:21], v[40:41], v[80:81] op_sel_hi:[1,0,1]
	v_pk_fma_f32 v[22:23], v[22:23], v[40:41], v[78:79] op_sel_hi:[1,0,1]
	;; [unrolled: 1-line block ×4, first 2 shown]
	v_pk_fma_f32 v[20:21], v[20:21], v[40:41], v[80:81] op_sel:[1,1,0] op_sel_hi:[0,1,1] neg_lo:[1,0,0]
	v_pk_fma_f32 v[22:23], v[48:49], v[40:41], v[22:23] op_sel:[0,1,0]
	v_pk_fma_f32 v[16:17], v[16:17], v[40:41], v[62:63] op_sel:[1,1,0] op_sel_hi:[0,1,1] neg_lo:[1,0,0]
	v_pk_fma_f32 v[18:19], v[56:57], v[40:41], v[18:19] op_sel:[0,1,0]
	v_mov_b32_e32 v86, v43
	v_pk_fma_f32 v[20:21], v[12:13], v[42:43], v[20:21] op_sel_hi:[1,0,1]
	v_pk_fma_f32 v[14:15], v[14:15], v[42:43], v[22:23] op_sel_hi:[1,0,1]
	v_pk_fma_f32 v[16:17], v[8:9], v[42:43], v[16:17] op_sel_hi:[1,0,1]
	v_pk_fma_f32 v[10:11], v[10:11], v[42:43], v[18:19] op_sel_hi:[1,0,1]
	v_pk_fma_f32 v[12:13], v[12:13], v[86:87], v[20:21] op_sel:[1,0,0] op_sel_hi:[0,0,1] neg_lo:[1,0,0]
	v_pk_fma_f32 v[14:15], v[50:51], v[86:87], v[14:15] op_sel_hi:[1,0,1]
	v_pk_fma_f32 v[8:9], v[8:9], v[86:87], v[16:17] op_sel:[1,0,0] op_sel_hi:[0,0,1] neg_lo:[1,0,0]
	v_pk_fma_f32 v[10:11], v[58:59], v[86:87], v[10:11] op_sel_hi:[1,0,1]
	v_pk_fma_f32 v[12:13], v[32:33], v[36:37], v[12:13] op_sel_hi:[1,0,1]
	;; [unrolled: 1-line block ×5, first 2 shown]
	v_pk_fma_f32 v[12:13], v[32:33], v[36:37], v[12:13] op_sel:[1,1,0] op_sel_hi:[0,1,1] neg_lo:[1,0,0]
	v_pk_fma_f32 v[14:15], v[52:53], v[36:37], v[14:15] op_sel:[0,1,0]
	v_pk_fma_f32 v[8:9], v[28:29], v[36:37], v[8:9] op_sel:[1,1,0] op_sel_hi:[0,1,1] neg_lo:[1,0,0]
	v_pk_fma_f32 v[10:11], v[82:83], v[36:37], v[10:11] op_sel:[0,1,0]
	s_waitcnt vmcnt(0)
	v_xor_b32_e32 v84, 0x80000000, v47
	v_mov_b32_e32 v85, v46
	v_pk_fma_f32 v[12:13], v[24:25], v[38:39], v[12:13] op_sel_hi:[1,0,1]
	v_pk_fma_f32 v[14:15], v[26:27], v[38:39], v[14:15] op_sel_hi:[1,0,1]
	;; [unrolled: 1-line block ×4, first 2 shown]
	v_pk_fma_f32 v[80:81], v[24:25], v[88:89], v[12:13] op_sel:[1,0,0] op_sel_hi:[0,0,1] neg_lo:[1,0,0]
	v_pk_fma_f32 v[78:79], v[54:55], v[88:89], v[14:15] op_sel_hi:[1,0,1]
	v_pk_fma_f32 v[62:63], v[44:45], v[88:89], v[8:9] op_sel:[1,0,0] op_sel_hi:[0,0,1] neg_lo:[1,0,0]
	v_pk_fma_f32 v[60:61], v[84:85], v[88:89], v[10:11] op_sel_hi:[1,0,1]
	s_andn2_b64 exec, exec, s[2:3]
	s_cbranch_execnz .LBB32_35
; %bb.36:
	s_or_b64 exec, exec, s[2:3]
.LBB32_37:
	s_or_b64 exec, exec, s[0:1]
	v_cmp_lt_u64_e32 vcc, 47, v[0:1]
	s_and_saveexec_b64 s[10:11], vcc
	s_cbranch_execz .LBB32_41
; %bb.38:
	v_lshlrev_b64 v[0:1], 2, v[72:73]
	v_mov_b32_e32 v2, s13
	v_add_co_u32_e32 v0, vcc, s12, v0
	v_addc_co_u32_e32 v1, vcc, v1, v2, vcc
	v_add_co_u32_e32 v82, vcc, 0x80, v0
	v_addc_co_u32_e32 v83, vcc, 0, v1, vcc
	s_mov_b64 s[12:13], 0
	v_mov_b32_e32 v69, s7
	s_movk_i32 s7, 0x1000
.LBB32_39:                              ; =>This Inner Loop Header: Depth=1
	global_load_dword v71, v[82:83], off offset:-128
	global_load_dwordx4 v[56:59], v[76:77], off
	global_load_dwordx4 v[52:55], v[76:77], off offset:16
	global_load_dwordx4 v[36:39], v[76:77], off offset:48
	;; [unrolled: 1-line block ×14, first 2 shown]
	global_load_dword v100, v[82:83], off offset:-64
	global_load_dword v101, v[82:83], off
	global_load_dword v102, v[82:83], off offset:64
	s_waitcnt vmcnt(18)
	v_subrev_u32_e32 v71, s16, v71
	v_lshlrev_b32_e32 v84, 2, v71
	v_ashrrev_i32_e32 v85, 31, v84
	v_lshlrev_b64 v[84:85], 3, v[84:85]
	v_add_co_u32_e32 v94, vcc, s6, v84
	v_addc_co_u32_e32 v95, vcc, v69, v85, vcc
	global_load_dwordx4 v[84:87], v[94:95], off
	global_load_dwordx4 v[88:91], v[94:95], off offset:16
	s_waitcnt vmcnt(19)
	v_xor_b32_e32 v92, 0x80000000, v59
	v_mov_b32_e32 v93, v58
	s_waitcnt vmcnt(18)
	v_xor_b32_e32 v94, 0x80000000, v55
	v_mov_b32_e32 v95, v54
	v_add_co_u32_e32 v82, vcc, 0x100, v82
	s_mov_b64 s[0:1], vcc
	s_waitcnt vmcnt(4)
	v_subrev_u32_e32 v71, s16, v100
	v_add_co_u32_e32 v96, vcc, s7, v76
	v_addc_co_u32_e32 v97, vcc, 0, v77, vcc
	v_add_co_u32_e32 v72, vcc, 64, v72
	v_addc_co_u32_e32 v73, vcc, 0, v73, vcc
	v_addc_co_u32_e64 v83, s[0:1], 0, v83, s[0:1]
	v_cmp_ge_i64_e64 s[0:1], v[72:73], v[74:75]
	s_or_b64 s[12:13], s[0:1], s[12:13]
	s_waitcnt vmcnt(1)
	v_pk_fma_f32 v[58:59], v[58:59], v[84:85], v[78:79] op_sel_hi:[1,0,1]
	v_pk_fma_f32 v[62:63], v[52:53], v[84:85], v[62:63] op_sel_hi:[1,0,1]
	;; [unrolled: 1-line block ×4, first 2 shown]
	v_pk_fma_f32 v[62:63], v[52:53], v[84:85], v[62:63] op_sel:[1,1,0] op_sel_hi:[0,1,1] neg_lo:[1,0,0]
	v_pk_fma_f32 v[58:59], v[92:93], v[84:85], v[58:59] op_sel:[0,1,0]
	v_pk_fma_f32 v[56:57], v[56:57], v[84:85], v[80:81] op_sel:[1,1,0] op_sel_hi:[0,1,1] neg_lo:[1,0,0]
	v_pk_fma_f32 v[60:61], v[94:95], v[84:85], v[60:61] op_sel:[0,1,0]
	v_xor_b32_e32 v84, 0x80000000, v43
	v_mov_b32_e32 v85, v42
	v_pk_fma_f32 v[92:93], v[42:43], v[86:87], v[58:59] op_sel_hi:[1,0,1]
	v_pk_fma_f32 v[58:59], v[36:37], v[86:87], v[62:63] op_sel_hi:[1,0,1]
	v_mov_b32_e32 v62, v87
	v_pk_fma_f32 v[56:57], v[40:41], v[86:87], v[56:57] op_sel_hi:[1,0,1]
	v_pk_fma_f32 v[60:61], v[38:39], v[86:87], v[60:61] op_sel_hi:[1,0,1]
	v_xor_b32_e32 v94, 0x80000000, v39
	v_mov_b32_e32 v95, v38
	v_pk_fma_f32 v[98:99], v[36:37], v[62:63], v[58:59] op_sel:[1,0,0] op_sel_hi:[0,0,1] neg_lo:[1,0,0]
	v_pk_fma_f32 v[36:37], v[84:85], v[62:63], v[92:93] op_sel_hi:[1,0,1]
	v_pk_fma_f32 v[86:87], v[40:41], v[62:63], v[56:57] op_sel:[1,0,0] op_sel_hi:[0,0,1] neg_lo:[1,0,0]
	v_pk_fma_f32 v[84:85], v[94:95], v[62:63], v[60:61] op_sel_hi:[1,0,1]
	v_xor_b32_e32 v92, 0x80000000, v51
	v_mov_b32_e32 v93, v50
	s_waitcnt vmcnt(0)
	v_pk_fma_f32 v[50:51], v[50:51], v[88:89], v[36:37] op_sel_hi:[1,0,1]
	v_pk_fma_f32 v[38:39], v[48:49], v[88:89], v[86:87] op_sel_hi:[1,0,1]
	v_pk_fma_f32 v[50:51], v[92:93], v[88:89], v[50:51] op_sel:[0,1,0]
	v_xor_b32_e32 v86, 0x80000000, v35
	v_mov_b32_e32 v87, v34
	v_pk_fma_f32 v[92:93], v[32:33], v[88:89], v[98:99] op_sel_hi:[1,0,1]
	v_pk_fma_f32 v[84:85], v[34:35], v[88:89], v[84:85] op_sel_hi:[1,0,1]
	v_pk_fma_f32 v[48:49], v[48:49], v[88:89], v[38:39] op_sel:[1,1,0] op_sel_hi:[0,1,1] neg_lo:[1,0,0]
	v_pk_fma_f32 v[92:93], v[32:33], v[88:89], v[92:93] op_sel:[1,1,0] op_sel_hi:[0,1,1] neg_lo:[1,0,0]
	v_pk_fma_f32 v[84:85], v[86:87], v[88:89], v[84:85] op_sel:[0,1,0]
	v_pk_fma_f32 v[48:49], v[28:29], v[90:91], v[48:49] op_sel_hi:[1,0,1]
	v_pk_fma_f32 v[50:51], v[30:31], v[90:91], v[50:51] op_sel_hi:[1,0,1]
	;; [unrolled: 1-line block ×4, first 2 shown]
	v_mov_b32_e32 v90, v91
	v_pk_fma_f32 v[88:89], v[16:17], v[90:91], v[88:89] op_sel:[1,0,0] op_sel_hi:[0,0,1] neg_lo:[1,0,0]
	v_lshlrev_b32_e32 v16, 2, v71
	v_ashrrev_i32_e32 v17, 31, v16
	v_lshlrev_b64 v[16:17], 3, v[16:17]
	v_add_co_u32_e64 v94, s[2:3], s6, v16
	v_xor_b32_e32 v86, 0x80000000, v31
	v_mov_b32_e32 v87, v30
	v_pk_fma_f32 v[92:93], v[28:29], v[90:91], v[48:49] op_sel:[1,0,0] op_sel_hi:[0,0,1] neg_lo:[1,0,0]
	v_xor_b32_e32 v48, 0x80000000, v19
	v_mov_b32_e32 v49, v18
	v_addc_co_u32_e64 v95, s[2:3], v69, v17, s[2:3]
	global_load_dwordx4 v[78:81], v[76:77], off offset:2112
	global_load_dwordx4 v[56:59], v[96:97], off
	global_load_dwordx4 v[52:55], v[96:97], off offset:48
	global_load_dwordx4 v[28:31], v[96:97], off offset:80
	;; [unrolled: 1-line block ×6, first 2 shown]
	v_pk_fma_f32 v[86:87], v[86:87], v[90:91], v[50:51] op_sel_hi:[1,0,1]
	v_pk_fma_f32 v[84:85], v[48:49], v[90:91], v[84:85] op_sel_hi:[1,0,1]
	global_load_dwordx4 v[16:19], v[94:95], off
	global_load_dwordx4 v[48:51], v[94:95], off offset:16
	v_xor_b32_e32 v98, 0x80000000, v23
	v_mov_b32_e32 v99, v22
	v_add_co_u32_e32 v76, vcc, 0x2000, v76
	v_addc_co_u32_e32 v77, vcc, 0, v77, vcc
	v_subrev_u32_e32 v71, s16, v102
	s_waitcnt vmcnt(1)
	v_pk_fma_f32 v[90:91], v[20:21], v[16:17], v[92:93] op_sel_hi:[1,0,1]
	v_pk_fma_f32 v[86:87], v[22:23], v[16:17], v[86:87] op_sel_hi:[1,0,1]
	v_pk_fma_f32 v[90:91], v[20:21], v[16:17], v[90:91] op_sel:[1,1,0] op_sel_hi:[0,1,1] neg_lo:[1,0,0]
	v_xor_b32_e32 v92, 0x80000000, v15
	v_mov_b32_e32 v93, v14
	v_pk_fma_f32 v[20:21], v[12:13], v[16:17], v[88:89] op_sel_hi:[1,0,1]
	v_pk_fma_f32 v[84:85], v[14:15], v[16:17], v[84:85] op_sel_hi:[1,0,1]
	v_pk_fma_f32 v[88:89], v[12:13], v[16:17], v[20:21] op_sel:[1,1,0] op_sel_hi:[0,1,1] neg_lo:[1,0,0]
	v_pk_fma_f32 v[86:87], v[98:99], v[16:17], v[86:87] op_sel:[0,1,0]
	v_pk_fma_f32 v[16:17], v[92:93], v[16:17], v[84:85] op_sel:[0,1,0]
	v_pk_fma_f32 v[90:91], v[4:5], v[18:19], v[90:91] op_sel_hi:[1,0,1]
	v_mov_b32_e32 v94, v19
	v_xor_b32_e32 v84, 0x80000000, v7
	v_mov_b32_e32 v85, v6
	v_pk_fma_f32 v[86:87], v[6:7], v[18:19], v[86:87] op_sel_hi:[1,0,1]
	v_pk_fma_f32 v[88:89], v[0:1], v[18:19], v[88:89] op_sel_hi:[1,0,1]
	;; [unrolled: 1-line block ×3, first 2 shown]
	v_pk_fma_f32 v[90:91], v[4:5], v[94:95], v[90:91] op_sel:[1,0,0] op_sel_hi:[0,0,1] neg_lo:[1,0,0]
	v_xor_b32_e32 v98, 0x80000000, v3
	v_mov_b32_e32 v99, v2
	v_pk_fma_f32 v[0:1], v[0:1], v[94:95], v[88:89] op_sel:[1,0,0] op_sel_hi:[0,0,1] neg_lo:[1,0,0]
	v_pk_fma_f32 v[2:3], v[84:85], v[94:95], v[86:87] op_sel_hi:[1,0,1]
	v_pk_fma_f32 v[88:89], v[98:99], v[94:95], v[92:93] op_sel_hi:[1,0,1]
	s_waitcnt vmcnt(0)
	v_pk_fma_f32 v[90:91], v[78:79], v[48:49], v[90:91] op_sel_hi:[1,0,1]
	v_xor_b32_e32 v92, 0x80000000, v81
	v_mov_b32_e32 v93, v80
	v_pk_fma_f32 v[80:81], v[80:81], v[48:49], v[2:3] op_sel_hi:[1,0,1]
	v_pk_fma_f32 v[78:79], v[78:79], v[48:49], v[90:91] op_sel:[1,1,0] op_sel_hi:[0,1,1] neg_lo:[1,0,0]
	v_xor_b32_e32 v90, 0x80000000, v47
	v_mov_b32_e32 v91, v46
	v_pk_fma_f32 v[0:1], v[44:45], v[48:49], v[0:1] op_sel_hi:[1,0,1]
	v_pk_fma_f32 v[88:89], v[46:47], v[48:49], v[88:89] op_sel_hi:[1,0,1]
	v_pk_fma_f32 v[94:95], v[44:45], v[48:49], v[0:1] op_sel:[1,1,0] op_sel_hi:[0,1,1] neg_lo:[1,0,0]
	v_pk_fma_f32 v[80:81], v[92:93], v[48:49], v[80:81] op_sel:[0,1,0]
	v_pk_fma_f32 v[48:49], v[90:91], v[48:49], v[88:89] op_sel:[0,1,0]
	v_pk_fma_f32 v[78:79], v[24:25], v[50:51], v[78:79] op_sel_hi:[1,0,1]
	v_pk_fma_f32 v[80:81], v[26:27], v[50:51], v[80:81] op_sel_hi:[1,0,1]
	;; [unrolled: 1-line block ×4, first 2 shown]
	v_mov_b32_e32 v50, v51
	v_pk_fma_f32 v[92:93], v[24:25], v[50:51], v[78:79] op_sel:[1,0,0] op_sel_hi:[0,0,1] neg_lo:[1,0,0]
	v_pk_fma_f32 v[90:91], v[8:9], v[50:51], v[90:91] op_sel:[1,0,0] op_sel_hi:[0,0,1] neg_lo:[1,0,0]
	v_subrev_u32_e32 v51, s16, v101
	v_lshlrev_b32_e32 v94, 2, v51
	v_ashrrev_i32_e32 v95, 31, v94
	v_lshlrev_b64 v[94:95], 3, v[94:95]
	v_add_co_u32_e32 v94, vcc, s6, v94
	v_xor_b32_e32 v88, 0x80000000, v27
	v_mov_b32_e32 v89, v26
	v_xor_b32_e32 v78, 0x80000000, v11
	v_mov_b32_e32 v79, v10
	v_addc_co_u32_e32 v95, vcc, v69, v95, vcc
	global_load_dwordx4 v[20:23], v[96:97], off offset:64
	global_load_dwordx4 v[84:87], v[96:97], off offset:2048
	;; [unrolled: 1-line block ×9, first 2 shown]
	v_pk_fma_f32 v[88:89], v[88:89], v[50:51], v[80:81] op_sel_hi:[1,0,1]
	v_pk_fma_f32 v[98:99], v[78:79], v[50:51], v[48:49] op_sel_hi:[1,0,1]
	global_load_dwordx4 v[48:51], v[94:95], off
	global_load_dwordx4 v[78:81], v[94:95], off offset:16
	v_xor_b32_e32 v96, 0x80000000, v59
	v_mov_b32_e32 v97, v58
	v_xor_b32_e32 v94, 0x80000000, v43
	v_mov_b32_e32 v95, v42
	s_waitcnt vmcnt(1)
	v_pk_fma_f32 v[92:93], v[56:57], v[48:49], v[92:93] op_sel_hi:[1,0,1]
	v_pk_fma_f32 v[58:59], v[58:59], v[48:49], v[88:89] op_sel_hi:[1,0,1]
	v_pk_fma_f32 v[88:89], v[56:57], v[48:49], v[92:93] op_sel:[1,1,0] op_sel_hi:[0,1,1] neg_lo:[1,0,0]
	v_lshlrev_b32_e32 v56, 2, v71
	v_ashrrev_i32_e32 v57, 31, v56
	v_pk_fma_f32 v[90:91], v[60:61], v[48:49], v[90:91] op_sel_hi:[1,0,1]
	v_lshlrev_b64 v[56:57], 3, v[56:57]
	v_pk_fma_f32 v[90:91], v[60:61], v[48:49], v[90:91] op_sel:[1,1,0] op_sel_hi:[0,1,1] neg_lo:[1,0,0]
	v_add_co_u32_e32 v60, vcc, s6, v56
	v_addc_co_u32_e32 v61, vcc, v69, v57, vcc
	v_pk_fma_f32 v[96:97], v[96:97], v[48:49], v[58:59] op_sel:[0,1,0]
	global_load_dwordx4 v[56:59], v[60:61], off
	v_xor_b32_e32 v92, 0x80000000, v63
	v_mov_b32_e32 v93, v62
	v_pk_fma_f32 v[62:63], v[62:63], v[48:49], v[98:99] op_sel_hi:[1,0,1]
	v_pk_fma_f32 v[48:49], v[92:93], v[48:49], v[62:63] op_sel:[0,1,0]
	global_load_dwordx4 v[60:63], v[60:61], off offset:16
	v_pk_fma_f32 v[88:89], v[40:41], v[50:51], v[88:89] op_sel_hi:[1,0,1]
	v_pk_fma_f32 v[42:43], v[42:43], v[50:51], v[96:97] op_sel_hi:[1,0,1]
	;; [unrolled: 1-line block ×4, first 2 shown]
	v_mov_b32_e32 v50, v51
	v_xor_b32_e32 v92, 0x80000000, v55
	v_mov_b32_e32 v93, v54
	v_pk_fma_f32 v[40:41], v[40:41], v[50:51], v[88:89] op_sel:[1,0,0] op_sel_hi:[0,0,1] neg_lo:[1,0,0]
	v_pk_fma_f32 v[52:53], v[52:53], v[50:51], v[90:91] op_sel:[1,0,0] op_sel_hi:[0,0,1] neg_lo:[1,0,0]
	v_pk_fma_f32 v[42:43], v[94:95], v[50:51], v[42:43] op_sel_hi:[1,0,1]
	v_pk_fma_f32 v[48:49], v[92:93], v[50:51], v[48:49] op_sel_hi:[1,0,1]
	v_xor_b32_e32 v54, 0x80000000, v23
	v_xor_b32_e32 v88, 0x80000000, v31
	v_mov_b32_e32 v55, v22
	v_mov_b32_e32 v89, v30
	s_waitcnt vmcnt(2)
	v_pk_fma_f32 v[40:41], v[20:21], v[78:79], v[40:41] op_sel_hi:[1,0,1]
	v_pk_fma_f32 v[22:23], v[22:23], v[78:79], v[42:43] op_sel_hi:[1,0,1]
	;; [unrolled: 1-line block ×4, first 2 shown]
	v_pk_fma_f32 v[20:21], v[20:21], v[78:79], v[40:41] op_sel:[1,1,0] op_sel_hi:[0,1,1] neg_lo:[1,0,0]
	v_pk_fma_f32 v[28:29], v[28:29], v[78:79], v[52:53] op_sel:[1,1,0] op_sel_hi:[0,1,1] neg_lo:[1,0,0]
	v_pk_fma_f32 v[22:23], v[54:55], v[78:79], v[22:23] op_sel:[0,1,0]
	v_pk_fma_f32 v[30:31], v[88:89], v[78:79], v[30:31] op_sel:[0,1,0]
	v_xor_b32_e32 v90, 0x80000000, v35
	v_mov_b32_e32 v91, v34
	v_xor_b32_e32 v40, 0x80000000, v39
	v_mov_b32_e32 v41, v38
	v_mov_b32_e32 v78, v81
	v_pk_fma_f32 v[20:21], v[32:33], v[80:81], v[20:21] op_sel_hi:[1,0,1]
	v_pk_fma_f32 v[22:23], v[34:35], v[80:81], v[22:23] op_sel_hi:[1,0,1]
	;; [unrolled: 1-line block ×4, first 2 shown]
	v_pk_fma_f32 v[20:21], v[32:33], v[78:79], v[20:21] op_sel:[1,0,0] op_sel_hi:[0,0,1] neg_lo:[1,0,0]
	v_pk_fma_f32 v[22:23], v[90:91], v[78:79], v[22:23] op_sel_hi:[1,0,1]
	v_pk_fma_f32 v[28:29], v[36:37], v[78:79], v[28:29] op_sel:[1,0,0] op_sel_hi:[0,0,1] neg_lo:[1,0,0]
	v_pk_fma_f32 v[30:31], v[40:41], v[78:79], v[30:31] op_sel_hi:[1,0,1]
	v_xor_b32_e32 v96, 0x80000000, v87
	v_mov_b32_e32 v97, v86
	v_xor_b32_e32 v42, 0x80000000, v19
	v_mov_b32_e32 v43, v18
	;; [unrolled: 2-line block ×8, first 2 shown]
	s_waitcnt vmcnt(1)
	v_pk_fma_f32 v[20:21], v[84:85], v[56:57], v[20:21] op_sel_hi:[1,0,1]
	v_pk_fma_f32 v[22:23], v[86:87], v[56:57], v[22:23] op_sel_hi:[1,0,1]
	;; [unrolled: 1-line block ×4, first 2 shown]
	v_pk_fma_f32 v[20:21], v[84:85], v[56:57], v[20:21] op_sel:[1,1,0] op_sel_hi:[0,1,1] neg_lo:[1,0,0]
	v_pk_fma_f32 v[22:23], v[96:97], v[56:57], v[22:23] op_sel:[0,1,0]
	v_pk_fma_f32 v[16:17], v[16:17], v[56:57], v[28:29] op_sel:[1,1,0] op_sel_hi:[0,1,1] neg_lo:[1,0,0]
	v_pk_fma_f32 v[18:19], v[42:43], v[56:57], v[18:19] op_sel:[0,1,0]
	v_mov_b32_e32 v34, v59
	v_pk_fma_f32 v[20:21], v[4:5], v[58:59], v[20:21] op_sel_hi:[1,0,1]
	v_pk_fma_f32 v[6:7], v[6:7], v[58:59], v[22:23] op_sel_hi:[1,0,1]
	;; [unrolled: 1-line block ×4, first 2 shown]
	v_pk_fma_f32 v[4:5], v[4:5], v[34:35], v[20:21] op_sel:[1,0,0] op_sel_hi:[0,0,1] neg_lo:[1,0,0]
	v_pk_fma_f32 v[6:7], v[94:95], v[34:35], v[6:7] op_sel_hi:[1,0,1]
	v_pk_fma_f32 v[12:13], v[12:13], v[34:35], v[16:17] op_sel:[1,0,0] op_sel_hi:[0,0,1] neg_lo:[1,0,0]
	v_pk_fma_f32 v[14:15], v[48:49], v[34:35], v[14:15] op_sel_hi:[1,0,1]
	s_waitcnt vmcnt(0)
	v_pk_fma_f32 v[4:5], v[8:9], v[60:61], v[4:5] op_sel_hi:[1,0,1]
	v_pk_fma_f32 v[6:7], v[10:11], v[60:61], v[6:7] op_sel_hi:[1,0,1]
	;; [unrolled: 1-line block ×4, first 2 shown]
	v_pk_fma_f32 v[4:5], v[8:9], v[60:61], v[4:5] op_sel:[1,1,0] op_sel_hi:[0,1,1] neg_lo:[1,0,0]
	v_pk_fma_f32 v[6:7], v[50:51], v[60:61], v[6:7] op_sel:[0,1,0]
	v_pk_fma_f32 v[8:9], v[24:25], v[60:61], v[10:11] op_sel:[1,1,0] op_sel_hi:[0,1,1] neg_lo:[1,0,0]
	v_pk_fma_f32 v[10:11], v[52:53], v[60:61], v[12:13] op_sel:[0,1,0]
	v_mov_b32_e32 v38, v63
	v_pk_fma_f32 v[4:5], v[44:45], v[62:63], v[4:5] op_sel_hi:[1,0,1]
	v_pk_fma_f32 v[6:7], v[46:47], v[62:63], v[6:7] op_sel_hi:[1,0,1]
	;; [unrolled: 1-line block ×4, first 2 shown]
	v_pk_fma_f32 v[80:81], v[44:45], v[38:39], v[4:5] op_sel:[1,0,0] op_sel_hi:[0,0,1] neg_lo:[1,0,0]
	v_pk_fma_f32 v[78:79], v[92:93], v[38:39], v[6:7] op_sel_hi:[1,0,1]
	v_pk_fma_f32 v[62:63], v[0:1], v[38:39], v[8:9] op_sel:[1,0,0] op_sel_hi:[0,0,1] neg_lo:[1,0,0]
	v_pk_fma_f32 v[60:61], v[54:55], v[38:39], v[2:3] op_sel_hi:[1,0,1]
	s_andn2_b64 exec, exec, s[12:13]
	s_cbranch_execnz .LBB32_39
; %bb.40:
	s_or_b64 exec, exec, s[12:13]
.LBB32_41:
	s_or_b64 exec, exec, s[10:11]
.LBB32_42:
	s_or_b64 exec, exec, s[8:9]
.LBB32_43:
	v_mov_b32_dpp v6, v79 row_shr:1 row_mask:0xf bank_mask:0xf
	v_add_f32_e32 v6, v79, v6
	v_mov_b32_dpp v0, v80 row_shr:1 row_mask:0xf bank_mask:0xf
	v_mov_b32_dpp v2, v81 row_shr:1 row_mask:0xf bank_mask:0xf
	;; [unrolled: 1-line block ×3, first 2 shown]
	v_add_f32_e32 v6, v6, v7
	v_mov_b32_dpp v4, v78 row_shr:1 row_mask:0xf bank_mask:0xf
	v_add_f32_e32 v0, v80, v0
	v_mov_b32_dpp v7, v6 row_shr:4 row_mask:0xf bank_mask:0xe
	;; [unrolled: 2-line block ×3, first 2 shown]
	v_add_f32_e32 v6, v62, v6
	v_add_f32_e32 v2, v81, v2
	;; [unrolled: 1-line block ×3, first 2 shown]
	v_mov_b32_dpp v8, v6 row_shr:2 row_mask:0xf bank_mask:0xf
	v_add_f32_e32 v6, v6, v8
	v_mov_b32_dpp v1, v0 row_shr:2 row_mask:0xf bank_mask:0xf
	v_mov_b32_dpp v3, v2 row_shr:2 row_mask:0xf bank_mask:0xf
	;; [unrolled: 1-line block ×3, first 2 shown]
	v_add_f32_e32 v10, v6, v8
	v_mov_b32_dpp v6, v63 row_shr:1 row_mask:0xf bank_mask:0xf
	v_add_f32_e32 v6, v63, v6
	v_mov_b32_dpp v5, v4 row_shr:2 row_mask:0xf bank_mask:0xf
	v_add_f32_e32 v0, v0, v1
	v_mov_b32_dpp v8, v6 row_shr:2 row_mask:0xf bank_mask:0xf
	v_add_f32_e32 v6, v6, v8
	v_add_f32_e32 v2, v2, v3
	;; [unrolled: 1-line block ×3, first 2 shown]
	v_mov_b32_dpp v8, v6 row_shr:4 row_mask:0xf bank_mask:0xe
	v_add_f32_e32 v13, v6, v8
	v_mov_b32_dpp v6, v60 row_shr:1 row_mask:0xf bank_mask:0xf
	v_add_f32_e32 v6, v60, v6
	v_mov_b32_dpp v1, v0 row_shr:4 row_mask:0xf bank_mask:0xe
	v_mov_b32_dpp v3, v2 row_shr:4 row_mask:0xf bank_mask:0xe
	;; [unrolled: 1-line block ×3, first 2 shown]
	v_add_f32_e32 v6, v6, v8
	v_mov_b32_dpp v5, v4 row_shr:4 row_mask:0xf bank_mask:0xe
	v_add_f32_e32 v0, v0, v1
	v_mov_b32_dpp v8, v6 row_shr:4 row_mask:0xf bank_mask:0xe
	;; [unrolled: 2-line block ×3, first 2 shown]
	v_add_f32_e32 v6, v61, v6
	v_add_f32_e32 v2, v2, v3
	;; [unrolled: 1-line block ×3, first 2 shown]
	v_mov_b32_dpp v8, v6 row_shr:2 row_mask:0xf bank_mask:0xf
	v_add_f32_e32 v6, v6, v8
	v_mov_b32_dpp v1, v0 row_shr:8 row_mask:0xf bank_mask:0xc
	v_mov_b32_dpp v3, v2 row_shr:8 row_mask:0xf bank_mask:0xc
	;; [unrolled: 1-line block ×3, first 2 shown]
	v_add_f32_e32 v18, v6, v8
	v_mov_b32_dpp v5, v4 row_shr:8 row_mask:0xf bank_mask:0xc
	v_mov_b32_dpp v9, v7 row_shr:8 row_mask:0xf bank_mask:0xc
	;; [unrolled: 1-line block ×6, first 2 shown]
	v_cmp_eq_u32_e32 vcc, 15, v70
	s_and_b64 exec, exec, vcc
	s_cbranch_execz .LBB32_14
; %bb.44:
	s_load_dwordx2 s[2:3], s[4:5], 0x50
	v_add_f32_e32 v8, v0, v1
	v_and_b32_e32 v1, 0x7fffffff, v66
	v_cmp_eq_u32_e32 vcc, 0, v1
	v_cmp_eq_f32_e64 s[0:1], 0, v67
	v_add_f32_e32 v14, v2, v3
	v_add_f32_e32 v6, v4, v5
	;; [unrolled: 1-line block ×7, first 2 shown]
	s_and_b64 s[0:1], vcc, s[0:1]
	v_lshlrev_b32_e32 v16, 2, v68
	s_and_saveexec_b64 s[4:5], s[0:1]
	s_xor_b64 s[0:1], exec, s[4:5]
	s_cbranch_execz .LBB32_46
; %bb.45:
	v_xor_b32_e32 v18, 0x80000000, v65
	v_ashrrev_i32_e32 v17, 31, v16
	v_mov_b32_e32 v19, v64
	v_lshlrev_b64 v[16:17], 3, v[16:17]
	v_pk_mul_f32 v[14:15], v[14:15], v[18:19] op_sel_hi:[0,1]
	s_waitcnt lgkmcnt(0)
	v_mov_b32_e32 v1, s3
	v_add_co_u32_e32 v20, vcc, s2, v16
	v_pk_fma_f32 v[14:15], v[64:65], v[8:9], v[14:15] op_sel_hi:[1,0,1]
	v_pk_mul_f32 v[8:9], v[12:13], v[18:19] op_sel_hi:[0,1]
	v_addc_co_u32_e32 v21, vcc, v1, v17, vcc
	v_pk_fma_f32 v[16:17], v[64:65], v[6:7], v[8:9] op_sel_hi:[1,0,1]
	v_pk_mul_f32 v[6:7], v[10:11], v[18:19] op_sel_hi:[0,1]
	v_pk_mul_f32 v[4:5], v[4:5], v[18:19] op_sel_hi:[0,1]
	v_pk_fma_f32 v[2:3], v[64:65], v[2:3], v[6:7] op_sel_hi:[1,0,1]
	v_pk_fma_f32 v[4:5], v[64:65], v[0:1], v[4:5] op_sel_hi:[1,0,1]
	global_store_dwordx4 v[20:21], v[14:17], off
	global_store_dwordx4 v[20:21], v[2:5], off offset:16
                                        ; implicit-def: $vgpr65
                                        ; implicit-def: $vgpr66
                                        ; implicit-def: $vgpr8
                                        ; implicit-def: $vgpr14
                                        ; implicit-def: $vgpr6
                                        ; implicit-def: $vgpr12
                                        ; implicit-def: $vgpr2
                                        ; implicit-def: $vgpr10
                                        ; implicit-def: $vgpr0
                                        ; implicit-def: $vgpr4
                                        ; implicit-def: $vgpr16
.LBB32_46:
	s_andn2_saveexec_b64 s[0:1], s[0:1]
	s_cbranch_execz .LBB32_14
; %bb.47:
	v_ashrrev_i32_e32 v17, 31, v16
	v_lshlrev_b64 v[16:17], 3, v[16:17]
	s_waitcnt lgkmcnt(0)
	v_mov_b32_e32 v1, s3
	v_add_co_u32_e32 v24, vcc, s2, v16
	v_addc_co_u32_e32 v25, vcc, v1, v17, vcc
	global_load_dwordx4 v[16:19], v[24:25], off
	global_load_dwordx4 v[20:23], v[24:25], off offset:16
	v_xor_b32_e32 v26, 0x80000000, v65
	v_mov_b32_e32 v27, v64
	v_pk_mul_f32 v[14:15], v[14:15], v[26:27] op_sel_hi:[0,1]
	v_pk_mul_f32 v[12:13], v[12:13], v[26:27] op_sel_hi:[0,1]
	;; [unrolled: 1-line block ×4, first 2 shown]
	v_pk_fma_f32 v[8:9], v[64:65], v[8:9], v[14:15] op_sel_hi:[1,0,1]
	v_pk_fma_f32 v[6:7], v[64:65], v[6:7], v[12:13] op_sel_hi:[1,0,1]
	v_xor_b32_e32 v28, 0x80000000, v67
	v_mov_b32_e32 v29, v66
	v_pk_fma_f32 v[2:3], v[64:65], v[2:3], v[10:11] op_sel_hi:[1,0,1]
	v_pk_fma_f32 v[0:1], v[64:65], v[0:1], v[4:5] op_sel_hi:[1,0,1]
	s_waitcnt vmcnt(1)
	v_pk_fma_f32 v[4:5], v[66:67], v[16:17], v[8:9] op_sel_hi:[1,0,1]
	v_pk_fma_f32 v[6:7], v[66:67], v[18:19], v[6:7] op_sel_hi:[1,0,1]
	v_mov_b32_e32 v8, v19
	s_waitcnt vmcnt(0)
	v_pk_fma_f32 v[10:11], v[66:67], v[20:21], v[2:3] op_sel_hi:[1,0,1]
	v_pk_fma_f32 v[12:13], v[66:67], v[22:23], v[0:1] op_sel_hi:[1,0,1]
	v_mov_b32_e32 v14, v23
	v_pk_fma_f32 v[0:1], v[28:29], v[16:17], v[4:5] op_sel:[0,1,0]
	v_pk_fma_f32 v[2:3], v[28:29], v[8:9], v[6:7] op_sel_hi:[1,0,1]
	v_pk_fma_f32 v[4:5], v[28:29], v[20:21], v[10:11] op_sel:[0,1,0]
	v_pk_fma_f32 v[6:7], v[28:29], v[14:15], v[12:13] op_sel_hi:[1,0,1]
	global_store_dwordx4 v[24:25], v[0:3], off
	global_store_dwordx4 v[24:25], v[4:7], off offset:16
	s_endpgm
	.section	.rodata,"a",@progbits
	.p2align	6, 0x0
	.amdhsa_kernel _ZN9rocsparseL18bsrxmvn_4x4_kernelILj128ELj16E21rocsparse_complex_numIfEliS2_S2_S2_EEvT3_20rocsparse_direction_NS_24const_host_device_scalarIT1_EES3_PKS3_PKT2_SC_S9_PKT4_PKT5_S7_PT6_21rocsparse_index_base_b
		.amdhsa_group_segment_fixed_size 0
		.amdhsa_private_segment_fixed_size 0
		.amdhsa_kernarg_size 96
		.amdhsa_user_sgpr_count 6
		.amdhsa_user_sgpr_private_segment_buffer 1
		.amdhsa_user_sgpr_dispatch_ptr 0
		.amdhsa_user_sgpr_queue_ptr 0
		.amdhsa_user_sgpr_kernarg_segment_ptr 1
		.amdhsa_user_sgpr_dispatch_id 0
		.amdhsa_user_sgpr_flat_scratch_init 0
		.amdhsa_user_sgpr_kernarg_preload_length 0
		.amdhsa_user_sgpr_kernarg_preload_offset 0
		.amdhsa_user_sgpr_private_segment_size 0
		.amdhsa_uses_dynamic_stack 0
		.amdhsa_system_sgpr_private_segment_wavefront_offset 0
		.amdhsa_system_sgpr_workgroup_id_x 1
		.amdhsa_system_sgpr_workgroup_id_y 0
		.amdhsa_system_sgpr_workgroup_id_z 0
		.amdhsa_system_sgpr_workgroup_info 0
		.amdhsa_system_vgpr_workitem_id 0
		.amdhsa_next_free_vgpr 103
		.amdhsa_next_free_sgpr 19
		.amdhsa_accum_offset 104
		.amdhsa_reserve_vcc 1
		.amdhsa_reserve_flat_scratch 0
		.amdhsa_float_round_mode_32 0
		.amdhsa_float_round_mode_16_64 0
		.amdhsa_float_denorm_mode_32 3
		.amdhsa_float_denorm_mode_16_64 3
		.amdhsa_dx10_clamp 1
		.amdhsa_ieee_mode 1
		.amdhsa_fp16_overflow 0
		.amdhsa_tg_split 0
		.amdhsa_exception_fp_ieee_invalid_op 0
		.amdhsa_exception_fp_denorm_src 0
		.amdhsa_exception_fp_ieee_div_zero 0
		.amdhsa_exception_fp_ieee_overflow 0
		.amdhsa_exception_fp_ieee_underflow 0
		.amdhsa_exception_fp_ieee_inexact 0
		.amdhsa_exception_int_div_zero 0
	.end_amdhsa_kernel
	.section	.text._ZN9rocsparseL18bsrxmvn_4x4_kernelILj128ELj16E21rocsparse_complex_numIfEliS2_S2_S2_EEvT3_20rocsparse_direction_NS_24const_host_device_scalarIT1_EES3_PKS3_PKT2_SC_S9_PKT4_PKT5_S7_PT6_21rocsparse_index_base_b,"axG",@progbits,_ZN9rocsparseL18bsrxmvn_4x4_kernelILj128ELj16E21rocsparse_complex_numIfEliS2_S2_S2_EEvT3_20rocsparse_direction_NS_24const_host_device_scalarIT1_EES3_PKS3_PKT2_SC_S9_PKT4_PKT5_S7_PT6_21rocsparse_index_base_b,comdat
.Lfunc_end32:
	.size	_ZN9rocsparseL18bsrxmvn_4x4_kernelILj128ELj16E21rocsparse_complex_numIfEliS2_S2_S2_EEvT3_20rocsparse_direction_NS_24const_host_device_scalarIT1_EES3_PKS3_PKT2_SC_S9_PKT4_PKT5_S7_PT6_21rocsparse_index_base_b, .Lfunc_end32-_ZN9rocsparseL18bsrxmvn_4x4_kernelILj128ELj16E21rocsparse_complex_numIfEliS2_S2_S2_EEvT3_20rocsparse_direction_NS_24const_host_device_scalarIT1_EES3_PKS3_PKT2_SC_S9_PKT4_PKT5_S7_PT6_21rocsparse_index_base_b
                                        ; -- End function
	.section	.AMDGPU.csdata,"",@progbits
; Kernel info:
; codeLenInByte = 7260
; NumSgprs: 23
; NumVgprs: 103
; NumAgprs: 0
; TotalNumVgprs: 103
; ScratchSize: 0
; MemoryBound: 0
; FloatMode: 240
; IeeeMode: 1
; LDSByteSize: 0 bytes/workgroup (compile time only)
; SGPRBlocks: 2
; VGPRBlocks: 12
; NumSGPRsForWavesPerEU: 23
; NumVGPRsForWavesPerEU: 103
; AccumOffset: 104
; Occupancy: 4
; WaveLimiterHint : 1
; COMPUTE_PGM_RSRC2:SCRATCH_EN: 0
; COMPUTE_PGM_RSRC2:USER_SGPR: 6
; COMPUTE_PGM_RSRC2:TRAP_HANDLER: 0
; COMPUTE_PGM_RSRC2:TGID_X_EN: 1
; COMPUTE_PGM_RSRC2:TGID_Y_EN: 0
; COMPUTE_PGM_RSRC2:TGID_Z_EN: 0
; COMPUTE_PGM_RSRC2:TIDIG_COMP_CNT: 0
; COMPUTE_PGM_RSRC3_GFX90A:ACCUM_OFFSET: 25
; COMPUTE_PGM_RSRC3_GFX90A:TG_SPLIT: 0
	.section	.text._ZN9rocsparseL18bsrxmvn_4x4_kernelILj128ELj32E21rocsparse_complex_numIfEliS2_S2_S2_EEvT3_20rocsparse_direction_NS_24const_host_device_scalarIT1_EES3_PKS3_PKT2_SC_S9_PKT4_PKT5_S7_PT6_21rocsparse_index_base_b,"axG",@progbits,_ZN9rocsparseL18bsrxmvn_4x4_kernelILj128ELj32E21rocsparse_complex_numIfEliS2_S2_S2_EEvT3_20rocsparse_direction_NS_24const_host_device_scalarIT1_EES3_PKS3_PKT2_SC_S9_PKT4_PKT5_S7_PT6_21rocsparse_index_base_b,comdat
	.globl	_ZN9rocsparseL18bsrxmvn_4x4_kernelILj128ELj32E21rocsparse_complex_numIfEliS2_S2_S2_EEvT3_20rocsparse_direction_NS_24const_host_device_scalarIT1_EES3_PKS3_PKT2_SC_S9_PKT4_PKT5_S7_PT6_21rocsparse_index_base_b ; -- Begin function _ZN9rocsparseL18bsrxmvn_4x4_kernelILj128ELj32E21rocsparse_complex_numIfEliS2_S2_S2_EEvT3_20rocsparse_direction_NS_24const_host_device_scalarIT1_EES3_PKS3_PKT2_SC_S9_PKT4_PKT5_S7_PT6_21rocsparse_index_base_b
	.p2align	8
	.type	_ZN9rocsparseL18bsrxmvn_4x4_kernelILj128ELj32E21rocsparse_complex_numIfEliS2_S2_S2_EEvT3_20rocsparse_direction_NS_24const_host_device_scalarIT1_EES3_PKS3_PKT2_SC_S9_PKT4_PKT5_S7_PT6_21rocsparse_index_base_b,@function
_ZN9rocsparseL18bsrxmvn_4x4_kernelILj128ELj32E21rocsparse_complex_numIfEliS2_S2_S2_EEvT3_20rocsparse_direction_NS_24const_host_device_scalarIT1_EES3_PKS3_PKT2_SC_S9_PKT4_PKT5_S7_PT6_21rocsparse_index_base_b: ; @_ZN9rocsparseL18bsrxmvn_4x4_kernelILj128ELj32E21rocsparse_complex_numIfEliS2_S2_S2_EEvT3_20rocsparse_direction_NS_24const_host_device_scalarIT1_EES3_PKS3_PKT2_SC_S9_PKT4_PKT5_S7_PT6_21rocsparse_index_base_b
; %bb.0:
	s_load_dwordx2 s[16:17], s[4:5], 0x58
	s_load_dwordx2 s[8:9], s[4:5], 0x8
	;; [unrolled: 1-line block ×3, first 2 shown]
	s_waitcnt lgkmcnt(0)
	s_bitcmp1_b32 s17, 0
	s_cselect_b64 s[0:1], -1, 0
	s_xor_b64 s[10:11], s[0:1], -1
	s_and_b64 vcc, exec, s[0:1]
	v_mov_b32_e32 v52, s8
	s_cbranch_vccnz .LBB33_2
; %bb.1:
	v_pk_mov_b32 v[2:3], s[8:9], s[8:9] op_sel:[0,1]
	flat_load_dword v52, v[2:3]
.LBB33_2:
	v_cndmask_b32_e64 v1, 0, 1, s[10:11]
	v_cmp_ne_u32_e64 s[0:1], 1, v1
	s_andn2_b64 vcc, exec, s[10:11]
	v_mov_b32_e32 v53, s9
	s_cbranch_vccz .LBB33_15
; %bb.3:
	s_and_b64 vcc, exec, s[0:1]
	v_mov_b32_e32 v54, s2
	s_cbranch_vccz .LBB33_16
.LBB33_4:
	s_and_b64 vcc, exec, s[0:1]
	v_mov_b32_e32 v55, s3
	s_cbranch_vccnz .LBB33_6
.LBB33_5:
	v_pk_mov_b32 v[2:3], s[2:3], s[2:3] op_sel:[0,1]
	flat_load_dword v55, v[2:3] offset:4
.LBB33_6:
	s_waitcnt vmcnt(0) lgkmcnt(0)
	v_and_b32_e32 v1, 0x7fffffff, v52
	v_cmp_eq_u32_e32 vcc, 0, v1
	v_cmp_eq_f32_e64 s[0:1], 0, v53
	s_and_b64 s[8:9], vcc, s[0:1]
	s_mov_b64 s[0:1], -1
	s_and_saveexec_b64 s[2:3], s[8:9]
; %bb.7:
	v_and_b32_e32 v1, 0x7fffffff, v55
	v_cmp_neq_f32_e32 vcc, 1.0, v54
	v_cmp_ne_u32_e64 s[0:1], 0, v1
	s_or_b64 s[0:1], vcc, s[0:1]
	s_orn2_b64 s[0:1], s[0:1], exec
; %bb.8:
	s_or_b64 exec, exec, s[2:3]
	s_and_saveexec_b64 s[2:3], s[0:1]
	s_cbranch_execz .LBB33_14
; %bb.9:
	s_load_dwordx2 s[8:9], s[4:5], 0x18
	s_load_dwordx2 s[0:1], s[4:5], 0x0
	v_lshrrev_b32_e32 v1, 5, v0
	v_lshl_or_b32 v56, s6, 2, v1
	s_mov_b64 s[2:3], 0
	s_waitcnt lgkmcnt(0)
	s_cmp_lg_u64 s[8:9], 0
	s_cbranch_scc0 .LBB33_17
; %bb.10:
	s_load_dword s6, s[4:5], 0x10
                                        ; implicit-def: $vgpr1
	s_waitcnt lgkmcnt(0)
	v_cmp_gt_i32_e32 vcc, s6, v56
	s_and_saveexec_b64 s[6:7], vcc
	s_xor_b64 s[6:7], exec, s[6:7]
	s_cbranch_execz .LBB33_12
; %bb.11:
	v_ashrrev_i32_e32 v57, 31, v56
	v_lshlrev_b64 v[2:3], 2, v[56:57]
	v_mov_b32_e32 v1, s9
	v_add_co_u32_e32 v2, vcc, s8, v2
	v_addc_co_u32_e32 v3, vcc, v1, v3, vcc
	global_load_dword v1, v[2:3], off
	s_mov_b64 s[2:3], exec
	s_waitcnt vmcnt(0)
	v_subrev_u32_e32 v1, s16, v1
.LBB33_12:
	s_or_b64 exec, exec, s[6:7]
	s_branch .LBB33_18
.LBB33_13:
	v_cmp_gt_i32_e32 vcc, s0, v56
	s_andn2_b64 s[2:3], s[2:3], exec
	s_and_b64 s[6:7], vcc, exec
	s_or_b64 s[2:3], s[2:3], s[6:7]
	s_and_b64 exec, exec, s[2:3]
	s_cbranch_execnz .LBB33_19
.LBB33_14:
	s_endpgm
.LBB33_15:
	v_pk_mov_b32 v[2:3], s[8:9], s[8:9] op_sel:[0,1]
	flat_load_dword v53, v[2:3] offset:4
	s_and_b64 vcc, exec, s[0:1]
	v_mov_b32_e32 v54, s2
	s_cbranch_vccnz .LBB33_4
.LBB33_16:
	v_pk_mov_b32 v[2:3], s[2:3], s[2:3] op_sel:[0,1]
	flat_load_dword v54, v[2:3]
	s_and_b64 vcc, exec, s[0:1]
	v_mov_b32_e32 v55, s3
	s_cbranch_vccz .LBB33_5
	s_branch .LBB33_6
.LBB33_17:
                                        ; implicit-def: $vgpr1
	s_cbranch_execnz .LBB33_13
.LBB33_18:
	v_mov_b32_e32 v56, v1
	s_and_b64 exec, exec, s[2:3]
	s_cbranch_execz .LBB33_14
.LBB33_19:
	s_load_dwordx8 s[8:15], s[4:5], 0x20
	v_ashrrev_i32_e32 v57, 31, v56
	v_lshlrev_b64 v[2:3], 3, v[56:57]
	v_and_b32_e32 v58, 31, v0
	s_load_dwordx2 s[6:7], s[4:5], 0x40
	s_waitcnt lgkmcnt(0)
	v_mov_b32_e32 v1, s9
	v_add_co_u32_e32 v4, vcc, s8, v2
	v_addc_co_u32_e32 v5, vcc, v1, v3, vcc
	v_add_co_u32_e32 v1, vcc, 8, v4
	global_load_dwordx2 v[28:29], v[4:5], off
	v_addc_co_u32_e32 v4, vcc, 0, v5, vcc
	v_mov_b32_e32 v5, s11
	v_add_co_u32_e32 v2, vcc, s10, v2
	s_cmp_eq_u64 s[10:11], 0
	v_addc_co_u32_e32 v3, vcc, v5, v3, vcc
	s_cselect_b64 vcc, -1, 0
	v_cndmask_b32_e32 v3, v3, v4, vcc
	v_cndmask_b32_e32 v2, v2, v1, vcc
	global_load_dwordx2 v[2:3], v[2:3], off
	v_mov_b32_e32 v4, s15
	s_mov_b32 s17, 0
	v_mov_b32_e32 v51, 0
	s_cmp_eq_u32 s1, 1
	s_waitcnt vmcnt(1)
	v_subrev_co_u32_e32 v0, vcc, s16, v28
	v_subbrev_co_u32_e32 v1, vcc, 0, v29, vcc
	v_add_co_u32_e32 v60, vcc, v0, v58
	v_addc_co_u32_e32 v61, vcc, 0, v1, vcc
	v_lshlrev_b64 v[0:1], 7, v[60:61]
	s_waitcnt vmcnt(0)
	v_subrev_co_u32_e32 v62, vcc, s16, v2
	v_subbrev_co_u32_e32 v63, vcc, 0, v3, vcc
	v_add_co_u32_e32 v64, vcc, s14, v0
	v_addc_co_u32_e32 v65, vcc, v4, v1, vcc
	v_cmp_lt_i64_e64 s[0:1], v[60:61], v[62:63]
	s_cbranch_scc1 .LBB33_31
; %bb.20:
	v_mov_b32_e32 v50, 0
	v_mov_b32_e32 v45, 0
	;; [unrolled: 1-line block ×7, first 2 shown]
	s_and_saveexec_b64 s[8:9], s[0:1]
	s_cbranch_execz .LBB33_30
; %bb.21:
	v_or_b32_e32 v0, 32, v58
	v_mov_b32_e32 v1, s17
	v_subrev_co_u32_e32 v0, vcc, s16, v0
	v_subb_co_u32_e32 v1, vcc, 0, v1, vcc
	v_add_co_u32_e32 v0, vcc, v0, v28
	v_addc_co_u32_e32 v1, vcc, v1, v29, vcc
	v_cmp_gt_i64_e32 vcc, v[0:1], v[62:63]
	v_cndmask_b32_e32 v1, v63, v1, vcc
	v_cndmask_b32_e32 v0, v62, v0, vcc
	v_mov_b32_e32 v4, s17
	v_sub_co_u32_e32 v5, vcc, s16, v58
	v_not_b32_e32 v3, v28
	v_subbrev_co_u32_e32 v4, vcc, 0, v4, vcc
	v_not_b32_e32 v2, v29
	v_add_co_u32_e32 v3, vcc, v5, v3
	v_addc_co_u32_e32 v2, vcc, v4, v2, vcc
	v_add_co_u32_e32 v0, vcc, v3, v0
	v_addc_co_u32_e32 v1, vcc, v2, v1, vcc
	v_lshrrev_b32_e32 v2, 5, v0
	v_add_u32_e32 v2, 1, v2
	v_and_b32_e32 v2, 3, v2
	v_mov_b32_e32 v49, 0
	v_cmp_ne_u32_e32 vcc, 0, v2
	v_mov_b32_e32 v48, v49
	v_mov_b32_e32 v47, v49
	v_mov_b32_e32 v46, v49
	v_mov_b32_e32 v45, v49
	v_mov_b32_e32 v44, v49
	v_mov_b32_e32 v50, v49
	v_mov_b32_e32 v51, v49
	v_pk_mov_b32 v[30:31], v[64:65], v[64:65] op_sel:[0,1]
	v_pk_mov_b32 v[32:33], v[60:61], v[60:61] op_sel:[0,1]
	s_and_saveexec_b64 s[10:11], vcc
	s_cbranch_execz .LBB33_25
; %bb.22:
	v_lshlrev_b64 v[4:5], 2, v[60:61]
	v_mov_b32_e32 v3, 0
	v_mov_b32_e32 v6, s13
	v_add_co_u32_e32 v4, vcc, s12, v4
	v_addc_co_u32_e32 v5, vcc, v6, v5, vcc
	v_lshlrev_b32_e32 v2, 2, v2
	s_mov_b64 s[14:15], 0
	s_movk_i32 s18, 0x1000
	v_mov_b32_e32 v6, s7
	v_pk_mov_b32 v[32:33], v[60:61], v[60:61] op_sel:[0,1]
	v_pk_mov_b32 v[30:31], v[64:65], v[64:65] op_sel:[0,1]
	v_mov_b32_e32 v48, v3
	v_mov_b32_e32 v49, v3
	;; [unrolled: 1-line block ×8, first 2 shown]
.LBB33_23:                              ; =>This Inner Loop Header: Depth=1
	global_load_dword v7, v[4:5], off
	global_load_dwordx4 v[8:11], v[30:31], off
	global_load_dwordx4 v[12:15], v[30:31], off offset:16
	global_load_dwordx4 v[16:19], v[30:31], off offset:48
	global_load_dwordx4 v[20:23], v[30:31], off offset:32
	global_load_dwordx4 v[24:27], v[30:31], off offset:112
	global_load_dwordx4 v[34:37], v[30:31], off offset:96
	global_load_dwordx4 v[38:41], v[30:31], off offset:80
	global_load_dwordx4 v[66:69], v[30:31], off offset:64
	v_add_co_u32_e64 v32, s[2:3], 32, v32
	v_addc_co_u32_e64 v33, s[2:3], 0, v33, s[2:3]
	v_add_co_u32_e64 v2, s[2:3], -4, v2
	v_addc_co_u32_e64 v3, s[2:3], -1, v3, s[2:3]
	v_cmp_eq_u64_e64 s[2:3], 0, v[2:3]
	s_or_b64 s[14:15], s[2:3], s[14:15]
	s_waitcnt vmcnt(8)
	v_subrev_u32_e32 v7, s16, v7
	v_lshlrev_b32_e32 v42, 2, v7
	v_ashrrev_i32_e32 v43, 31, v42
	v_lshlrev_b64 v[42:43], 3, v[42:43]
	v_add_co_u32_e32 v42, vcc, s6, v42
	v_addc_co_u32_e32 v43, vcc, v6, v43, vcc
	global_load_dwordx4 v[70:73], v[42:43], off
	global_load_dwordx4 v[74:77], v[42:43], off offset:16
	s_waitcnt vmcnt(9)
	v_xor_b32_e32 v42, 0x80000000, v11
	v_mov_b32_e32 v43, v10
	s_waitcnt vmcnt(6)
	v_xor_b32_e32 v80, 0x80000000, v23
	v_mov_b32_e32 v81, v22
	;; [unrolled: 3-line block ×3, first 2 shown]
	v_xor_b32_e32 v88, 0x80000000, v37
	v_mov_b32_e32 v89, v36
	v_add_co_u32_e32 v30, vcc, s18, v30
	v_addc_co_u32_e32 v31, vcc, 0, v31, vcc
	v_add_co_u32_e32 v4, vcc, 0x80, v4
	v_xor_b32_e32 v78, 0x80000000, v15
	v_mov_b32_e32 v79, v14
	v_xor_b32_e32 v82, 0x80000000, v19
	v_mov_b32_e32 v83, v18
	;; [unrolled: 2-line block ×4, first 2 shown]
	v_addc_co_u32_e32 v5, vcc, 0, v5, vcc
	s_waitcnt vmcnt(1)
	v_pk_fma_f32 v[50:51], v[8:9], v[70:71], v[50:51] op_sel_hi:[1,0,1]
	v_pk_fma_f32 v[48:49], v[20:21], v[70:71], v[48:49] op_sel_hi:[1,0,1]
	;; [unrolled: 1-line block ×4, first 2 shown]
	v_pk_fma_f32 v[8:9], v[8:9], v[70:71], v[50:51] op_sel:[1,1,0] op_sel_hi:[0,1,1] neg_lo:[1,0,0]
	v_pk_fma_f32 v[20:21], v[20:21], v[70:71], v[48:49] op_sel:[1,1,0] op_sel_hi:[0,1,1] neg_lo:[1,0,0]
	;; [unrolled: 1-line block ×4, first 2 shown]
	v_mov_b32_e32 v92, v73
	v_pk_fma_f32 v[8:9], v[10:11], v[72:73], v[8:9] op_sel_hi:[1,0,1]
	v_pk_fma_f32 v[10:11], v[22:23], v[72:73], v[20:21] op_sel_hi:[1,0,1]
	;; [unrolled: 1-line block ×8, first 2 shown]
	s_waitcnt vmcnt(0)
	v_pk_fma_f32 v[8:9], v[12:13], v[74:75], v[8:9] op_sel_hi:[1,0,1]
	v_pk_fma_f32 v[10:11], v[16:17], v[74:75], v[10:11] op_sel_hi:[1,0,1]
	;; [unrolled: 1-line block ×4, first 2 shown]
	v_pk_fma_f32 v[8:9], v[12:13], v[74:75], v[8:9] op_sel:[1,1,0] op_sel_hi:[0,1,1] neg_lo:[1,0,0]
	v_pk_fma_f32 v[10:11], v[16:17], v[74:75], v[10:11] op_sel:[1,1,0] op_sel_hi:[0,1,1] neg_lo:[1,0,0]
	;; [unrolled: 1-line block ×4, first 2 shown]
	v_mov_b32_e32 v94, v77
	v_pk_fma_f32 v[8:9], v[14:15], v[76:77], v[8:9] op_sel_hi:[1,0,1]
	v_pk_fma_f32 v[10:11], v[18:19], v[76:77], v[10:11] op_sel_hi:[1,0,1]
	v_pk_fma_f32 v[12:13], v[40:41], v[76:77], v[12:13] op_sel_hi:[1,0,1]
	v_pk_fma_f32 v[14:15], v[26:27], v[76:77], v[16:17] op_sel_hi:[1,0,1]
	v_pk_fma_f32 v[50:51], v[78:79], v[94:95], v[8:9] op_sel_hi:[1,0,1]
	v_pk_fma_f32 v[48:49], v[82:83], v[94:95], v[10:11] op_sel_hi:[1,0,1]
	v_pk_fma_f32 v[46:47], v[86:87], v[94:95], v[12:13] op_sel_hi:[1,0,1]
	v_pk_fma_f32 v[44:45], v[90:91], v[94:95], v[14:15] op_sel_hi:[1,0,1]
	s_andn2_b64 exec, exec, s[14:15]
	s_cbranch_execnz .LBB33_23
; %bb.24:
	s_or_b64 exec, exec, s[14:15]
.LBB33_25:
	s_or_b64 exec, exec, s[10:11]
	s_mov_b64 s[2:3], 0x5f
	v_cmp_lt_u64_e32 vcc, s[2:3], v[0:1]
	s_and_saveexec_b64 s[10:11], vcc
	s_cbranch_execz .LBB33_29
; %bb.26:
	v_lshlrev_b64 v[0:1], 2, v[32:33]
	v_mov_b32_e32 v2, s13
	v_add_co_u32_e32 v0, vcc, s12, v0
	v_addc_co_u32_e32 v1, vcc, v1, v2, vcc
	v_add_co_u32_e32 v34, vcc, 0x100, v0
	v_addc_co_u32_e32 v35, vcc, 0, v1, vcc
	s_mov_b64 s[14:15], 0
	v_mov_b32_e32 v40, s7
	s_movk_i32 s18, 0x1000
	s_movk_i32 s19, 0x2000
	;; [unrolled: 1-line block ×4, first 2 shown]
.LBB33_27:                              ; =>This Inner Loop Header: Depth=1
	global_load_dword v0, v[34:35], off offset:-256
	s_waitcnt vmcnt(0)
	v_subrev_u32_e32 v0, s16, v0
	v_lshlrev_b32_e32 v0, 2, v0
	v_ashrrev_i32_e32 v1, 31, v0
	v_lshlrev_b64 v[0:1], 3, v[0:1]
	v_add_co_u32_e32 v0, vcc, s6, v0
	v_addc_co_u32_e32 v1, vcc, v40, v1, vcc
	global_load_dwordx4 v[8:11], v[0:1], off offset:16
	global_load_dwordx4 v[16:19], v[0:1], off
	global_load_dword v2, v[34:35], off offset:-128
	s_waitcnt vmcnt(2)
	v_mov_b32_e32 v42, v11
	s_waitcnt vmcnt(1)
	v_mov_b32_e32 v38, v19
	s_waitcnt vmcnt(0)
	v_subrev_u32_e32 v0, s16, v2
	v_lshlrev_b32_e32 v0, 2, v0
	v_ashrrev_i32_e32 v1, 31, v0
	v_lshlrev_b64 v[0:1], 3, v[0:1]
	v_add_co_u32_e32 v36, vcc, s6, v0
	v_addc_co_u32_e32 v37, vcc, v40, v1, vcc
	global_load_dwordx4 v[0:3], v[36:37], off offset:16
	global_load_dwordx4 v[4:7], v[36:37], off
	global_load_dwordx4 v[24:27], v[30:31], off offset:48
	global_load_dwordx4 v[66:69], v[30:31], off offset:32
	;; [unrolled: 1-line block ×3, first 2 shown]
	global_load_dwordx4 v[20:23], v[30:31], off
	v_add_co_u32_e32 v90, vcc, s18, v30
	v_addc_co_u32_e32 v91, vcc, 0, v31, vcc
	s_waitcnt vmcnt(4)
	v_mov_b32_e32 v96, v7
	s_waitcnt vmcnt(2)
	v_pk_fma_f32 v[48:49], v[66:67], v[16:17], v[48:49] op_sel_hi:[1,0,1]
	v_pk_fma_f32 v[48:49], v[66:67], v[16:17], v[48:49] op_sel:[1,1,0] op_sel_hi:[0,1,1] neg_lo:[1,0,0]
	s_waitcnt vmcnt(0)
	v_pk_fma_f32 v[36:37], v[20:21], v[16:17], v[50:51] op_sel_hi:[1,0,1]
	v_pk_fma_f32 v[20:21], v[20:21], v[16:17], v[36:37] op_sel:[1,1,0] op_sel_hi:[0,1,1] neg_lo:[1,0,0]
	v_xor_b32_e32 v36, 0x80000000, v23
	v_pk_fma_f32 v[20:21], v[22:23], v[18:19], v[20:21] op_sel_hi:[1,0,1]
	v_mov_b32_e32 v37, v22
	v_pk_fma_f32 v[20:21], v[36:37], v[38:39], v[20:21] op_sel_hi:[1,0,1]
	v_pk_fma_f32 v[20:21], v[12:13], v[8:9], v[20:21] op_sel_hi:[1,0,1]
	v_pk_fma_f32 v[12:13], v[12:13], v[8:9], v[20:21] op_sel:[1,1,0] op_sel_hi:[0,1,1] neg_lo:[1,0,0]
	v_add_co_u32_e32 v36, vcc, s19, v30
	v_xor_b32_e32 v20, 0x80000000, v15
	v_pk_fma_f32 v[12:13], v[14:15], v[10:11], v[12:13] op_sel_hi:[1,0,1]
	v_mov_b32_e32 v21, v14
	v_addc_co_u32_e32 v37, vcc, 0, v31, vcc
	v_pk_fma_f32 v[50:51], v[20:21], v[42:43], v[12:13] op_sel_hi:[1,0,1]
	global_load_dwordx4 v[70:73], v[36:37], off offset:-4096
	global_load_dwordx4 v[12:15], v[90:91], off offset:48
	global_load_dwordx4 v[20:23], v[90:91], off offset:32
	;; [unrolled: 1-line block ×3, first 2 shown]
	v_pk_fma_f32 v[48:49], v[68:69], v[18:19], v[48:49] op_sel_hi:[1,0,1]
	s_waitcnt vmcnt(3)
	v_pk_fma_f32 v[50:51], v[70:71], v[4:5], v[50:51] op_sel_hi:[1,0,1]
	v_pk_fma_f32 v[70:71], v[70:71], v[4:5], v[50:51] op_sel:[1,1,0] op_sel_hi:[0,1,1] neg_lo:[1,0,0]
	v_xor_b32_e32 v50, 0x80000000, v69
	v_mov_b32_e32 v51, v68
	v_pk_fma_f32 v[48:49], v[50:51], v[38:39], v[48:49] op_sel_hi:[1,0,1]
	v_pk_fma_f32 v[48:49], v[24:25], v[8:9], v[48:49] op_sel_hi:[1,0,1]
	v_pk_fma_f32 v[24:25], v[24:25], v[8:9], v[48:49] op_sel:[1,1,0] op_sel_hi:[0,1,1] neg_lo:[1,0,0]
	v_xor_b32_e32 v48, 0x80000000, v27
	v_pk_fma_f32 v[24:25], v[26:27], v[10:11], v[24:25] op_sel_hi:[1,0,1]
	v_mov_b32_e32 v49, v26
	v_pk_fma_f32 v[24:25], v[48:49], v[42:43], v[24:25] op_sel_hi:[1,0,1]
	s_waitcnt vmcnt(1)
	v_pk_fma_f32 v[24:25], v[20:21], v[4:5], v[24:25] op_sel_hi:[1,0,1]
	v_pk_fma_f32 v[20:21], v[20:21], v[4:5], v[24:25] op_sel:[1,1,0] op_sel_hi:[0,1,1] neg_lo:[1,0,0]
	global_load_dwordx4 v[24:27], v[30:31], off offset:112
	global_load_dwordx4 v[48:51], v[30:31], off offset:96
	;; [unrolled: 1-line block ×4, first 2 shown]
	v_xor_b32_e32 v92, 0x80000000, v73
	v_mov_b32_e32 v93, v72
	v_xor_b32_e32 v94, 0x80000000, v23
	v_mov_b32_e32 v95, v22
	s_waitcnt vmcnt(2)
	v_pk_fma_f32 v[44:45], v[48:49], v[16:17], v[44:45] op_sel_hi:[1,0,1]
	s_waitcnt vmcnt(0)
	v_pk_fma_f32 v[46:47], v[78:79], v[16:17], v[46:47] op_sel_hi:[1,0,1]
	v_pk_fma_f32 v[46:47], v[78:79], v[16:17], v[46:47] op_sel:[1,1,0] op_sel_hi:[0,1,1] neg_lo:[1,0,0]
	v_xor_b32_e32 v78, 0x80000000, v81
	v_pk_fma_f32 v[46:47], v[80:81], v[18:19], v[46:47] op_sel_hi:[1,0,1]
	v_mov_b32_e32 v79, v80
	v_pk_fma_f32 v[46:47], v[78:79], v[38:39], v[46:47] op_sel_hi:[1,0,1]
	v_pk_fma_f32 v[46:47], v[66:67], v[8:9], v[46:47] op_sel_hi:[1,0,1]
	v_pk_fma_f32 v[46:47], v[66:67], v[8:9], v[46:47] op_sel:[1,1,0] op_sel_hi:[0,1,1] neg_lo:[1,0,0]
	v_xor_b32_e32 v66, 0x80000000, v69
	v_pk_fma_f32 v[46:47], v[68:69], v[10:11], v[46:47] op_sel_hi:[1,0,1]
	v_mov_b32_e32 v67, v68
	v_pk_fma_f32 v[46:47], v[66:67], v[42:43], v[46:47] op_sel_hi:[1,0,1]
	global_load_dwordx4 v[66:69], v[90:91], off offset:112
	global_load_dwordx4 v[78:81], v[90:91], off offset:96
	;; [unrolled: 1-line block ×4, first 2 shown]
	v_pk_fma_f32 v[16:17], v[48:49], v[16:17], v[44:45] op_sel:[1,1,0] op_sel_hi:[0,1,1] neg_lo:[1,0,0]
	v_xor_b32_e32 v44, 0x80000000, v51
	v_pk_fma_f32 v[16:17], v[50:51], v[18:19], v[16:17] op_sel_hi:[1,0,1]
	v_mov_b32_e32 v45, v50
	v_pk_fma_f32 v[16:17], v[44:45], v[38:39], v[16:17] op_sel_hi:[1,0,1]
	v_pk_fma_f32 v[16:17], v[24:25], v[8:9], v[16:17] op_sel_hi:[1,0,1]
	v_pk_fma_f32 v[8:9], v[24:25], v[8:9], v[16:17] op_sel:[1,1,0] op_sel_hi:[0,1,1] neg_lo:[1,0,0]
	v_xor_b32_e32 v16, 0x80000000, v27
	v_pk_fma_f32 v[8:9], v[26:27], v[10:11], v[8:9] op_sel_hi:[1,0,1]
	v_mov_b32_e32 v17, v26
	v_pk_fma_f32 v[8:9], v[16:17], v[42:43], v[8:9] op_sel_hi:[1,0,1]
	v_xor_b32_e32 v16, 0x80000000, v77
	v_mov_b32_e32 v17, v76
	s_waitcnt vmcnt(2)
	v_pk_fma_f32 v[8:9], v[78:79], v[4:5], v[8:9] op_sel_hi:[1,0,1]
	v_pk_fma_f32 v[50:51], v[78:79], v[4:5], v[8:9] op_sel:[1,1,0] op_sel_hi:[0,1,1] neg_lo:[1,0,0]
	s_waitcnt vmcnt(0)
	v_pk_fma_f32 v[46:47], v[86:87], v[4:5], v[46:47] op_sel_hi:[1,0,1]
	v_pk_fma_f32 v[86:87], v[86:87], v[4:5], v[46:47] op_sel:[1,1,0] op_sel_hi:[0,1,1] neg_lo:[1,0,0]
	global_load_dword v4, v[34:35], off
	v_xor_b32_e32 v90, 0x80000000, v89
	v_mov_b32_e32 v91, v88
	v_xor_b32_e32 v78, 0x80000000, v81
	v_mov_b32_e32 v79, v80
	s_waitcnt vmcnt(0)
	v_subrev_u32_e32 v4, s16, v4
	v_lshlrev_b32_e32 v4, 2, v4
	v_ashrrev_i32_e32 v5, 31, v4
	v_lshlrev_b64 v[4:5], 3, v[4:5]
	v_add_co_u32_e32 v4, vcc, s6, v4
	v_addc_co_u32_e32 v5, vcc, v40, v5, vcc
	global_load_dwordx4 v[8:11], v[4:5], off offset:16
	global_load_dwordx4 v[42:45], v[4:5], off
	v_pk_fma_f32 v[4:5], v[72:73], v[6:7], v[70:71] op_sel_hi:[1,0,1]
	v_pk_fma_f32 v[4:5], v[92:93], v[96:97], v[4:5] op_sel_hi:[1,0,1]
	;; [unrolled: 1-line block ×3, first 2 shown]
	v_pk_fma_f32 v[4:5], v[74:75], v[0:1], v[4:5] op_sel:[1,1,0] op_sel_hi:[0,1,1] neg_lo:[1,0,0]
	v_pk_fma_f32 v[4:5], v[76:77], v[2:3], v[4:5] op_sel_hi:[1,0,1]
	v_mov_b32_e32 v74, v3
	v_pk_fma_f32 v[4:5], v[16:17], v[74:75], v[4:5] op_sel_hi:[1,0,1]
	global_load_dwordx4 v[46:49], v[36:37], off
	global_load_dwordx4 v[16:19], v[36:37], off offset:48
	global_load_dwordx4 v[70:73], v[36:37], off offset:32
	;; [unrolled: 1-line block ×3, first 2 shown]
	s_waitcnt vmcnt(4)
	v_mov_b32_e32 v76, v45
	s_waitcnt vmcnt(3)
	v_pk_fma_f32 v[4:5], v[46:47], v[42:43], v[4:5] op_sel_hi:[1,0,1]
	v_pk_fma_f32 v[4:5], v[46:47], v[42:43], v[4:5] op_sel:[1,1,0] op_sel_hi:[0,1,1] neg_lo:[1,0,0]
	v_xor_b32_e32 v38, 0x80000000, v49
	v_pk_fma_f32 v[4:5], v[48:49], v[44:45], v[4:5] op_sel_hi:[1,0,1]
	v_mov_b32_e32 v39, v48
	v_pk_fma_f32 v[4:5], v[38:39], v[76:77], v[4:5] op_sel_hi:[1,0,1]
	s_waitcnt vmcnt(0)
	v_pk_fma_f32 v[38:39], v[24:25], v[8:9], v[4:5] op_sel_hi:[1,0,1]
	v_pk_fma_f32 v[4:5], v[22:23], v[6:7], v[20:21] op_sel_hi:[1,0,1]
	;; [unrolled: 1-line block ×4, first 2 shown]
	v_pk_fma_f32 v[4:5], v[12:13], v[0:1], v[4:5] op_sel:[1,1,0] op_sel_hi:[0,1,1] neg_lo:[1,0,0]
	v_xor_b32_e32 v12, 0x80000000, v15
	v_pk_fma_f32 v[4:5], v[14:15], v[2:3], v[4:5] op_sel_hi:[1,0,1]
	v_mov_b32_e32 v13, v14
	v_pk_fma_f32 v[4:5], v[12:13], v[74:75], v[4:5] op_sel_hi:[1,0,1]
	v_pk_fma_f32 v[4:5], v[70:71], v[42:43], v[4:5] op_sel_hi:[1,0,1]
	v_pk_fma_f32 v[4:5], v[70:71], v[42:43], v[4:5] op_sel:[1,1,0] op_sel_hi:[0,1,1] neg_lo:[1,0,0]
	v_xor_b32_e32 v12, 0x80000000, v73
	v_pk_fma_f32 v[4:5], v[72:73], v[44:45], v[4:5] op_sel_hi:[1,0,1]
	v_mov_b32_e32 v13, v72
	v_pk_fma_f32 v[4:5], v[12:13], v[76:77], v[4:5] op_sel_hi:[1,0,1]
	v_pk_fma_f32 v[12:13], v[88:89], v[6:7], v[86:87] op_sel_hi:[1,0,1]
	;; [unrolled: 1-line block ×4, first 2 shown]
	v_pk_fma_f32 v[12:13], v[82:83], v[0:1], v[12:13] op_sel:[1,1,0] op_sel_hi:[0,1,1] neg_lo:[1,0,0]
	v_xor_b32_e32 v14, 0x80000000, v85
	v_pk_fma_f32 v[12:13], v[84:85], v[2:3], v[12:13] op_sel_hi:[1,0,1]
	v_mov_b32_e32 v15, v84
	v_pk_fma_f32 v[82:83], v[14:15], v[74:75], v[12:13] op_sel_hi:[1,0,1]
	global_load_dwordx4 v[12:15], v[36:37], off offset:112
	global_load_dwordx4 v[46:49], v[36:37], off offset:96
	;; [unrolled: 1-line block ×4, first 2 shown]
	v_pk_fma_f32 v[6:7], v[80:81], v[6:7], v[50:51] op_sel_hi:[1,0,1]
	v_pk_fma_f32 v[6:7], v[78:79], v[96:97], v[6:7] op_sel_hi:[1,0,1]
	;; [unrolled: 1-line block ×3, first 2 shown]
	v_pk_fma_f32 v[0:1], v[66:67], v[0:1], v[6:7] op_sel:[1,1,0] op_sel_hi:[0,1,1] neg_lo:[1,0,0]
	v_xor_b32_e32 v6, 0x80000000, v69
	v_pk_fma_f32 v[0:1], v[68:69], v[2:3], v[0:1] op_sel_hi:[1,0,1]
	v_mov_b32_e32 v7, v68
	v_pk_fma_f32 v[0:1], v[6:7], v[74:75], v[0:1] op_sel_hi:[1,0,1]
	v_xor_b32_e32 v6, 0x80000000, v27
	v_mov_b32_e32 v7, v26
	v_pk_fma_f32 v[4:5], v[16:17], v[8:9], v[4:5] op_sel_hi:[1,0,1]
	s_waitcnt vmcnt(2)
	v_pk_fma_f32 v[0:1], v[46:47], v[42:43], v[0:1] op_sel_hi:[1,0,1]
	v_pk_fma_f32 v[0:1], v[46:47], v[42:43], v[0:1] op_sel:[1,1,0] op_sel_hi:[0,1,1] neg_lo:[1,0,0]
	v_xor_b32_e32 v2, 0x80000000, v49
	v_pk_fma_f32 v[0:1], v[48:49], v[44:45], v[0:1] op_sel_hi:[1,0,1]
	v_mov_b32_e32 v3, v48
	v_pk_fma_f32 v[0:1], v[2:3], v[76:77], v[0:1] op_sel_hi:[1,0,1]
	global_load_dword v2, v[34:35], off offset:128
	s_waitcnt vmcnt(1)
	v_pk_fma_f32 v[36:37], v[70:71], v[42:43], v[82:83] op_sel_hi:[1,0,1]
	v_pk_fma_f32 v[36:37], v[70:71], v[42:43], v[36:37] op_sel:[1,1,0] op_sel_hi:[0,1,1] neg_lo:[1,0,0]
	v_pk_fma_f32 v[36:37], v[72:73], v[44:45], v[36:37] op_sel_hi:[1,0,1]
	v_xor_b32_e32 v70, 0x80000000, v73
	v_mov_b32_e32 v71, v72
	v_pk_fma_f32 v[36:37], v[70:71], v[76:77], v[36:37] op_sel_hi:[1,0,1]
	v_pk_fma_f32 v[36:37], v[20:21], v[8:9], v[36:37] op_sel_hi:[1,0,1]
	;; [unrolled: 1-line block ×3, first 2 shown]
	v_pk_fma_f32 v[0:1], v[12:13], v[8:9], v[0:1] op_sel:[1,1,0] op_sel_hi:[0,1,1] neg_lo:[1,0,0]
	v_pk_fma_f32 v[0:1], v[14:15], v[10:11], v[0:1] op_sel_hi:[1,0,1]
	s_waitcnt vmcnt(0)
	v_subrev_u32_e32 v2, s16, v2
	v_lshlrev_b32_e32 v2, 2, v2
	v_ashrrev_i32_e32 v3, 31, v2
	v_lshlrev_b64 v[2:3], 3, v[2:3]
	v_add_co_u32_e32 v2, vcc, s6, v2
	v_addc_co_u32_e32 v3, vcc, v40, v3, vcc
	global_load_dwordx4 v[42:45], v[2:3], off offset:16
	global_load_dwordx4 v[66:69], v[2:3], off
	v_pk_fma_f32 v[2:3], v[24:25], v[8:9], v[38:39] op_sel:[1,1,0] op_sel_hi:[0,1,1] neg_lo:[1,0,0]
	v_pk_fma_f32 v[2:3], v[26:27], v[10:11], v[2:3] op_sel_hi:[1,0,1]
	v_mov_b32_e32 v38, v11
	v_pk_fma_f32 v[2:3], v[6:7], v[38:39], v[2:3] op_sel_hi:[1,0,1]
	v_add_co_u32_e32 v6, vcc, s20, v30
	v_addc_co_u32_e32 v7, vcc, 0, v31, vcc
	global_load_dwordx4 v[24:27], v[6:7], off
	global_load_dwordx4 v[46:49], v[6:7], off offset:48
	global_load_dwordx4 v[70:73], v[6:7], off offset:32
	;; [unrolled: 1-line block ×3, first 2 shown]
	v_add_co_u32_e32 v32, vcc, s21, v32
	v_addc_co_u32_e32 v33, vcc, 0, v33, vcc
	v_add_co_u32_e32 v34, vcc, 0x200, v34
	v_addc_co_u32_e32 v35, vcc, 0, v35, vcc
	v_cmp_ge_i64_e64 s[2:3], v[32:33], v[62:63]
	v_add_co_u32_e32 v30, vcc, 0x4000, v30
	v_addc_co_u32_e32 v31, vcc, 0, v31, vcc
	s_or_b64 s[14:15], s[2:3], s[14:15]
	s_waitcnt vmcnt(4)
	v_mov_b32_e32 v78, v69
	s_waitcnt vmcnt(3)
	v_pk_fma_f32 v[2:3], v[24:25], v[66:67], v[2:3] op_sel_hi:[1,0,1]
	v_pk_fma_f32 v[2:3], v[24:25], v[66:67], v[2:3] op_sel:[1,1,0] op_sel_hi:[0,1,1] neg_lo:[1,0,0]
	v_xor_b32_e32 v24, 0x80000000, v27
	v_pk_fma_f32 v[2:3], v[26:27], v[68:69], v[2:3] op_sel_hi:[1,0,1]
	v_mov_b32_e32 v25, v26
	v_pk_fma_f32 v[2:3], v[24:25], v[78:79], v[2:3] op_sel_hi:[1,0,1]
	s_waitcnt vmcnt(0)
	v_pk_fma_f32 v[2:3], v[74:75], v[42:43], v[2:3] op_sel_hi:[1,0,1]
	v_pk_fma_f32 v[2:3], v[74:75], v[42:43], v[2:3] op_sel:[1,1,0] op_sel_hi:[0,1,1] neg_lo:[1,0,0]
	v_xor_b32_e32 v24, 0x80000000, v77
	v_pk_fma_f32 v[2:3], v[76:77], v[44:45], v[2:3] op_sel_hi:[1,0,1]
	v_mov_b32_e32 v25, v76
	v_mov_b32_e32 v74, v45
	v_pk_fma_f32 v[50:51], v[24:25], v[74:75], v[2:3] op_sel_hi:[1,0,1]
	v_pk_fma_f32 v[2:3], v[16:17], v[8:9], v[4:5] op_sel:[1,1,0] op_sel_hi:[0,1,1] neg_lo:[1,0,0]
	v_xor_b32_e32 v4, 0x80000000, v19
	v_pk_fma_f32 v[2:3], v[18:19], v[10:11], v[2:3] op_sel_hi:[1,0,1]
	v_mov_b32_e32 v5, v18
	v_pk_fma_f32 v[2:3], v[4:5], v[38:39], v[2:3] op_sel_hi:[1,0,1]
	v_pk_fma_f32 v[2:3], v[70:71], v[66:67], v[2:3] op_sel_hi:[1,0,1]
	v_pk_fma_f32 v[2:3], v[70:71], v[66:67], v[2:3] op_sel:[1,1,0] op_sel_hi:[0,1,1] neg_lo:[1,0,0]
	v_xor_b32_e32 v4, 0x80000000, v73
	v_pk_fma_f32 v[2:3], v[72:73], v[68:69], v[2:3] op_sel_hi:[1,0,1]
	v_mov_b32_e32 v5, v72
	v_pk_fma_f32 v[2:3], v[4:5], v[78:79], v[2:3] op_sel_hi:[1,0,1]
	;; [unrolled: 6-line block ×3, first 2 shown]
	v_pk_fma_f32 v[2:3], v[20:21], v[8:9], v[36:37] op_sel:[1,1,0] op_sel_hi:[0,1,1] neg_lo:[1,0,0]
	v_xor_b32_e32 v4, 0x80000000, v23
	v_pk_fma_f32 v[2:3], v[22:23], v[10:11], v[2:3] op_sel_hi:[1,0,1]
	v_mov_b32_e32 v5, v22
	v_pk_fma_f32 v[36:37], v[4:5], v[38:39], v[2:3] op_sel_hi:[1,0,1]
	global_load_dwordx4 v[2:5], v[6:7], off offset:112
	global_load_dwordx4 v[16:19], v[6:7], off offset:96
	;; [unrolled: 1-line block ×4, first 2 shown]
	s_waitcnt vmcnt(0)
	v_pk_fma_f32 v[6:7], v[24:25], v[66:67], v[36:37] op_sel_hi:[1,0,1]
	v_pk_fma_f32 v[6:7], v[24:25], v[66:67], v[6:7] op_sel:[1,1,0] op_sel_hi:[0,1,1] neg_lo:[1,0,0]
	v_xor_b32_e32 v24, 0x80000000, v27
	v_pk_fma_f32 v[6:7], v[26:27], v[68:69], v[6:7] op_sel_hi:[1,0,1]
	v_mov_b32_e32 v25, v26
	v_pk_fma_f32 v[6:7], v[24:25], v[78:79], v[6:7] op_sel_hi:[1,0,1]
	v_pk_fma_f32 v[6:7], v[20:21], v[42:43], v[6:7] op_sel_hi:[1,0,1]
	v_pk_fma_f32 v[6:7], v[20:21], v[42:43], v[6:7] op_sel:[1,1,0] op_sel_hi:[0,1,1] neg_lo:[1,0,0]
	v_xor_b32_e32 v20, 0x80000000, v23
	v_pk_fma_f32 v[6:7], v[22:23], v[44:45], v[6:7] op_sel_hi:[1,0,1]
	v_mov_b32_e32 v21, v22
	v_pk_fma_f32 v[46:47], v[20:21], v[74:75], v[6:7] op_sel_hi:[1,0,1]
	v_xor_b32_e32 v6, 0x80000000, v15
	v_mov_b32_e32 v7, v14
	v_pk_fma_f32 v[0:1], v[6:7], v[38:39], v[0:1] op_sel_hi:[1,0,1]
	v_pk_fma_f32 v[0:1], v[16:17], v[66:67], v[0:1] op_sel_hi:[1,0,1]
	v_pk_fma_f32 v[0:1], v[16:17], v[66:67], v[0:1] op_sel:[1,1,0] op_sel_hi:[0,1,1] neg_lo:[1,0,0]
	v_xor_b32_e32 v6, 0x80000000, v19
	v_pk_fma_f32 v[0:1], v[18:19], v[68:69], v[0:1] op_sel_hi:[1,0,1]
	v_mov_b32_e32 v7, v18
	v_pk_fma_f32 v[0:1], v[6:7], v[78:79], v[0:1] op_sel_hi:[1,0,1]
	v_pk_fma_f32 v[0:1], v[2:3], v[42:43], v[0:1] op_sel_hi:[1,0,1]
	v_pk_fma_f32 v[0:1], v[2:3], v[42:43], v[0:1] op_sel:[1,1,0] op_sel_hi:[0,1,1] neg_lo:[1,0,0]
	v_xor_b32_e32 v2, 0x80000000, v5
	v_pk_fma_f32 v[0:1], v[4:5], v[44:45], v[0:1] op_sel_hi:[1,0,1]
	v_mov_b32_e32 v3, v4
	v_pk_fma_f32 v[44:45], v[2:3], v[74:75], v[0:1] op_sel_hi:[1,0,1]
	s_andn2_b64 exec, exec, s[14:15]
	s_cbranch_execnz .LBB33_27
; %bb.28:
	s_or_b64 exec, exec, s[14:15]
.LBB33_29:
	s_or_b64 exec, exec, s[10:11]
.LBB33_30:
	s_or_b64 exec, exec, s[8:9]
	s_cbranch_execz .LBB33_32
	s_branch .LBB33_43
.LBB33_31:
                                        ; implicit-def: $vgpr51
                                        ; implicit-def: $vgpr45
                                        ; implicit-def: $vgpr47
                                        ; implicit-def: $vgpr49
.LBB33_32:
	v_mov_b32_e32 v51, 0
	v_mov_b32_e32 v50, 0
	;; [unrolled: 1-line block ×8, first 2 shown]
	s_and_saveexec_b64 s[8:9], s[0:1]
	s_cbranch_execz .LBB33_42
; %bb.33:
	v_or_b32_e32 v0, 32, v58
	v_mov_b32_e32 v1, s17
	v_subrev_co_u32_e32 v0, vcc, s16, v0
	v_subb_co_u32_e32 v1, vcc, 0, v1, vcc
	v_add_co_u32_e32 v0, vcc, v0, v28
	v_addc_co_u32_e32 v1, vcc, v1, v29, vcc
	v_cmp_gt_i64_e32 vcc, v[0:1], v[62:63]
	v_cndmask_b32_e32 v1, v63, v1, vcc
	v_cndmask_b32_e32 v0, v62, v0, vcc
	v_mov_b32_e32 v4, s17
	v_sub_co_u32_e32 v5, vcc, s16, v58
	v_not_b32_e32 v3, v28
	v_subbrev_co_u32_e32 v4, vcc, 0, v4, vcc
	v_not_b32_e32 v2, v29
	v_add_co_u32_e32 v3, vcc, v5, v3
	v_addc_co_u32_e32 v2, vcc, v4, v2, vcc
	v_add_co_u32_e32 v0, vcc, v3, v0
	v_addc_co_u32_e32 v1, vcc, v2, v1, vcc
	v_lshrrev_b32_e32 v2, 5, v0
	v_add_u32_e32 v2, 1, v2
	v_and_b32_e32 v2, 3, v2
	v_mov_b32_e32 v49, 0
	v_cmp_ne_u32_e32 vcc, 0, v2
	v_mov_b32_e32 v48, v49
	v_mov_b32_e32 v47, v49
	;; [unrolled: 1-line block ×7, first 2 shown]
	s_and_saveexec_b64 s[2:3], vcc
	s_cbranch_execz .LBB33_37
; %bb.34:
	v_lshlrev_b64 v[4:5], 2, v[60:61]
	v_mov_b32_e32 v3, 0
	v_mov_b32_e32 v6, s13
	v_add_co_u32_e32 v4, vcc, s12, v4
	v_addc_co_u32_e32 v5, vcc, v6, v5, vcc
	v_lshlrev_b32_e32 v2, 2, v2
	s_mov_b64 s[10:11], 0
	s_movk_i32 s14, 0x1000
	v_mov_b32_e32 v6, s7
	v_mov_b32_e32 v48, v3
	;; [unrolled: 1-line block ×9, first 2 shown]
.LBB33_35:                              ; =>This Inner Loop Header: Depth=1
	global_load_dword v7, v[4:5], off
	global_load_dwordx4 v[8:11], v[64:65], off offset:48
	global_load_dwordx4 v[12:15], v[64:65], off offset:32
	;; [unrolled: 1-line block ×3, first 2 shown]
	global_load_dwordx4 v[20:23], v[64:65], off
	global_load_dwordx4 v[24:27], v[64:65], off offset:96
	global_load_dwordx4 v[28:31], v[64:65], off offset:80
	;; [unrolled: 1-line block ×3, first 2 shown]
	v_add_co_u32_e64 v60, s[0:1], 32, v60
	v_addc_co_u32_e64 v61, s[0:1], 0, v61, s[0:1]
	v_add_co_u32_e64 v2, s[0:1], -4, v2
	v_addc_co_u32_e64 v3, s[0:1], -1, v3, s[0:1]
	v_cmp_eq_u64_e64 s[0:1], 0, v[2:3]
	s_or_b64 s[10:11], s[0:1], s[10:11]
	s_waitcnt vmcnt(7)
	v_subrev_u32_e32 v7, s16, v7
	v_lshlrev_b32_e32 v36, 2, v7
	v_ashrrev_i32_e32 v37, 31, v36
	v_lshlrev_b64 v[36:37], 3, v[36:37]
	v_add_co_u32_e32 v70, vcc, s6, v36
	v_addc_co_u32_e32 v71, vcc, v6, v37, vcc
	global_load_dwordx4 v[36:39], v[70:71], off offset:16
	global_load_dwordx4 v[40:43], v[70:71], off
	global_load_dwordx4 v[66:69], v[64:65], off offset:112
	s_waitcnt vmcnt(6)
	v_xor_b32_e32 v70, 0x80000000, v23
	v_mov_b32_e32 v71, v22
	v_xor_b32_e32 v78, 0x80000000, v19
	v_mov_b32_e32 v79, v18
	;; [unrolled: 2-line block ×4, first 2 shown]
	v_add_co_u32_e32 v64, vcc, s14, v64
	s_waitcnt vmcnt(3)
	v_xor_b32_e32 v74, 0x80000000, v35
	v_mov_b32_e32 v75, v34
	v_xor_b32_e32 v82, 0x80000000, v31
	v_mov_b32_e32 v83, v30
	v_addc_co_u32_e32 v65, vcc, 0, v65, vcc
	v_add_co_u32_e32 v4, vcc, 0x80, v4
	v_xor_b32_e32 v76, 0x80000000, v27
	v_mov_b32_e32 v77, v26
	v_addc_co_u32_e32 v5, vcc, 0, v5, vcc
	s_waitcnt vmcnt(2)
	v_mov_b32_e32 v88, v39
	s_waitcnt vmcnt(1)
	v_pk_fma_f32 v[50:51], v[20:21], v[40:41], v[50:51] op_sel_hi:[1,0,1]
	v_pk_fma_f32 v[22:23], v[22:23], v[40:41], v[48:49] op_sel_hi:[1,0,1]
	v_pk_fma_f32 v[46:47], v[16:17], v[40:41], v[46:47] op_sel_hi:[1,0,1]
	v_pk_fma_f32 v[18:19], v[18:19], v[40:41], v[44:45] op_sel_hi:[1,0,1]
	v_pk_fma_f32 v[20:21], v[20:21], v[40:41], v[50:51] op_sel:[1,1,0] op_sel_hi:[0,1,1] neg_lo:[1,0,0]
	v_pk_fma_f32 v[22:23], v[70:71], v[40:41], v[22:23] op_sel:[0,1,0]
	v_pk_fma_f32 v[16:17], v[16:17], v[40:41], v[46:47] op_sel:[1,1,0] op_sel_hi:[0,1,1] neg_lo:[1,0,0]
	v_pk_fma_f32 v[18:19], v[78:79], v[40:41], v[18:19] op_sel:[0,1,0]
	v_mov_b32_e32 v86, v43
	v_pk_fma_f32 v[20:21], v[12:13], v[42:43], v[20:21] op_sel_hi:[1,0,1]
	v_pk_fma_f32 v[14:15], v[14:15], v[42:43], v[22:23] op_sel_hi:[1,0,1]
	;; [unrolled: 1-line block ×4, first 2 shown]
	v_pk_fma_f32 v[12:13], v[12:13], v[86:87], v[20:21] op_sel:[1,0,0] op_sel_hi:[0,0,1] neg_lo:[1,0,0]
	v_pk_fma_f32 v[14:15], v[72:73], v[86:87], v[14:15] op_sel_hi:[1,0,1]
	v_pk_fma_f32 v[8:9], v[8:9], v[86:87], v[16:17] op_sel:[1,0,0] op_sel_hi:[0,0,1] neg_lo:[1,0,0]
	v_pk_fma_f32 v[10:11], v[80:81], v[86:87], v[10:11] op_sel_hi:[1,0,1]
	v_pk_fma_f32 v[12:13], v[32:33], v[36:37], v[12:13] op_sel_hi:[1,0,1]
	;; [unrolled: 1-line block ×5, first 2 shown]
	v_pk_fma_f32 v[12:13], v[32:33], v[36:37], v[12:13] op_sel:[1,1,0] op_sel_hi:[0,1,1] neg_lo:[1,0,0]
	v_pk_fma_f32 v[14:15], v[74:75], v[36:37], v[14:15] op_sel:[0,1,0]
	v_pk_fma_f32 v[8:9], v[28:29], v[36:37], v[8:9] op_sel:[1,1,0] op_sel_hi:[0,1,1] neg_lo:[1,0,0]
	v_pk_fma_f32 v[10:11], v[82:83], v[36:37], v[10:11] op_sel:[0,1,0]
	s_waitcnt vmcnt(0)
	v_xor_b32_e32 v84, 0x80000000, v69
	v_mov_b32_e32 v85, v68
	v_pk_fma_f32 v[12:13], v[24:25], v[38:39], v[12:13] op_sel_hi:[1,0,1]
	v_pk_fma_f32 v[14:15], v[26:27], v[38:39], v[14:15] op_sel_hi:[1,0,1]
	;; [unrolled: 1-line block ×4, first 2 shown]
	v_pk_fma_f32 v[50:51], v[24:25], v[88:89], v[12:13] op_sel:[1,0,0] op_sel_hi:[0,0,1] neg_lo:[1,0,0]
	v_pk_fma_f32 v[48:49], v[76:77], v[88:89], v[14:15] op_sel_hi:[1,0,1]
	v_pk_fma_f32 v[46:47], v[66:67], v[88:89], v[8:9] op_sel:[1,0,0] op_sel_hi:[0,0,1] neg_lo:[1,0,0]
	v_pk_fma_f32 v[44:45], v[84:85], v[88:89], v[10:11] op_sel_hi:[1,0,1]
	s_andn2_b64 exec, exec, s[10:11]
	s_cbranch_execnz .LBB33_35
; %bb.36:
	s_or_b64 exec, exec, s[10:11]
.LBB33_37:
	s_or_b64 exec, exec, s[2:3]
	s_mov_b64 s[0:1], 0x5f
	v_cmp_lt_u64_e32 vcc, s[0:1], v[0:1]
	s_and_saveexec_b64 s[10:11], vcc
	s_cbranch_execz .LBB33_41
; %bb.38:
	v_lshlrev_b64 v[0:1], 2, v[60:61]
	v_mov_b32_e32 v2, s13
	v_add_co_u32_e32 v0, vcc, s12, v0
	v_addc_co_u32_e32 v1, vcc, v1, v2, vcc
	v_add_co_u32_e32 v66, vcc, 0x100, v0
	v_addc_co_u32_e32 v67, vcc, 0, v1, vcc
	s_mov_b64 s[12:13], 0
	v_mov_b32_e32 v57, s7
	s_movk_i32 s7, 0x1000
	s_movk_i32 s14, 0x2000
	;; [unrolled: 1-line block ×4, first 2 shown]
.LBB33_39:                              ; =>This Inner Loop Header: Depth=1
	global_load_dword v73, v[66:67], off offset:-256
	global_load_dwordx4 v[24:27], v[64:65], off
	global_load_dwordx4 v[12:15], v[64:65], off offset:32
	global_load_dwordx4 v[20:23], v[64:65], off offset:16
	global_load_dwordx4 v[0:3], v[64:65], off offset:112
	global_load_dwordx4 v[4:7], v[64:65], off offset:96
	global_load_dwordx4 v[8:11], v[64:65], off offset:80
	global_load_dwordx4 v[28:31], v[64:65], off offset:48
	global_load_dwordx4 v[16:19], v[64:65], off offset:64
	global_load_dword v72, v[66:67], off offset:-128
	global_load_dword v59, v[66:67], off
	global_load_dword v74, v[66:67], off offset:128
	v_add_co_u32_e32 v60, vcc, s17, v60
	s_mov_b64 s[0:1], vcc
	v_add_co_u32_e32 v100, vcc, s7, v64
	v_addc_co_u32_e32 v101, vcc, 0, v65, vcc
	v_add_co_u32_e32 v70, vcc, s14, v64
	v_addc_co_u32_e32 v71, vcc, 0, v65, vcc
	;; [unrolled: 2-line block ×3, first 2 shown]
	v_add_co_u32_e32 v66, vcc, 0x200, v66
	s_mov_b64 s[2:3], vcc
	global_load_dwordx4 v[76:79], v[100:101], off offset:32
	global_load_dwordx4 v[80:83], v[100:101], off offset:16
	;; [unrolled: 1-line block ×5, first 2 shown]
	global_load_dwordx4 v[84:87], v[70:71], off offset:-4096
	s_waitcnt vmcnt(17)
	v_subrev_u32_e32 v73, s16, v73
	v_lshlrev_b32_e32 v88, 2, v73
	v_ashrrev_i32_e32 v89, 31, v88
	v_lshlrev_b64 v[88:89], 3, v[88:89]
	v_add_co_u32_e32 v96, vcc, s6, v88
	v_addc_co_u32_e32 v97, vcc, v57, v89, vcc
	global_load_dwordx4 v[88:91], v[96:97], off
	global_load_dwordx4 v[92:95], v[96:97], off offset:16
	s_waitcnt vmcnt(18)
	v_xor_b32_e32 v102, 0x80000000, v27
	v_mov_b32_e32 v103, v26
	global_load_dwordx4 v[96:99], v[100:101], off offset:80
	s_waitcnt vmcnt(10)
	v_subrev_u32_e32 v59, s16, v59
	s_waitcnt vmcnt(2)
	v_pk_fma_f32 v[50:51], v[24:25], v[88:89], v[50:51] op_sel_hi:[1,0,1]
	v_pk_fma_f32 v[26:27], v[26:27], v[88:89], v[48:49] op_sel_hi:[1,0,1]
	v_pk_fma_f32 v[24:25], v[24:25], v[88:89], v[50:51] op_sel:[1,1,0] op_sel_hi:[0,1,1] neg_lo:[1,0,0]
	v_xor_b32_e32 v48, 0x80000000, v23
	v_mov_b32_e32 v49, v22
	v_pk_fma_f32 v[46:47], v[20:21], v[88:89], v[46:47] op_sel_hi:[1,0,1]
	v_pk_fma_f32 v[22:23], v[22:23], v[88:89], v[44:45] op_sel_hi:[1,0,1]
	v_pk_fma_f32 v[20:21], v[20:21], v[88:89], v[46:47] op_sel:[1,1,0] op_sel_hi:[0,1,1] neg_lo:[1,0,0]
	v_pk_fma_f32 v[26:27], v[102:103], v[88:89], v[26:27] op_sel:[0,1,0]
	v_pk_fma_f32 v[22:23], v[48:49], v[88:89], v[22:23] op_sel:[0,1,0]
	v_pk_fma_f32 v[24:25], v[12:13], v[90:91], v[24:25] op_sel_hi:[1,0,1]
	v_mov_b32_e32 v88, v91
	v_pk_fma_f32 v[48:49], v[14:15], v[90:91], v[26:27] op_sel_hi:[1,0,1]
	v_pk_fma_f32 v[50:51], v[30:31], v[90:91], v[22:23] op_sel_hi:[1,0,1]
	v_xor_b32_e32 v22, 0x80000000, v15
	v_mov_b32_e32 v23, v14
	v_pk_fma_f32 v[12:13], v[12:13], v[88:89], v[24:25] op_sel:[1,0,0] op_sel_hi:[0,0,1] neg_lo:[1,0,0]
	v_xor_b32_e32 v14, 0x80000000, v31
	v_mov_b32_e32 v15, v30
	v_pk_fma_f32 v[20:21], v[28:29], v[90:91], v[20:21] op_sel_hi:[1,0,1]
	v_pk_fma_f32 v[14:15], v[14:15], v[88:89], v[50:51] op_sel_hi:[1,0,1]
	s_waitcnt vmcnt(1)
	v_pk_fma_f32 v[12:13], v[16:17], v[92:93], v[12:13] op_sel_hi:[1,0,1]
	v_pk_fma_f32 v[28:29], v[28:29], v[88:89], v[20:21] op_sel:[1,0,0] op_sel_hi:[0,0,1] neg_lo:[1,0,0]
	v_pk_fma_f32 v[30:31], v[22:23], v[88:89], v[48:49] op_sel_hi:[1,0,1]
	v_pk_fma_f32 v[16:17], v[16:17], v[92:93], v[12:13] op_sel:[1,1,0] op_sel_hi:[0,1,1] neg_lo:[1,0,0]
	v_xor_b32_e32 v12, 0x80000000, v11
	v_mov_b32_e32 v13, v10
	v_pk_fma_f32 v[14:15], v[10:11], v[92:93], v[14:15] op_sel_hi:[1,0,1]
	v_xor_b32_e32 v88, 0x80000000, v19
	v_mov_b32_e32 v89, v18
	v_pk_fma_f32 v[18:19], v[18:19], v[92:93], v[30:31] op_sel_hi:[1,0,1]
	v_pk_fma_f32 v[28:29], v[8:9], v[92:93], v[28:29] op_sel_hi:[1,0,1]
	v_pk_fma_f32 v[30:31], v[12:13], v[92:93], v[14:15] op_sel:[0,1,0]
	v_pk_fma_f32 v[28:29], v[8:9], v[92:93], v[28:29] op_sel:[1,1,0] op_sel_hi:[0,1,1] neg_lo:[1,0,0]
	v_pk_fma_f32 v[18:19], v[88:89], v[92:93], v[18:19] op_sel:[0,1,0]
	v_pk_fma_f32 v[30:31], v[2:3], v[94:95], v[30:31] op_sel_hi:[1,0,1]
	v_mov_b32_e32 v93, v2
	v_subrev_u32_e32 v2, s16, v72
	v_lshlrev_b32_e32 v2, 2, v2
	v_xor_b32_e32 v92, 0x80000000, v3
	v_ashrrev_i32_e32 v3, 31, v2
	v_lshlrev_b64 v[2:3], 3, v[2:3]
	v_add_co_u32_e32 v2, vcc, s6, v2
	v_pk_fma_f32 v[16:17], v[4:5], v[94:95], v[16:17] op_sel_hi:[1,0,1]
	v_mov_b32_e32 v88, v95
	v_addc_co_u32_e32 v3, vcc, v57, v3, vcc
	v_pk_fma_f32 v[18:19], v[6:7], v[94:95], v[18:19] op_sel_hi:[1,0,1]
	v_xor_b32_e32 v90, 0x80000000, v7
	v_mov_b32_e32 v91, v6
	v_pk_fma_f32 v[16:17], v[4:5], v[88:89], v[16:17] op_sel:[1,0,0] op_sel_hi:[0,0,1] neg_lo:[1,0,0]
	global_load_dwordx4 v[4:7], v[2:3], off
	global_load_dwordx4 v[44:47], v[100:101], off offset:48
	v_pk_fma_f32 v[28:29], v[0:1], v[94:95], v[28:29] op_sel_hi:[1,0,1]
	v_pk_fma_f32 v[0:1], v[0:1], v[88:89], v[28:29] op_sel:[1,0,0] op_sel_hi:[0,0,1] neg_lo:[1,0,0]
	v_pk_fma_f32 v[18:19], v[90:91], v[88:89], v[18:19] op_sel_hi:[1,0,1]
	v_pk_fma_f32 v[30:31], v[92:93], v[88:89], v[30:31] op_sel_hi:[1,0,1]
	global_load_dwordx4 v[88:91], v[2:3], off offset:16
	global_load_dwordx4 v[24:27], v[70:71], off
	global_load_dwordx4 v[48:51], v[70:71], off offset:16
	global_load_dwordx4 v[20:23], v[70:71], off offset:32
	;; [unrolled: 1-line block ×4, first 2 shown]
	v_xor_b32_e32 v28, 0x80000000, v87
	v_mov_b32_e32 v29, v86
	v_xor_b32_e32 v92, 0x80000000, v83
	v_mov_b32_e32 v93, v82
	s_waitcnt vmcnt(8)
	v_xor_b32_e32 v94, 0x80000000, v99
	v_mov_b32_e32 v95, v98
	v_addc_co_u32_e64 v61, vcc, 0, v61, s[0:1]
	v_add_co_u32_e32 v64, vcc, 0x4000, v64
	v_addc_co_u32_e32 v65, vcc, 0, v65, vcc
	v_addc_co_u32_e64 v67, s[0:1], 0, v67, s[2:3]
	v_cmp_ge_i64_e64 s[0:1], v[60:61], v[62:63]
	s_or_b64 s[12:13], s[0:1], s[12:13]
	s_waitcnt vmcnt(7)
	v_pk_fma_f32 v[2:3], v[84:85], v[4:5], v[16:17] op_sel_hi:[1,0,1]
	v_pk_fma_f32 v[16:17], v[86:87], v[4:5], v[18:19] op_sel_hi:[1,0,1]
	v_pk_fma_f32 v[18:19], v[84:85], v[4:5], v[2:3] op_sel:[1,1,0] op_sel_hi:[0,1,1] neg_lo:[1,0,0]
	global_load_dwordx4 v[84:87], v[70:71], off offset:48
	v_pk_fma_f32 v[0:1], v[80:81], v[4:5], v[0:1] op_sel_hi:[1,0,1]
	global_load_dwordx4 v[70:73], v[70:71], off offset:64
	v_pk_fma_f32 v[30:31], v[82:83], v[4:5], v[30:31] op_sel_hi:[1,0,1]
	global_load_dwordx4 v[100:103], v[100:101], off offset:64
	v_pk_fma_f32 v[80:81], v[80:81], v[4:5], v[0:1] op_sel:[1,1,0] op_sel_hi:[0,1,1] neg_lo:[1,0,0]
	v_pk_fma_f32 v[16:17], v[28:29], v[4:5], v[16:17] op_sel:[0,1,0]
	v_pk_fma_f32 v[4:5], v[92:93], v[4:5], v[30:31] op_sel:[0,1,0]
	v_pk_fma_f32 v[18:19], v[76:77], v[6:7], v[18:19] op_sel_hi:[1,0,1]
	s_waitcnt vmcnt(9)
	v_pk_fma_f32 v[28:29], v[44:45], v[6:7], v[80:81] op_sel_hi:[1,0,1]
	v_mov_b32_e32 v80, v7
	v_xor_b32_e32 v82, 0x80000000, v79
	v_mov_b32_e32 v83, v78
	v_pk_fma_f32 v[16:17], v[78:79], v[6:7], v[16:17] op_sel_hi:[1,0,1]
	v_pk_fma_f32 v[78:79], v[46:47], v[6:7], v[4:5] op_sel_hi:[1,0,1]
	v_pk_fma_f32 v[18:19], v[76:77], v[80:81], v[18:19] op_sel:[1,0,0] op_sel_hi:[0,0,1] neg_lo:[1,0,0]
	v_xor_b32_e32 v76, 0x80000000, v47
	v_mov_b32_e32 v77, v46
	v_pk_fma_f32 v[92:93], v[44:45], v[80:81], v[28:29] op_sel:[1,0,0] op_sel_hi:[0,0,1] neg_lo:[1,0,0]
	v_pk_fma_f32 v[16:17], v[82:83], v[80:81], v[16:17] op_sel_hi:[1,0,1]
	v_pk_fma_f32 v[76:77], v[76:77], v[80:81], v[78:79] op_sel_hi:[1,0,1]
	global_load_dwordx4 v[0:3], v[68:69], off offset:48
	global_load_dwordx4 v[4:7], v[68:69], off offset:32
	global_load_dwordx4 v[28:31], v[68:69], off
	global_load_dwordx4 v[44:47], v[68:69], off offset:16
	s_waitcnt vmcnt(11)
	v_mov_b32_e32 v75, v26
	s_waitcnt vmcnt(4)
	v_xor_b32_e32 v78, 0x80000000, v103
	v_mov_b32_e32 v79, v102
	v_pk_fma_f32 v[18:19], v[100:101], v[88:89], v[18:19] op_sel_hi:[1,0,1]
	v_pk_fma_f32 v[80:81], v[102:103], v[88:89], v[16:17] op_sel_hi:[1,0,1]
	v_pk_fma_f32 v[16:17], v[96:97], v[88:89], v[92:93] op_sel_hi:[1,0,1]
	v_pk_fma_f32 v[92:93], v[98:99], v[88:89], v[76:77] op_sel_hi:[1,0,1]
	v_pk_fma_f32 v[82:83], v[100:101], v[88:89], v[18:19] op_sel:[1,1,0] op_sel_hi:[0,1,1] neg_lo:[1,0,0]
	v_pk_fma_f32 v[96:97], v[96:97], v[88:89], v[16:17] op_sel:[1,1,0] op_sel_hi:[0,1,1] neg_lo:[1,0,0]
	v_pk_fma_f32 v[80:81], v[78:79], v[88:89], v[80:81] op_sel:[0,1,0]
	v_pk_fma_f32 v[88:89], v[94:95], v[88:89], v[92:93] op_sel:[0,1,0]
	v_pk_fma_f32 v[82:83], v[40:41], v[90:91], v[82:83] op_sel_hi:[1,0,1]
	v_pk_fma_f32 v[80:81], v[42:43], v[90:91], v[80:81] op_sel_hi:[1,0,1]
	;; [unrolled: 1-line block ×4, first 2 shown]
	v_mov_b32_e32 v90, v91
	global_load_dwordx4 v[16:19], v[68:69], off offset:112
	global_load_dwordx4 v[76:79], v[68:69], off offset:96
	v_xor_b32_e32 v92, 0x80000000, v43
	v_mov_b32_e32 v93, v42
	v_pk_fma_f32 v[96:97], v[40:41], v[90:91], v[82:83] op_sel:[1,0,0] op_sel_hi:[0,0,1] neg_lo:[1,0,0]
	global_load_dwordx4 v[40:43], v[68:69], off offset:80
	v_xor_b32_e32 v82, 0x80000000, v39
	v_mov_b32_e32 v83, v38
	v_pk_fma_f32 v[94:95], v[36:37], v[90:91], v[94:95] op_sel:[1,0,0] op_sel_hi:[0,0,1] neg_lo:[1,0,0]
	global_load_dwordx4 v[36:39], v[68:69], off offset:64
	v_lshlrev_b32_e32 v68, 2, v59
	v_ashrrev_i32_e32 v69, 31, v68
	v_lshlrev_b64 v[68:69], 3, v[68:69]
	v_add_co_u32_e32 v68, vcc, s6, v68
	v_addc_co_u32_e32 v69, vcc, v57, v69, vcc
	v_pk_fma_f32 v[92:93], v[92:93], v[90:91], v[80:81] op_sel_hi:[1,0,1]
	v_pk_fma_f32 v[98:99], v[82:83], v[90:91], v[88:89] op_sel_hi:[1,0,1]
	global_load_dwordx4 v[80:83], v[68:69], off
	global_load_dwordx4 v[88:91], v[68:69], off offset:16
	v_subrev_u32_e32 v100, s16, v74
	v_xor_b32_e32 v74, 0x80000000, v27
	s_waitcnt vmcnt(1)
	v_pk_fma_f32 v[68:69], v[24:25], v[80:81], v[96:97] op_sel_hi:[1,0,1]
	v_pk_fma_f32 v[68:69], v[24:25], v[80:81], v[68:69] op_sel:[1,1,0] op_sel_hi:[0,1,1] neg_lo:[1,0,0]
	v_lshlrev_b32_e32 v24, 2, v100
	v_ashrrev_i32_e32 v25, 31, v24
	v_pk_fma_f32 v[94:95], v[48:49], v[80:81], v[94:95] op_sel_hi:[1,0,1]
	v_lshlrev_b64 v[24:25], 3, v[24:25]
	v_pk_fma_f32 v[94:95], v[48:49], v[80:81], v[94:95] op_sel:[1,1,0] op_sel_hi:[0,1,1] neg_lo:[1,0,0]
	v_add_co_u32_e32 v48, vcc, s6, v24
	v_pk_fma_f32 v[26:27], v[26:27], v[80:81], v[92:93] op_sel_hi:[1,0,1]
	v_addc_co_u32_e32 v49, vcc, v57, v25, vcc
	v_pk_fma_f32 v[74:75], v[74:75], v[80:81], v[26:27] op_sel:[0,1,0]
	global_load_dwordx4 v[24:27], v[48:49], off
	v_xor_b32_e32 v92, 0x80000000, v51
	v_mov_b32_e32 v93, v50
	v_pk_fma_f32 v[50:51], v[50:51], v[80:81], v[98:99] op_sel_hi:[1,0,1]
	v_pk_fma_f32 v[80:81], v[92:93], v[80:81], v[50:51] op_sel:[0,1,0]
	global_load_dwordx4 v[48:51], v[48:49], off offset:16
	v_xor_b32_e32 v96, 0x80000000, v23
	v_mov_b32_e32 v97, v22
	v_pk_fma_f32 v[68:69], v[20:21], v[82:83], v[68:69] op_sel_hi:[1,0,1]
	v_pk_fma_f32 v[22:23], v[22:23], v[82:83], v[74:75] op_sel_hi:[1,0,1]
	;; [unrolled: 1-line block ×4, first 2 shown]
	v_mov_b32_e32 v82, v83
	v_xor_b32_e32 v92, 0x80000000, v87
	v_mov_b32_e32 v93, v86
	v_pk_fma_f32 v[20:21], v[20:21], v[82:83], v[68:69] op_sel:[1,0,0] op_sel_hi:[0,0,1] neg_lo:[1,0,0]
	v_pk_fma_f32 v[74:75], v[84:85], v[82:83], v[74:75] op_sel:[1,0,0] op_sel_hi:[0,0,1] neg_lo:[1,0,0]
	v_pk_fma_f32 v[22:23], v[96:97], v[82:83], v[22:23] op_sel_hi:[1,0,1]
	v_pk_fma_f32 v[80:81], v[92:93], v[82:83], v[80:81] op_sel_hi:[1,0,1]
	v_xor_b32_e32 v68, 0x80000000, v73
	v_xor_b32_e32 v86, 0x80000000, v15
	v_mov_b32_e32 v69, v72
	v_mov_b32_e32 v87, v14
	s_waitcnt vmcnt(2)
	v_pk_fma_f32 v[20:21], v[70:71], v[88:89], v[20:21] op_sel_hi:[1,0,1]
	v_pk_fma_f32 v[22:23], v[72:73], v[88:89], v[22:23] op_sel_hi:[1,0,1]
	;; [unrolled: 1-line block ×4, first 2 shown]
	v_pk_fma_f32 v[20:21], v[70:71], v[88:89], v[20:21] op_sel:[1,1,0] op_sel_hi:[0,1,1] neg_lo:[1,0,0]
	v_pk_fma_f32 v[12:13], v[12:13], v[88:89], v[74:75] op_sel:[1,1,0] op_sel_hi:[0,1,1] neg_lo:[1,0,0]
	v_pk_fma_f32 v[22:23], v[68:69], v[88:89], v[22:23] op_sel:[0,1,0]
	v_pk_fma_f32 v[14:15], v[86:87], v[88:89], v[14:15] op_sel:[0,1,0]
	v_xor_b32_e32 v84, 0x80000000, v11
	v_mov_b32_e32 v85, v10
	v_xor_b32_e32 v70, 0x80000000, v35
	v_mov_b32_e32 v71, v34
	v_mov_b32_e32 v86, v91
	v_pk_fma_f32 v[20:21], v[8:9], v[90:91], v[20:21] op_sel_hi:[1,0,1]
	v_pk_fma_f32 v[10:11], v[10:11], v[90:91], v[22:23] op_sel_hi:[1,0,1]
	;; [unrolled: 1-line block ×4, first 2 shown]
	v_pk_fma_f32 v[8:9], v[8:9], v[86:87], v[20:21] op_sel:[1,0,0] op_sel_hi:[0,0,1] neg_lo:[1,0,0]
	v_pk_fma_f32 v[10:11], v[84:85], v[86:87], v[10:11] op_sel_hi:[1,0,1]
	v_pk_fma_f32 v[12:13], v[32:33], v[86:87], v[12:13] op_sel:[1,0,0] op_sel_hi:[0,0,1] neg_lo:[1,0,0]
	v_pk_fma_f32 v[14:15], v[70:71], v[86:87], v[14:15] op_sel_hi:[1,0,1]
	v_xor_b32_e32 v94, 0x80000000, v31
	v_mov_b32_e32 v95, v30
	v_xor_b32_e32 v72, 0x80000000, v47
	v_mov_b32_e32 v73, v46
	;; [unrolled: 2-line block ×8, first 2 shown]
	s_waitcnt vmcnt(1)
	v_pk_fma_f32 v[8:9], v[28:29], v[24:25], v[8:9] op_sel_hi:[1,0,1]
	v_pk_fma_f32 v[10:11], v[30:31], v[24:25], v[10:11] op_sel_hi:[1,0,1]
	;; [unrolled: 1-line block ×4, first 2 shown]
	v_pk_fma_f32 v[8:9], v[28:29], v[24:25], v[8:9] op_sel:[1,1,0] op_sel_hi:[0,1,1] neg_lo:[1,0,0]
	v_pk_fma_f32 v[10:11], v[94:95], v[24:25], v[10:11] op_sel:[0,1,0]
	v_pk_fma_f32 v[12:13], v[44:45], v[24:25], v[12:13] op_sel:[1,1,0] op_sel_hi:[0,1,1] neg_lo:[1,0,0]
	v_pk_fma_f32 v[14:15], v[72:73], v[24:25], v[14:15] op_sel:[0,1,0]
	v_mov_b32_e32 v22, v27
	v_pk_fma_f32 v[8:9], v[4:5], v[26:27], v[8:9] op_sel_hi:[1,0,1]
	v_pk_fma_f32 v[6:7], v[6:7], v[26:27], v[10:11] op_sel_hi:[1,0,1]
	;; [unrolled: 1-line block ×4, first 2 shown]
	v_pk_fma_f32 v[4:5], v[4:5], v[22:23], v[8:9] op_sel:[1,0,0] op_sel_hi:[0,0,1] neg_lo:[1,0,0]
	v_pk_fma_f32 v[6:7], v[96:97], v[22:23], v[6:7] op_sel_hi:[1,0,1]
	v_pk_fma_f32 v[0:1], v[0:1], v[22:23], v[10:11] op_sel:[1,0,0] op_sel_hi:[0,0,1] neg_lo:[1,0,0]
	v_pk_fma_f32 v[2:3], v[74:75], v[22:23], v[2:3] op_sel_hi:[1,0,1]
	s_waitcnt vmcnt(0)
	v_pk_fma_f32 v[4:5], v[36:37], v[48:49], v[4:5] op_sel_hi:[1,0,1]
	v_pk_fma_f32 v[6:7], v[38:39], v[48:49], v[6:7] op_sel_hi:[1,0,1]
	;; [unrolled: 1-line block ×4, first 2 shown]
	v_pk_fma_f32 v[4:5], v[36:37], v[48:49], v[4:5] op_sel:[1,1,0] op_sel_hi:[0,1,1] neg_lo:[1,0,0]
	v_pk_fma_f32 v[6:7], v[82:83], v[48:49], v[6:7] op_sel:[0,1,0]
	v_pk_fma_f32 v[0:1], v[40:41], v[48:49], v[0:1] op_sel:[1,1,0] op_sel_hi:[0,1,1] neg_lo:[1,0,0]
	v_pk_fma_f32 v[2:3], v[80:81], v[48:49], v[2:3] op_sel:[0,1,0]
	v_mov_b32_e32 v34, v51
	v_pk_fma_f32 v[4:5], v[76:77], v[50:51], v[4:5] op_sel_hi:[1,0,1]
	v_pk_fma_f32 v[6:7], v[78:79], v[50:51], v[6:7] op_sel_hi:[1,0,1]
	;; [unrolled: 1-line block ×4, first 2 shown]
	v_pk_fma_f32 v[50:51], v[76:77], v[34:35], v[4:5] op_sel:[1,0,0] op_sel_hi:[0,0,1] neg_lo:[1,0,0]
	v_pk_fma_f32 v[48:49], v[92:93], v[34:35], v[6:7] op_sel_hi:[1,0,1]
	v_pk_fma_f32 v[46:47], v[16:17], v[34:35], v[0:1] op_sel:[1,0,0] op_sel_hi:[0,0,1] neg_lo:[1,0,0]
	v_pk_fma_f32 v[44:45], v[68:69], v[34:35], v[2:3] op_sel_hi:[1,0,1]
	s_andn2_b64 exec, exec, s[12:13]
	s_cbranch_execnz .LBB33_39
; %bb.40:
	s_or_b64 exec, exec, s[12:13]
.LBB33_41:
	s_or_b64 exec, exec, s[10:11]
.LBB33_42:
	s_or_b64 exec, exec, s[8:9]
.LBB33_43:
	v_mov_b32_dpp v6, v49 row_shr:1 row_mask:0xf bank_mask:0xf
	v_add_f32_e32 v6, v49, v6
	v_mov_b32_dpp v0, v50 row_shr:1 row_mask:0xf bank_mask:0xf
	v_mov_b32_dpp v2, v51 row_shr:1 row_mask:0xf bank_mask:0xf
	v_mov_b32_dpp v7, v6 row_shr:2 row_mask:0xf bank_mask:0xf
	v_add_f32_e32 v6, v6, v7
	v_mov_b32_dpp v4, v48 row_shr:1 row_mask:0xf bank_mask:0xf
	v_add_f32_e32 v0, v50, v0
	v_mov_b32_dpp v7, v6 row_shr:4 row_mask:0xf bank_mask:0xe
	v_add_f32_e32 v6, v6, v7
	v_add_f32_e32 v2, v51, v2
	v_add_f32_e32 v4, v48, v4
	v_mov_b32_dpp v7, v6 row_shr:8 row_mask:0xf bank_mask:0xc
	v_add_f32_e32 v7, v6, v7
	v_mov_b32_dpp v6, v46 row_shr:1 row_mask:0xf bank_mask:0xf
	v_add_f32_e32 v6, v46, v6
	v_mov_b32_dpp v1, v0 row_shr:2 row_mask:0xf bank_mask:0xf
	v_mov_b32_dpp v3, v2 row_shr:2 row_mask:0xf bank_mask:0xf
	v_mov_b32_dpp v8, v6 row_shr:2 row_mask:0xf bank_mask:0xf
	v_add_f32_e32 v6, v6, v8
	v_mov_b32_dpp v5, v4 row_shr:2 row_mask:0xf bank_mask:0xf
	v_add_f32_e32 v0, v0, v1
	v_mov_b32_dpp v8, v6 row_shr:4 row_mask:0xf bank_mask:0xe
	v_add_f32_e32 v6, v6, v8
	v_add_f32_e32 v2, v2, v3
	v_add_f32_e32 v4, v4, v5
	v_mov_b32_dpp v8, v6 row_shr:8 row_mask:0xf bank_mask:0xc
	v_add_f32_e32 v10, v6, v8
	;; [unrolled: 14-line block ×4, first 2 shown]
	v_mov_b32_dpp v6, v45 row_shr:1 row_mask:0xf bank_mask:0xf
	v_add_f32_e32 v6, v45, v6
	v_mov_b32_dpp v1, v0 row_bcast:15 row_mask:0xa bank_mask:0xf
	v_mov_b32_dpp v3, v2 row_bcast:15 row_mask:0xa bank_mask:0xf
	v_mov_b32_dpp v8, v6 row_shr:2 row_mask:0xf bank_mask:0xf
	v_add_f32_e32 v6, v6, v8
	v_mov_b32_dpp v5, v4 row_bcast:15 row_mask:0xa bank_mask:0xf
	v_mov_b32_dpp v9, v7 row_bcast:15 row_mask:0xa bank_mask:0xf
	;; [unrolled: 4-line block ×3, first 2 shown]
	v_mov_b32_dpp v8, v6 row_shr:8 row_mask:0xf bank_mask:0xc
	v_add_f32_e32 v18, v6, v8
	v_mov_b32_dpp v17, v16 row_bcast:15 row_mask:0xa bank_mask:0xf
	v_cmp_eq_u32_e32 vcc, 31, v58
	v_mov_b32_dpp v19, v18 row_bcast:15 row_mask:0xa bank_mask:0xf
	s_and_b64 exec, exec, vcc
	s_cbranch_execz .LBB33_14
; %bb.44:
	s_load_dwordx2 s[2:3], s[4:5], 0x50
	v_add_f32_e32 v8, v0, v1
	v_and_b32_e32 v1, 0x7fffffff, v54
	v_cmp_eq_u32_e32 vcc, 0, v1
	v_cmp_eq_f32_e64 s[0:1], 0, v55
	v_add_f32_e32 v14, v2, v3
	v_add_f32_e32 v6, v4, v5
	;; [unrolled: 1-line block ×7, first 2 shown]
	s_and_b64 s[0:1], vcc, s[0:1]
	v_lshlrev_b32_e32 v16, 2, v56
	s_and_saveexec_b64 s[4:5], s[0:1]
	s_xor_b64 s[0:1], exec, s[4:5]
	s_cbranch_execz .LBB33_46
; %bb.45:
	v_xor_b32_e32 v18, 0x80000000, v53
	v_ashrrev_i32_e32 v17, 31, v16
	v_mov_b32_e32 v19, v52
	v_lshlrev_b64 v[16:17], 3, v[16:17]
	v_pk_mul_f32 v[14:15], v[14:15], v[18:19] op_sel_hi:[0,1]
	s_waitcnt lgkmcnt(0)
	v_mov_b32_e32 v1, s3
	v_add_co_u32_e32 v20, vcc, s2, v16
	v_pk_fma_f32 v[14:15], v[52:53], v[8:9], v[14:15] op_sel_hi:[1,0,1]
	v_pk_mul_f32 v[8:9], v[12:13], v[18:19] op_sel_hi:[0,1]
	v_addc_co_u32_e32 v21, vcc, v1, v17, vcc
	v_pk_fma_f32 v[16:17], v[52:53], v[6:7], v[8:9] op_sel_hi:[1,0,1]
	v_pk_mul_f32 v[6:7], v[10:11], v[18:19] op_sel_hi:[0,1]
	v_pk_mul_f32 v[4:5], v[4:5], v[18:19] op_sel_hi:[0,1]
	v_pk_fma_f32 v[2:3], v[52:53], v[2:3], v[6:7] op_sel_hi:[1,0,1]
	v_pk_fma_f32 v[4:5], v[52:53], v[0:1], v[4:5] op_sel_hi:[1,0,1]
	global_store_dwordx4 v[20:21], v[14:17], off
	global_store_dwordx4 v[20:21], v[2:5], off offset:16
                                        ; implicit-def: $vgpr53
                                        ; implicit-def: $vgpr54
                                        ; implicit-def: $vgpr8
                                        ; implicit-def: $vgpr14
                                        ; implicit-def: $vgpr6
                                        ; implicit-def: $vgpr12
                                        ; implicit-def: $vgpr2
                                        ; implicit-def: $vgpr10
                                        ; implicit-def: $vgpr0
                                        ; implicit-def: $vgpr4
                                        ; implicit-def: $vgpr16
.LBB33_46:
	s_andn2_saveexec_b64 s[0:1], s[0:1]
	s_cbranch_execz .LBB33_14
; %bb.47:
	v_ashrrev_i32_e32 v17, 31, v16
	v_lshlrev_b64 v[16:17], 3, v[16:17]
	s_waitcnt lgkmcnt(0)
	v_mov_b32_e32 v1, s3
	v_add_co_u32_e32 v24, vcc, s2, v16
	v_addc_co_u32_e32 v25, vcc, v1, v17, vcc
	global_load_dwordx4 v[16:19], v[24:25], off
	global_load_dwordx4 v[20:23], v[24:25], off offset:16
	v_xor_b32_e32 v26, 0x80000000, v53
	v_mov_b32_e32 v27, v52
	v_pk_mul_f32 v[14:15], v[14:15], v[26:27] op_sel_hi:[0,1]
	v_pk_mul_f32 v[12:13], v[12:13], v[26:27] op_sel_hi:[0,1]
	;; [unrolled: 1-line block ×4, first 2 shown]
	v_pk_fma_f32 v[8:9], v[52:53], v[8:9], v[14:15] op_sel_hi:[1,0,1]
	v_pk_fma_f32 v[6:7], v[52:53], v[6:7], v[12:13] op_sel_hi:[1,0,1]
	v_xor_b32_e32 v28, 0x80000000, v55
	v_mov_b32_e32 v29, v54
	v_pk_fma_f32 v[2:3], v[52:53], v[2:3], v[10:11] op_sel_hi:[1,0,1]
	v_pk_fma_f32 v[0:1], v[52:53], v[0:1], v[4:5] op_sel_hi:[1,0,1]
	s_waitcnt vmcnt(1)
	v_pk_fma_f32 v[4:5], v[54:55], v[16:17], v[8:9] op_sel_hi:[1,0,1]
	v_pk_fma_f32 v[6:7], v[54:55], v[18:19], v[6:7] op_sel_hi:[1,0,1]
	v_mov_b32_e32 v8, v19
	s_waitcnt vmcnt(0)
	v_pk_fma_f32 v[10:11], v[54:55], v[20:21], v[2:3] op_sel_hi:[1,0,1]
	v_pk_fma_f32 v[12:13], v[54:55], v[22:23], v[0:1] op_sel_hi:[1,0,1]
	v_mov_b32_e32 v14, v23
	v_pk_fma_f32 v[0:1], v[28:29], v[16:17], v[4:5] op_sel:[0,1,0]
	v_pk_fma_f32 v[2:3], v[28:29], v[8:9], v[6:7] op_sel_hi:[1,0,1]
	v_pk_fma_f32 v[4:5], v[28:29], v[20:21], v[10:11] op_sel:[0,1,0]
	v_pk_fma_f32 v[6:7], v[28:29], v[14:15], v[12:13] op_sel_hi:[1,0,1]
	global_store_dwordx4 v[24:25], v[0:3], off
	global_store_dwordx4 v[24:25], v[4:7], off offset:16
	s_endpgm
	.section	.rodata,"a",@progbits
	.p2align	6, 0x0
	.amdhsa_kernel _ZN9rocsparseL18bsrxmvn_4x4_kernelILj128ELj32E21rocsparse_complex_numIfEliS2_S2_S2_EEvT3_20rocsparse_direction_NS_24const_host_device_scalarIT1_EES3_PKS3_PKT2_SC_S9_PKT4_PKT5_S7_PT6_21rocsparse_index_base_b
		.amdhsa_group_segment_fixed_size 0
		.amdhsa_private_segment_fixed_size 0
		.amdhsa_kernarg_size 96
		.amdhsa_user_sgpr_count 6
		.amdhsa_user_sgpr_private_segment_buffer 1
		.amdhsa_user_sgpr_dispatch_ptr 0
		.amdhsa_user_sgpr_queue_ptr 0
		.amdhsa_user_sgpr_kernarg_segment_ptr 1
		.amdhsa_user_sgpr_dispatch_id 0
		.amdhsa_user_sgpr_flat_scratch_init 0
		.amdhsa_user_sgpr_kernarg_preload_length 0
		.amdhsa_user_sgpr_kernarg_preload_offset 0
		.amdhsa_user_sgpr_private_segment_size 0
		.amdhsa_uses_dynamic_stack 0
		.amdhsa_system_sgpr_private_segment_wavefront_offset 0
		.amdhsa_system_sgpr_workgroup_id_x 1
		.amdhsa_system_sgpr_workgroup_id_y 0
		.amdhsa_system_sgpr_workgroup_id_z 0
		.amdhsa_system_sgpr_workgroup_info 0
		.amdhsa_system_vgpr_workitem_id 0
		.amdhsa_next_free_vgpr 104
		.amdhsa_next_free_sgpr 22
		.amdhsa_accum_offset 104
		.amdhsa_reserve_vcc 1
		.amdhsa_reserve_flat_scratch 0
		.amdhsa_float_round_mode_32 0
		.amdhsa_float_round_mode_16_64 0
		.amdhsa_float_denorm_mode_32 3
		.amdhsa_float_denorm_mode_16_64 3
		.amdhsa_dx10_clamp 1
		.amdhsa_ieee_mode 1
		.amdhsa_fp16_overflow 0
		.amdhsa_tg_split 0
		.amdhsa_exception_fp_ieee_invalid_op 0
		.amdhsa_exception_fp_denorm_src 0
		.amdhsa_exception_fp_ieee_div_zero 0
		.amdhsa_exception_fp_ieee_overflow 0
		.amdhsa_exception_fp_ieee_underflow 0
		.amdhsa_exception_fp_ieee_inexact 0
		.amdhsa_exception_int_div_zero 0
	.end_amdhsa_kernel
	.section	.text._ZN9rocsparseL18bsrxmvn_4x4_kernelILj128ELj32E21rocsparse_complex_numIfEliS2_S2_S2_EEvT3_20rocsparse_direction_NS_24const_host_device_scalarIT1_EES3_PKS3_PKT2_SC_S9_PKT4_PKT5_S7_PT6_21rocsparse_index_base_b,"axG",@progbits,_ZN9rocsparseL18bsrxmvn_4x4_kernelILj128ELj32E21rocsparse_complex_numIfEliS2_S2_S2_EEvT3_20rocsparse_direction_NS_24const_host_device_scalarIT1_EES3_PKS3_PKT2_SC_S9_PKT4_PKT5_S7_PT6_21rocsparse_index_base_b,comdat
.Lfunc_end33:
	.size	_ZN9rocsparseL18bsrxmvn_4x4_kernelILj128ELj32E21rocsparse_complex_numIfEliS2_S2_S2_EEvT3_20rocsparse_direction_NS_24const_host_device_scalarIT1_EES3_PKS3_PKT2_SC_S9_PKT4_PKT5_S7_PT6_21rocsparse_index_base_b, .Lfunc_end33-_ZN9rocsparseL18bsrxmvn_4x4_kernelILj128ELj32E21rocsparse_complex_numIfEliS2_S2_S2_EEvT3_20rocsparse_direction_NS_24const_host_device_scalarIT1_EES3_PKS3_PKT2_SC_S9_PKT4_PKT5_S7_PT6_21rocsparse_index_base_b
                                        ; -- End function
	.section	.AMDGPU.csdata,"",@progbits
; Kernel info:
; codeLenInByte = 7496
; NumSgprs: 26
; NumVgprs: 104
; NumAgprs: 0
; TotalNumVgprs: 104
; ScratchSize: 0
; MemoryBound: 0
; FloatMode: 240
; IeeeMode: 1
; LDSByteSize: 0 bytes/workgroup (compile time only)
; SGPRBlocks: 3
; VGPRBlocks: 12
; NumSGPRsForWavesPerEU: 26
; NumVGPRsForWavesPerEU: 104
; AccumOffset: 104
; Occupancy: 4
; WaveLimiterHint : 1
; COMPUTE_PGM_RSRC2:SCRATCH_EN: 0
; COMPUTE_PGM_RSRC2:USER_SGPR: 6
; COMPUTE_PGM_RSRC2:TRAP_HANDLER: 0
; COMPUTE_PGM_RSRC2:TGID_X_EN: 1
; COMPUTE_PGM_RSRC2:TGID_Y_EN: 0
; COMPUTE_PGM_RSRC2:TGID_Z_EN: 0
; COMPUTE_PGM_RSRC2:TIDIG_COMP_CNT: 0
; COMPUTE_PGM_RSRC3_GFX90A:ACCUM_OFFSET: 25
; COMPUTE_PGM_RSRC3_GFX90A:TG_SPLIT: 0
	.section	.text._ZN9rocsparseL18bsrxmvn_4x4_kernelILj128ELj64E21rocsparse_complex_numIfEliS2_S2_S2_EEvT3_20rocsparse_direction_NS_24const_host_device_scalarIT1_EES3_PKS3_PKT2_SC_S9_PKT4_PKT5_S7_PT6_21rocsparse_index_base_b,"axG",@progbits,_ZN9rocsparseL18bsrxmvn_4x4_kernelILj128ELj64E21rocsparse_complex_numIfEliS2_S2_S2_EEvT3_20rocsparse_direction_NS_24const_host_device_scalarIT1_EES3_PKS3_PKT2_SC_S9_PKT4_PKT5_S7_PT6_21rocsparse_index_base_b,comdat
	.globl	_ZN9rocsparseL18bsrxmvn_4x4_kernelILj128ELj64E21rocsparse_complex_numIfEliS2_S2_S2_EEvT3_20rocsparse_direction_NS_24const_host_device_scalarIT1_EES3_PKS3_PKT2_SC_S9_PKT4_PKT5_S7_PT6_21rocsparse_index_base_b ; -- Begin function _ZN9rocsparseL18bsrxmvn_4x4_kernelILj128ELj64E21rocsparse_complex_numIfEliS2_S2_S2_EEvT3_20rocsparse_direction_NS_24const_host_device_scalarIT1_EES3_PKS3_PKT2_SC_S9_PKT4_PKT5_S7_PT6_21rocsparse_index_base_b
	.p2align	8
	.type	_ZN9rocsparseL18bsrxmvn_4x4_kernelILj128ELj64E21rocsparse_complex_numIfEliS2_S2_S2_EEvT3_20rocsparse_direction_NS_24const_host_device_scalarIT1_EES3_PKS3_PKT2_SC_S9_PKT4_PKT5_S7_PT6_21rocsparse_index_base_b,@function
_ZN9rocsparseL18bsrxmvn_4x4_kernelILj128ELj64E21rocsparse_complex_numIfEliS2_S2_S2_EEvT3_20rocsparse_direction_NS_24const_host_device_scalarIT1_EES3_PKS3_PKT2_SC_S9_PKT4_PKT5_S7_PT6_21rocsparse_index_base_b: ; @_ZN9rocsparseL18bsrxmvn_4x4_kernelILj128ELj64E21rocsparse_complex_numIfEliS2_S2_S2_EEvT3_20rocsparse_direction_NS_24const_host_device_scalarIT1_EES3_PKS3_PKT2_SC_S9_PKT4_PKT5_S7_PT6_21rocsparse_index_base_b
; %bb.0:
	s_load_dwordx2 s[16:17], s[4:5], 0x58
	s_load_dwordx2 s[8:9], s[4:5], 0x8
	;; [unrolled: 1-line block ×3, first 2 shown]
	s_waitcnt lgkmcnt(0)
	s_bitcmp1_b32 s17, 0
	s_cselect_b64 s[0:1], -1, 0
	s_xor_b64 s[10:11], s[0:1], -1
	s_and_b64 vcc, exec, s[0:1]
	v_mov_b32_e32 v52, s8
	s_cbranch_vccnz .LBB34_2
; %bb.1:
	v_pk_mov_b32 v[2:3], s[8:9], s[8:9] op_sel:[0,1]
	flat_load_dword v52, v[2:3]
.LBB34_2:
	v_cndmask_b32_e64 v1, 0, 1, s[10:11]
	v_cmp_ne_u32_e64 s[0:1], 1, v1
	s_andn2_b64 vcc, exec, s[10:11]
	v_mov_b32_e32 v53, s9
	s_cbranch_vccz .LBB34_15
; %bb.3:
	s_and_b64 vcc, exec, s[0:1]
	v_mov_b32_e32 v54, s2
	s_cbranch_vccz .LBB34_16
.LBB34_4:
	s_and_b64 vcc, exec, s[0:1]
	v_mov_b32_e32 v55, s3
	s_cbranch_vccnz .LBB34_6
.LBB34_5:
	v_pk_mov_b32 v[2:3], s[2:3], s[2:3] op_sel:[0,1]
	flat_load_dword v55, v[2:3] offset:4
.LBB34_6:
	s_waitcnt vmcnt(0) lgkmcnt(0)
	v_and_b32_e32 v1, 0x7fffffff, v52
	v_cmp_eq_u32_e32 vcc, 0, v1
	v_cmp_eq_f32_e64 s[0:1], 0, v53
	s_and_b64 s[8:9], vcc, s[0:1]
	s_mov_b64 s[0:1], -1
	s_and_saveexec_b64 s[2:3], s[8:9]
; %bb.7:
	v_and_b32_e32 v1, 0x7fffffff, v55
	v_cmp_neq_f32_e32 vcc, 1.0, v54
	v_cmp_ne_u32_e64 s[0:1], 0, v1
	s_or_b64 s[0:1], vcc, s[0:1]
	s_orn2_b64 s[0:1], s[0:1], exec
; %bb.8:
	s_or_b64 exec, exec, s[2:3]
	s_and_saveexec_b64 s[2:3], s[0:1]
	s_cbranch_execz .LBB34_14
; %bb.9:
	s_load_dwordx2 s[8:9], s[4:5], 0x18
	s_load_dwordx2 s[0:1], s[4:5], 0x0
	v_lshrrev_b32_e32 v1, 6, v0
	v_lshl_or_b32 v56, s6, 1, v1
	s_mov_b64 s[2:3], 0
	s_waitcnt lgkmcnt(0)
	s_cmp_lg_u64 s[8:9], 0
	s_cbranch_scc0 .LBB34_17
; %bb.10:
	s_load_dword s6, s[4:5], 0x10
                                        ; implicit-def: $vgpr1
	s_waitcnt lgkmcnt(0)
	v_cmp_gt_i32_e32 vcc, s6, v56
	s_and_saveexec_b64 s[6:7], vcc
	s_xor_b64 s[6:7], exec, s[6:7]
	s_cbranch_execz .LBB34_12
; %bb.11:
	v_ashrrev_i32_e32 v57, 31, v56
	v_lshlrev_b64 v[2:3], 2, v[56:57]
	v_mov_b32_e32 v1, s9
	v_add_co_u32_e32 v2, vcc, s8, v2
	v_addc_co_u32_e32 v3, vcc, v1, v3, vcc
	global_load_dword v1, v[2:3], off
	s_mov_b64 s[2:3], exec
	s_waitcnt vmcnt(0)
	v_subrev_u32_e32 v1, s16, v1
.LBB34_12:
	s_or_b64 exec, exec, s[6:7]
	s_branch .LBB34_18
.LBB34_13:
	v_cmp_gt_i32_e32 vcc, s0, v56
	s_andn2_b64 s[2:3], s[2:3], exec
	s_and_b64 s[6:7], vcc, exec
	s_or_b64 s[2:3], s[2:3], s[6:7]
	s_and_b64 exec, exec, s[2:3]
	s_cbranch_execnz .LBB34_19
.LBB34_14:
	s_endpgm
.LBB34_15:
	v_pk_mov_b32 v[2:3], s[8:9], s[8:9] op_sel:[0,1]
	flat_load_dword v53, v[2:3] offset:4
	s_and_b64 vcc, exec, s[0:1]
	v_mov_b32_e32 v54, s2
	s_cbranch_vccnz .LBB34_4
.LBB34_16:
	v_pk_mov_b32 v[2:3], s[2:3], s[2:3] op_sel:[0,1]
	flat_load_dword v54, v[2:3]
	s_and_b64 vcc, exec, s[0:1]
	v_mov_b32_e32 v55, s3
	s_cbranch_vccz .LBB34_5
	s_branch .LBB34_6
.LBB34_17:
                                        ; implicit-def: $vgpr1
	s_cbranch_execnz .LBB34_13
.LBB34_18:
	v_mov_b32_e32 v56, v1
	s_and_b64 exec, exec, s[2:3]
	s_cbranch_execz .LBB34_14
.LBB34_19:
	s_load_dwordx8 s[8:15], s[4:5], 0x20
	v_ashrrev_i32_e32 v57, 31, v56
	v_lshlrev_b64 v[2:3], 3, v[56:57]
	v_and_b32_e32 v58, 63, v0
	s_load_dwordx2 s[6:7], s[4:5], 0x40
	s_waitcnt lgkmcnt(0)
	v_mov_b32_e32 v1, s9
	v_add_co_u32_e32 v4, vcc, s8, v2
	v_addc_co_u32_e32 v5, vcc, v1, v3, vcc
	v_add_co_u32_e32 v1, vcc, 8, v4
	global_load_dwordx2 v[26:27], v[4:5], off
	v_addc_co_u32_e32 v4, vcc, 0, v5, vcc
	v_mov_b32_e32 v5, s11
	v_add_co_u32_e32 v2, vcc, s10, v2
	s_cmp_eq_u64 s[10:11], 0
	v_addc_co_u32_e32 v3, vcc, v5, v3, vcc
	s_cselect_b64 vcc, -1, 0
	v_cndmask_b32_e32 v3, v3, v4, vcc
	v_cndmask_b32_e32 v2, v2, v1, vcc
	global_load_dwordx2 v[2:3], v[2:3], off
	v_mov_b32_e32 v4, s15
	s_mov_b32 s17, 0
	v_mov_b32_e32 v43, 0
	s_cmp_eq_u32 s1, 1
	s_waitcnt vmcnt(1)
	v_subrev_co_u32_e32 v0, vcc, s16, v26
	v_subbrev_co_u32_e32 v1, vcc, 0, v27, vcc
	v_add_co_u32_e32 v60, vcc, v0, v58
	v_addc_co_u32_e32 v61, vcc, 0, v1, vcc
	v_lshlrev_b64 v[0:1], 7, v[60:61]
	s_waitcnt vmcnt(0)
	v_subrev_co_u32_e32 v62, vcc, s16, v2
	v_subbrev_co_u32_e32 v63, vcc, 0, v3, vcc
	v_add_co_u32_e32 v64, vcc, s14, v0
	v_addc_co_u32_e32 v65, vcc, v4, v1, vcc
	v_cmp_lt_i64_e64 s[0:1], v[60:61], v[62:63]
	s_cbranch_scc1 .LBB34_31
; %bb.20:
	v_mov_b32_e32 v42, 0
	v_mov_b32_e32 v37, 0
	;; [unrolled: 1-line block ×7, first 2 shown]
	s_and_saveexec_b64 s[8:9], s[0:1]
	s_cbranch_execz .LBB34_30
; %bb.21:
	v_or_b32_e32 v0, 64, v58
	v_mov_b32_e32 v1, s17
	v_subrev_co_u32_e32 v0, vcc, s16, v0
	v_subb_co_u32_e32 v1, vcc, 0, v1, vcc
	v_add_co_u32_e32 v0, vcc, v0, v26
	v_addc_co_u32_e32 v1, vcc, v1, v27, vcc
	v_cmp_gt_i64_e32 vcc, v[0:1], v[62:63]
	v_cndmask_b32_e32 v1, v63, v1, vcc
	v_cndmask_b32_e32 v0, v62, v0, vcc
	v_mov_b32_e32 v4, s17
	v_sub_co_u32_e32 v5, vcc, s16, v58
	v_not_b32_e32 v3, v26
	v_subbrev_co_u32_e32 v4, vcc, 0, v4, vcc
	v_not_b32_e32 v2, v27
	v_add_co_u32_e32 v3, vcc, v5, v3
	v_addc_co_u32_e32 v2, vcc, v4, v2, vcc
	v_add_co_u32_e32 v0, vcc, v3, v0
	v_addc_co_u32_e32 v1, vcc, v2, v1, vcc
	v_lshrrev_b32_e32 v2, 6, v0
	v_add_u32_e32 v2, 1, v2
	v_and_b32_e32 v2, 3, v2
	v_mov_b32_e32 v41, 0
	v_cmp_ne_u32_e32 vcc, 0, v2
	v_mov_b32_e32 v40, v41
	v_mov_b32_e32 v39, v41
	;; [unrolled: 1-line block ×7, first 2 shown]
	v_pk_mov_b32 v[28:29], v[64:65], v[64:65] op_sel:[0,1]
	v_pk_mov_b32 v[30:31], v[60:61], v[60:61] op_sel:[0,1]
	s_and_saveexec_b64 s[10:11], vcc
	s_cbranch_execz .LBB34_25
; %bb.22:
	v_lshlrev_b64 v[4:5], 2, v[60:61]
	v_mov_b32_e32 v3, 0
	v_mov_b32_e32 v6, s13
	v_add_co_u32_e32 v4, vcc, s12, v4
	v_addc_co_u32_e32 v5, vcc, v6, v5, vcc
	v_lshlrev_b32_e32 v2, 2, v2
	s_mov_b64 s[14:15], 0
	s_movk_i32 s18, 0x2000
	v_mov_b32_e32 v6, s7
	v_pk_mov_b32 v[30:31], v[60:61], v[60:61] op_sel:[0,1]
	v_pk_mov_b32 v[28:29], v[64:65], v[64:65] op_sel:[0,1]
	v_mov_b32_e32 v40, v3
	v_mov_b32_e32 v41, v3
	;; [unrolled: 1-line block ×8, first 2 shown]
.LBB34_23:                              ; =>This Inner Loop Header: Depth=1
	global_load_dword v7, v[4:5], off
	global_load_dwordx4 v[8:11], v[28:29], off
	global_load_dwordx4 v[12:15], v[28:29], off offset:16
	global_load_dwordx4 v[16:19], v[28:29], off offset:48
	;; [unrolled: 1-line block ×7, first 2 shown]
	v_add_co_u32_e64 v30, s[2:3], 64, v30
	v_addc_co_u32_e64 v31, s[2:3], 0, v31, s[2:3]
	v_add_co_u32_e64 v2, s[2:3], -4, v2
	v_addc_co_u32_e64 v3, s[2:3], -1, v3, s[2:3]
	v_cmp_eq_u64_e64 s[2:3], 0, v[2:3]
	s_or_b64 s[14:15], s[2:3], s[14:15]
	s_waitcnt vmcnt(8)
	v_subrev_u32_e32 v7, s16, v7
	v_lshlrev_b32_e32 v24, 2, v7
	v_ashrrev_i32_e32 v25, 31, v24
	v_lshlrev_b64 v[24:25], 3, v[24:25]
	v_add_co_u32_e32 v24, vcc, s6, v24
	v_addc_co_u32_e32 v25, vcc, v6, v25, vcc
	global_load_dwordx4 v[70:73], v[24:25], off
	global_load_dwordx4 v[74:77], v[24:25], off offset:16
	s_waitcnt vmcnt(9)
	v_xor_b32_e32 v24, 0x80000000, v11
	v_mov_b32_e32 v25, v10
	s_waitcnt vmcnt(6)
	v_xor_b32_e32 v80, 0x80000000, v23
	v_mov_b32_e32 v81, v22
	;; [unrolled: 3-line block ×3, first 2 shown]
	v_xor_b32_e32 v88, 0x80000000, v47
	v_mov_b32_e32 v89, v46
	v_add_co_u32_e32 v28, vcc, s18, v28
	v_addc_co_u32_e32 v29, vcc, 0, v29, vcc
	v_add_co_u32_e32 v4, vcc, 0x100, v4
	v_xor_b32_e32 v78, 0x80000000, v15
	v_mov_b32_e32 v79, v14
	v_xor_b32_e32 v82, 0x80000000, v19
	v_mov_b32_e32 v83, v18
	;; [unrolled: 2-line block ×4, first 2 shown]
	v_addc_co_u32_e32 v5, vcc, 0, v5, vcc
	s_waitcnt vmcnt(1)
	v_pk_fma_f32 v[42:43], v[8:9], v[70:71], v[42:43] op_sel_hi:[1,0,1]
	v_pk_fma_f32 v[40:41], v[20:21], v[70:71], v[40:41] op_sel_hi:[1,0,1]
	;; [unrolled: 1-line block ×4, first 2 shown]
	v_pk_fma_f32 v[8:9], v[8:9], v[70:71], v[42:43] op_sel:[1,1,0] op_sel_hi:[0,1,1] neg_lo:[1,0,0]
	v_pk_fma_f32 v[20:21], v[20:21], v[70:71], v[40:41] op_sel:[1,1,0] op_sel_hi:[0,1,1] neg_lo:[1,0,0]
	;; [unrolled: 1-line block ×4, first 2 shown]
	v_mov_b32_e32 v92, v73
	v_pk_fma_f32 v[8:9], v[10:11], v[72:73], v[8:9] op_sel_hi:[1,0,1]
	v_pk_fma_f32 v[10:11], v[22:23], v[72:73], v[20:21] op_sel_hi:[1,0,1]
	;; [unrolled: 1-line block ×8, first 2 shown]
	s_waitcnt vmcnt(0)
	v_pk_fma_f32 v[8:9], v[12:13], v[74:75], v[8:9] op_sel_hi:[1,0,1]
	v_pk_fma_f32 v[10:11], v[16:17], v[74:75], v[10:11] op_sel_hi:[1,0,1]
	;; [unrolled: 1-line block ×4, first 2 shown]
	v_pk_fma_f32 v[8:9], v[12:13], v[74:75], v[8:9] op_sel:[1,1,0] op_sel_hi:[0,1,1] neg_lo:[1,0,0]
	v_pk_fma_f32 v[10:11], v[16:17], v[74:75], v[10:11] op_sel:[1,1,0] op_sel_hi:[0,1,1] neg_lo:[1,0,0]
	;; [unrolled: 1-line block ×4, first 2 shown]
	v_mov_b32_e32 v94, v77
	v_pk_fma_f32 v[8:9], v[14:15], v[76:77], v[8:9] op_sel_hi:[1,0,1]
	v_pk_fma_f32 v[10:11], v[18:19], v[76:77], v[10:11] op_sel_hi:[1,0,1]
	;; [unrolled: 1-line block ×8, first 2 shown]
	s_andn2_b64 exec, exec, s[14:15]
	s_cbranch_execnz .LBB34_23
; %bb.24:
	s_or_b64 exec, exec, s[14:15]
.LBB34_25:
	s_or_b64 exec, exec, s[10:11]
	s_mov_b64 s[2:3], 0xbf
	v_cmp_lt_u64_e32 vcc, s[2:3], v[0:1]
	s_and_saveexec_b64 s[10:11], vcc
	s_cbranch_execz .LBB34_29
; %bb.26:
	v_lshlrev_b64 v[0:1], 2, v[30:31]
	v_mov_b32_e32 v2, s13
	v_add_co_u32_e32 v0, vcc, s12, v0
	v_addc_co_u32_e32 v1, vcc, v1, v2, vcc
	v_add_co_u32_e32 v32, vcc, 0x200, v0
	v_addc_co_u32_e32 v33, vcc, 0, v1, vcc
	s_mov_b64 s[14:15], 0
	v_mov_b32_e32 v44, s7
	s_movk_i32 s18, 0x2000
	s_movk_i32 s19, 0x4000
	;; [unrolled: 1-line block ×4, first 2 shown]
.LBB34_27:                              ; =>This Inner Loop Header: Depth=1
	global_load_dword v0, v[32:33], off offset:-512
	s_waitcnt vmcnt(0)
	v_subrev_u32_e32 v0, s16, v0
	v_lshlrev_b32_e32 v0, 2, v0
	v_ashrrev_i32_e32 v1, 31, v0
	v_lshlrev_b64 v[0:1], 3, v[0:1]
	v_add_co_u32_e32 v4, vcc, s6, v0
	v_addc_co_u32_e32 v5, vcc, v44, v1, vcc
	global_load_dwordx4 v[0:3], v[4:5], off offset:16
	global_load_dwordx4 v[22:25], v[4:5], off
	global_load_dword v6, v[32:33], off offset:-256
	s_waitcnt vmcnt(2)
	v_mov_b32_e32 v50, v3
	s_waitcnt vmcnt(0)
	v_subrev_u32_e32 v4, s16, v6
	v_lshlrev_b32_e32 v4, 2, v4
	v_ashrrev_i32_e32 v5, 31, v4
	v_lshlrev_b64 v[4:5], 3, v[4:5]
	v_add_co_u32_e32 v20, vcc, s6, v4
	v_addc_co_u32_e32 v21, vcc, v44, v5, vcc
	global_load_dwordx4 v[4:7], v[20:21], off offset:16
	global_load_dwordx4 v[8:11], v[20:21], off
	global_load_dwordx4 v[46:49], v[28:29], off offset:48
	global_load_dwordx4 v[66:69], v[28:29], off offset:32
	;; [unrolled: 1-line block ×3, first 2 shown]
	global_load_dwordx4 v[16:19], v[28:29], off
	v_add_co_u32_e32 v90, vcc, s18, v28
	v_addc_co_u32_e32 v91, vcc, 0, v29, vcc
	s_waitcnt vmcnt(4)
	v_mov_b32_e32 v94, v11
	s_waitcnt vmcnt(2)
	v_xor_b32_e32 v34, 0x80000000, v69
	v_mov_b32_e32 v35, v68
	s_waitcnt vmcnt(0)
	v_pk_fma_f32 v[20:21], v[16:17], v[22:23], v[42:43] op_sel_hi:[1,0,1]
	v_pk_fma_f32 v[16:17], v[16:17], v[22:23], v[20:21] op_sel:[1,1,0] op_sel_hi:[0,1,1] neg_lo:[1,0,0]
	v_xor_b32_e32 v20, 0x80000000, v19
	v_pk_fma_f32 v[16:17], v[18:19], v[24:25], v[16:17] op_sel_hi:[1,0,1]
	v_mov_b32_e32 v21, v18
	v_mov_b32_e32 v42, v25
	v_pk_fma_f32 v[16:17], v[20:21], v[42:43], v[16:17] op_sel_hi:[1,0,1]
	v_pk_fma_f32 v[16:17], v[12:13], v[0:1], v[16:17] op_sel_hi:[1,0,1]
	v_pk_fma_f32 v[12:13], v[12:13], v[0:1], v[16:17] op_sel:[1,1,0] op_sel_hi:[0,1,1] neg_lo:[1,0,0]
	v_xor_b32_e32 v16, 0x80000000, v15
	v_pk_fma_f32 v[12:13], v[14:15], v[2:3], v[12:13] op_sel_hi:[1,0,1]
	v_mov_b32_e32 v17, v14
	v_pk_fma_f32 v[16:17], v[16:17], v[50:51], v[12:13] op_sel_hi:[1,0,1]
	global_load_dwordx4 v[70:73], v[90:91], off
	global_load_dwordx4 v[12:15], v[90:91], off offset:48
	global_load_dwordx4 v[18:21], v[90:91], off offset:32
	;; [unrolled: 1-line block ×3, first 2 shown]
	s_waitcnt vmcnt(3)
	v_pk_fma_f32 v[16:17], v[70:71], v[8:9], v[16:17] op_sel_hi:[1,0,1]
	v_pk_fma_f32 v[70:71], v[70:71], v[8:9], v[16:17] op_sel:[1,1,0] op_sel_hi:[0,1,1] neg_lo:[1,0,0]
	v_pk_fma_f32 v[16:17], v[66:67], v[22:23], v[40:41] op_sel_hi:[1,0,1]
	v_pk_fma_f32 v[16:17], v[66:67], v[22:23], v[16:17] op_sel:[1,1,0] op_sel_hi:[0,1,1] neg_lo:[1,0,0]
	v_pk_fma_f32 v[16:17], v[68:69], v[24:25], v[16:17] op_sel_hi:[1,0,1]
	v_pk_fma_f32 v[16:17], v[34:35], v[42:43], v[16:17] op_sel_hi:[1,0,1]
	;; [unrolled: 1-line block ×3, first 2 shown]
	v_pk_fma_f32 v[16:17], v[46:47], v[0:1], v[16:17] op_sel:[1,1,0] op_sel_hi:[0,1,1] neg_lo:[1,0,0]
	v_xor_b32_e32 v34, 0x80000000, v49
	v_pk_fma_f32 v[16:17], v[48:49], v[2:3], v[16:17] op_sel_hi:[1,0,1]
	v_mov_b32_e32 v35, v48
	v_pk_fma_f32 v[16:17], v[34:35], v[50:51], v[16:17] op_sel_hi:[1,0,1]
	s_waitcnt vmcnt(1)
	v_pk_fma_f32 v[16:17], v[18:19], v[8:9], v[16:17] op_sel_hi:[1,0,1]
	v_pk_fma_f32 v[40:41], v[18:19], v[8:9], v[16:17] op_sel:[1,1,0] op_sel_hi:[0,1,1] neg_lo:[1,0,0]
	global_load_dwordx4 v[16:19], v[28:29], off offset:112
	global_load_dwordx4 v[46:49], v[28:29], off offset:96
	;; [unrolled: 1-line block ×4, first 2 shown]
	v_xor_b32_e32 v92, 0x80000000, v73
	v_mov_b32_e32 v93, v72
	v_xor_b32_e32 v34, 0x80000000, v21
	v_mov_b32_e32 v35, v20
	s_waitcnt vmcnt(2)
	v_pk_fma_f32 v[36:37], v[46:47], v[22:23], v[36:37] op_sel_hi:[1,0,1]
	s_waitcnt vmcnt(0)
	v_pk_fma_f32 v[38:39], v[78:79], v[22:23], v[38:39] op_sel_hi:[1,0,1]
	v_pk_fma_f32 v[38:39], v[78:79], v[22:23], v[38:39] op_sel:[1,1,0] op_sel_hi:[0,1,1] neg_lo:[1,0,0]
	v_xor_b32_e32 v78, 0x80000000, v81
	v_pk_fma_f32 v[38:39], v[80:81], v[24:25], v[38:39] op_sel_hi:[1,0,1]
	v_mov_b32_e32 v79, v80
	v_pk_fma_f32 v[38:39], v[78:79], v[42:43], v[38:39] op_sel_hi:[1,0,1]
	v_pk_fma_f32 v[38:39], v[66:67], v[0:1], v[38:39] op_sel_hi:[1,0,1]
	v_pk_fma_f32 v[38:39], v[66:67], v[0:1], v[38:39] op_sel:[1,1,0] op_sel_hi:[0,1,1] neg_lo:[1,0,0]
	v_xor_b32_e32 v66, 0x80000000, v69
	v_pk_fma_f32 v[38:39], v[68:69], v[2:3], v[38:39] op_sel_hi:[1,0,1]
	v_mov_b32_e32 v67, v68
	v_pk_fma_f32 v[38:39], v[66:67], v[50:51], v[38:39] op_sel_hi:[1,0,1]
	global_load_dwordx4 v[66:69], v[90:91], off offset:112
	global_load_dwordx4 v[78:81], v[90:91], off offset:96
	;; [unrolled: 1-line block ×4, first 2 shown]
	v_pk_fma_f32 v[22:23], v[46:47], v[22:23], v[36:37] op_sel:[1,1,0] op_sel_hi:[0,1,1] neg_lo:[1,0,0]
	v_xor_b32_e32 v36, 0x80000000, v49
	v_pk_fma_f32 v[22:23], v[48:49], v[24:25], v[22:23] op_sel_hi:[1,0,1]
	v_mov_b32_e32 v37, v48
	v_pk_fma_f32 v[22:23], v[36:37], v[42:43], v[22:23] op_sel_hi:[1,0,1]
	v_pk_fma_f32 v[22:23], v[16:17], v[0:1], v[22:23] op_sel_hi:[1,0,1]
	v_pk_fma_f32 v[0:1], v[16:17], v[0:1], v[22:23] op_sel:[1,1,0] op_sel_hi:[0,1,1] neg_lo:[1,0,0]
	v_xor_b32_e32 v16, 0x80000000, v19
	v_pk_fma_f32 v[0:1], v[18:19], v[2:3], v[0:1] op_sel_hi:[1,0,1]
	v_mov_b32_e32 v17, v18
	v_pk_fma_f32 v[0:1], v[16:17], v[50:51], v[0:1] op_sel_hi:[1,0,1]
	v_mov_b32_e32 v17, v76
	v_xor_b32_e32 v16, 0x80000000, v77
	s_waitcnt vmcnt(2)
	v_pk_fma_f32 v[0:1], v[78:79], v[8:9], v[0:1] op_sel_hi:[1,0,1]
	v_pk_fma_f32 v[50:51], v[78:79], v[8:9], v[0:1] op_sel:[1,1,0] op_sel_hi:[0,1,1] neg_lo:[1,0,0]
	global_load_dword v0, v[32:33], off
	s_waitcnt vmcnt(1)
	v_pk_fma_f32 v[38:39], v[86:87], v[8:9], v[38:39] op_sel_hi:[1,0,1]
	v_pk_fma_f32 v[86:87], v[86:87], v[8:9], v[38:39] op_sel:[1,1,0] op_sel_hi:[0,1,1] neg_lo:[1,0,0]
	v_xor_b32_e32 v90, 0x80000000, v89
	v_mov_b32_e32 v91, v88
	v_xor_b32_e32 v78, 0x80000000, v81
	v_mov_b32_e32 v79, v80
	s_waitcnt vmcnt(0)
	v_subrev_u32_e32 v0, s16, v0
	v_lshlrev_b32_e32 v0, 2, v0
	v_ashrrev_i32_e32 v1, 31, v0
	v_lshlrev_b64 v[0:1], 3, v[0:1]
	v_add_co_u32_e32 v8, vcc, s6, v0
	v_addc_co_u32_e32 v9, vcc, v44, v1, vcc
	global_load_dwordx4 v[0:3], v[8:9], off offset:16
	global_load_dwordx4 v[36:39], v[8:9], off
	v_pk_fma_f32 v[8:9], v[72:73], v[10:11], v[70:71] op_sel_hi:[1,0,1]
	v_pk_fma_f32 v[8:9], v[92:93], v[94:95], v[8:9] op_sel_hi:[1,0,1]
	;; [unrolled: 1-line block ×3, first 2 shown]
	v_pk_fma_f32 v[8:9], v[74:75], v[4:5], v[8:9] op_sel:[1,1,0] op_sel_hi:[0,1,1] neg_lo:[1,0,0]
	v_pk_fma_f32 v[8:9], v[76:77], v[6:7], v[8:9] op_sel_hi:[1,0,1]
	v_add_co_u32_e32 v76, vcc, s19, v28
	v_mov_b32_e32 v74, v7
	v_addc_co_u32_e32 v77, vcc, 0, v29, vcc
	v_pk_fma_f32 v[8:9], v[16:17], v[74:75], v[8:9] op_sel_hi:[1,0,1]
	global_load_dwordx4 v[22:25], v[76:77], off
	global_load_dwordx4 v[16:19], v[76:77], off offset:48
	global_load_dwordx4 v[46:49], v[76:77], off offset:32
	;; [unrolled: 1-line block ×3, first 2 shown]
	s_waitcnt vmcnt(4)
	v_mov_b32_e32 v92, v39
	s_waitcnt vmcnt(3)
	v_pk_fma_f32 v[8:9], v[22:23], v[36:37], v[8:9] op_sel_hi:[1,0,1]
	v_pk_fma_f32 v[8:9], v[22:23], v[36:37], v[8:9] op_sel:[1,1,0] op_sel_hi:[0,1,1] neg_lo:[1,0,0]
	v_xor_b32_e32 v22, 0x80000000, v25
	v_pk_fma_f32 v[8:9], v[24:25], v[38:39], v[8:9] op_sel_hi:[1,0,1]
	v_mov_b32_e32 v23, v24
	v_pk_fma_f32 v[8:9], v[22:23], v[92:93], v[8:9] op_sel_hi:[1,0,1]
	s_waitcnt vmcnt(0)
	v_pk_fma_f32 v[96:97], v[70:71], v[0:1], v[8:9] op_sel_hi:[1,0,1]
	v_pk_fma_f32 v[8:9], v[20:21], v[10:11], v[40:41] op_sel_hi:[1,0,1]
	;; [unrolled: 1-line block ×4, first 2 shown]
	v_pk_fma_f32 v[8:9], v[12:13], v[4:5], v[8:9] op_sel:[1,1,0] op_sel_hi:[0,1,1] neg_lo:[1,0,0]
	v_xor_b32_e32 v12, 0x80000000, v15
	v_pk_fma_f32 v[8:9], v[14:15], v[6:7], v[8:9] op_sel_hi:[1,0,1]
	v_mov_b32_e32 v13, v14
	v_pk_fma_f32 v[8:9], v[12:13], v[74:75], v[8:9] op_sel_hi:[1,0,1]
	v_pk_fma_f32 v[8:9], v[46:47], v[36:37], v[8:9] op_sel_hi:[1,0,1]
	v_pk_fma_f32 v[8:9], v[46:47], v[36:37], v[8:9] op_sel:[1,1,0] op_sel_hi:[0,1,1] neg_lo:[1,0,0]
	v_xor_b32_e32 v12, 0x80000000, v49
	v_pk_fma_f32 v[8:9], v[48:49], v[38:39], v[8:9] op_sel_hi:[1,0,1]
	v_mov_b32_e32 v13, v48
	v_pk_fma_f32 v[8:9], v[12:13], v[92:93], v[8:9] op_sel_hi:[1,0,1]
	v_pk_fma_f32 v[12:13], v[88:89], v[10:11], v[86:87] op_sel_hi:[1,0,1]
	;; [unrolled: 1-line block ×4, first 2 shown]
	v_pk_fma_f32 v[12:13], v[82:83], v[4:5], v[12:13] op_sel:[1,1,0] op_sel_hi:[0,1,1] neg_lo:[1,0,0]
	v_xor_b32_e32 v14, 0x80000000, v85
	v_pk_fma_f32 v[12:13], v[84:85], v[6:7], v[12:13] op_sel_hi:[1,0,1]
	v_mov_b32_e32 v15, v84
	v_pk_fma_f32 v[24:25], v[14:15], v[74:75], v[12:13] op_sel_hi:[1,0,1]
	global_load_dwordx4 v[12:15], v[76:77], off offset:112
	global_load_dwordx4 v[40:43], v[76:77], off offset:96
	;; [unrolled: 1-line block ×4, first 2 shown]
	v_pk_fma_f32 v[10:11], v[80:81], v[10:11], v[50:51] op_sel_hi:[1,0,1]
	v_pk_fma_f32 v[10:11], v[78:79], v[94:95], v[10:11] op_sel_hi:[1,0,1]
	;; [unrolled: 1-line block ×3, first 2 shown]
	v_pk_fma_f32 v[4:5], v[66:67], v[4:5], v[10:11] op_sel:[1,1,0] op_sel_hi:[0,1,1] neg_lo:[1,0,0]
	v_xor_b32_e32 v10, 0x80000000, v69
	v_pk_fma_f32 v[4:5], v[68:69], v[6:7], v[4:5] op_sel_hi:[1,0,1]
	v_mov_b32_e32 v11, v68
	v_pk_fma_f32 v[4:5], v[10:11], v[74:75], v[4:5] op_sel_hi:[1,0,1]
	v_xor_b32_e32 v10, 0x80000000, v73
	v_mov_b32_e32 v11, v72
	v_mov_b32_e32 v50, v3
	v_pk_fma_f32 v[8:9], v[16:17], v[0:1], v[8:9] op_sel_hi:[1,0,1]
	s_waitcnt vmcnt(2)
	v_pk_fma_f32 v[4:5], v[40:41], v[36:37], v[4:5] op_sel_hi:[1,0,1]
	v_pk_fma_f32 v[4:5], v[40:41], v[36:37], v[4:5] op_sel:[1,1,0] op_sel_hi:[0,1,1] neg_lo:[1,0,0]
	v_xor_b32_e32 v6, 0x80000000, v43
	v_pk_fma_f32 v[4:5], v[42:43], v[38:39], v[4:5] op_sel_hi:[1,0,1]
	v_mov_b32_e32 v7, v42
	v_pk_fma_f32 v[4:5], v[6:7], v[92:93], v[4:5] op_sel_hi:[1,0,1]
	global_load_dword v6, v[32:33], off offset:256
	s_waitcnt vmcnt(1)
	v_pk_fma_f32 v[24:25], v[46:47], v[36:37], v[24:25] op_sel_hi:[1,0,1]
	v_pk_fma_f32 v[24:25], v[46:47], v[36:37], v[24:25] op_sel:[1,1,0] op_sel_hi:[0,1,1] neg_lo:[1,0,0]
	v_xor_b32_e32 v34, 0x80000000, v49
	v_pk_fma_f32 v[24:25], v[48:49], v[38:39], v[24:25] op_sel_hi:[1,0,1]
	v_mov_b32_e32 v35, v48
	v_pk_fma_f32 v[24:25], v[34:35], v[92:93], v[24:25] op_sel_hi:[1,0,1]
	v_pk_fma_f32 v[24:25], v[20:21], v[0:1], v[24:25] op_sel_hi:[1,0,1]
	;; [unrolled: 1-line block ×3, first 2 shown]
	s_waitcnt vmcnt(0)
	v_subrev_u32_e32 v6, s16, v6
	v_lshlrev_b32_e32 v6, 2, v6
	v_ashrrev_i32_e32 v7, 31, v6
	v_lshlrev_b64 v[6:7], 3, v[6:7]
	v_add_co_u32_e32 v6, vcc, s6, v6
	v_addc_co_u32_e32 v7, vcc, v44, v7, vcc
	global_load_dwordx4 v[34:37], v[6:7], off offset:16
	global_load_dwordx4 v[46:49], v[6:7], off
	v_pk_fma_f32 v[6:7], v[70:71], v[0:1], v[96:97] op_sel:[1,1,0] op_sel_hi:[0,1,1] neg_lo:[1,0,0]
	v_pk_fma_f32 v[6:7], v[72:73], v[2:3], v[6:7] op_sel_hi:[1,0,1]
	v_pk_fma_f32 v[6:7], v[10:11], v[50:51], v[6:7] op_sel_hi:[1,0,1]
	v_add_co_u32_e32 v10, vcc, s20, v28
	v_addc_co_u32_e32 v11, vcc, 0, v29, vcc
	global_load_dwordx4 v[38:41], v[10:11], off
	global_load_dwordx4 v[66:69], v[10:11], off offset:48
	global_load_dwordx4 v[70:73], v[10:11], off offset:32
	;; [unrolled: 1-line block ×3, first 2 shown]
	v_add_co_u32_e32 v30, vcc, s21, v30
	v_addc_co_u32_e32 v31, vcc, 0, v31, vcc
	v_add_co_u32_e32 v32, vcc, 0x400, v32
	v_addc_co_u32_e32 v33, vcc, 0, v33, vcc
	v_cmp_ge_i64_e64 s[2:3], v[30:31], v[62:63]
	v_add_co_u32_e32 v28, vcc, 0x8000, v28
	v_addc_co_u32_e32 v29, vcc, 0, v29, vcc
	s_or_b64 s[14:15], s[2:3], s[14:15]
	s_waitcnt vmcnt(4)
	v_mov_b32_e32 v78, v49
	s_waitcnt vmcnt(3)
	v_pk_fma_f32 v[6:7], v[38:39], v[46:47], v[6:7] op_sel_hi:[1,0,1]
	v_pk_fma_f32 v[6:7], v[38:39], v[46:47], v[6:7] op_sel:[1,1,0] op_sel_hi:[0,1,1] neg_lo:[1,0,0]
	v_xor_b32_e32 v38, 0x80000000, v41
	v_pk_fma_f32 v[6:7], v[40:41], v[48:49], v[6:7] op_sel_hi:[1,0,1]
	v_mov_b32_e32 v39, v40
	v_pk_fma_f32 v[6:7], v[38:39], v[78:79], v[6:7] op_sel_hi:[1,0,1]
	s_waitcnt vmcnt(0)
	v_pk_fma_f32 v[6:7], v[74:75], v[34:35], v[6:7] op_sel_hi:[1,0,1]
	v_pk_fma_f32 v[6:7], v[74:75], v[34:35], v[6:7] op_sel:[1,1,0] op_sel_hi:[0,1,1] neg_lo:[1,0,0]
	v_xor_b32_e32 v38, 0x80000000, v77
	v_pk_fma_f32 v[6:7], v[76:77], v[36:37], v[6:7] op_sel_hi:[1,0,1]
	v_mov_b32_e32 v39, v76
	v_mov_b32_e32 v74, v37
	v_pk_fma_f32 v[42:43], v[38:39], v[74:75], v[6:7] op_sel_hi:[1,0,1]
	v_pk_fma_f32 v[6:7], v[16:17], v[0:1], v[8:9] op_sel:[1,1,0] op_sel_hi:[0,1,1] neg_lo:[1,0,0]
	v_xor_b32_e32 v8, 0x80000000, v19
	v_pk_fma_f32 v[6:7], v[18:19], v[2:3], v[6:7] op_sel_hi:[1,0,1]
	v_mov_b32_e32 v9, v18
	v_pk_fma_f32 v[6:7], v[8:9], v[50:51], v[6:7] op_sel_hi:[1,0,1]
	v_pk_fma_f32 v[6:7], v[70:71], v[46:47], v[6:7] op_sel_hi:[1,0,1]
	v_pk_fma_f32 v[6:7], v[70:71], v[46:47], v[6:7] op_sel:[1,1,0] op_sel_hi:[0,1,1] neg_lo:[1,0,0]
	v_xor_b32_e32 v8, 0x80000000, v73
	v_pk_fma_f32 v[6:7], v[72:73], v[48:49], v[6:7] op_sel_hi:[1,0,1]
	v_mov_b32_e32 v9, v72
	v_pk_fma_f32 v[6:7], v[8:9], v[78:79], v[6:7] op_sel_hi:[1,0,1]
	;; [unrolled: 6-line block ×3, first 2 shown]
	v_pk_fma_f32 v[6:7], v[20:21], v[0:1], v[24:25] op_sel:[1,1,0] op_sel_hi:[0,1,1] neg_lo:[1,0,0]
	v_xor_b32_e32 v8, 0x80000000, v23
	v_pk_fma_f32 v[6:7], v[22:23], v[2:3], v[6:7] op_sel_hi:[1,0,1]
	v_mov_b32_e32 v9, v22
	v_pk_fma_f32 v[24:25], v[8:9], v[50:51], v[6:7] op_sel_hi:[1,0,1]
	global_load_dwordx4 v[6:9], v[10:11], off offset:112
	global_load_dwordx4 v[16:19], v[10:11], off offset:96
	;; [unrolled: 1-line block ×4, first 2 shown]
	v_pk_fma_f32 v[0:1], v[12:13], v[0:1], v[4:5] op_sel:[1,1,0] op_sel_hi:[0,1,1] neg_lo:[1,0,0]
	v_xor_b32_e32 v4, 0x80000000, v15
	v_pk_fma_f32 v[0:1], v[14:15], v[2:3], v[0:1] op_sel_hi:[1,0,1]
	v_mov_b32_e32 v5, v14
	v_pk_fma_f32 v[0:1], v[4:5], v[50:51], v[0:1] op_sel_hi:[1,0,1]
	s_waitcnt vmcnt(2)
	v_pk_fma_f32 v[0:1], v[16:17], v[46:47], v[0:1] op_sel_hi:[1,0,1]
	v_pk_fma_f32 v[0:1], v[16:17], v[46:47], v[0:1] op_sel:[1,1,0] op_sel_hi:[0,1,1] neg_lo:[1,0,0]
	s_waitcnt vmcnt(0)
	v_pk_fma_f32 v[10:11], v[66:67], v[46:47], v[24:25] op_sel_hi:[1,0,1]
	v_pk_fma_f32 v[10:11], v[66:67], v[46:47], v[10:11] op_sel:[1,1,0] op_sel_hi:[0,1,1] neg_lo:[1,0,0]
	v_xor_b32_e32 v24, 0x80000000, v69
	v_pk_fma_f32 v[10:11], v[68:69], v[48:49], v[10:11] op_sel_hi:[1,0,1]
	v_mov_b32_e32 v25, v68
	v_xor_b32_e32 v2, 0x80000000, v19
	v_pk_fma_f32 v[0:1], v[18:19], v[48:49], v[0:1] op_sel_hi:[1,0,1]
	v_mov_b32_e32 v3, v18
	v_pk_fma_f32 v[10:11], v[24:25], v[78:79], v[10:11] op_sel_hi:[1,0,1]
	v_pk_fma_f32 v[0:1], v[2:3], v[78:79], v[0:1] op_sel_hi:[1,0,1]
	;; [unrolled: 1-line block ×4, first 2 shown]
	v_pk_fma_f32 v[10:11], v[20:21], v[34:35], v[10:11] op_sel:[1,1,0] op_sel_hi:[0,1,1] neg_lo:[1,0,0]
	v_pk_fma_f32 v[0:1], v[6:7], v[34:35], v[0:1] op_sel:[1,1,0] op_sel_hi:[0,1,1] neg_lo:[1,0,0]
	v_xor_b32_e32 v20, 0x80000000, v23
	v_pk_fma_f32 v[10:11], v[22:23], v[36:37], v[10:11] op_sel_hi:[1,0,1]
	v_mov_b32_e32 v21, v22
	v_xor_b32_e32 v2, 0x80000000, v9
	v_pk_fma_f32 v[0:1], v[8:9], v[36:37], v[0:1] op_sel_hi:[1,0,1]
	v_mov_b32_e32 v3, v8
	v_pk_fma_f32 v[38:39], v[20:21], v[74:75], v[10:11] op_sel_hi:[1,0,1]
	v_pk_fma_f32 v[36:37], v[2:3], v[74:75], v[0:1] op_sel_hi:[1,0,1]
	s_andn2_b64 exec, exec, s[14:15]
	s_cbranch_execnz .LBB34_27
; %bb.28:
	s_or_b64 exec, exec, s[14:15]
.LBB34_29:
	s_or_b64 exec, exec, s[10:11]
.LBB34_30:
	s_or_b64 exec, exec, s[8:9]
	s_cbranch_execz .LBB34_32
	s_branch .LBB34_43
.LBB34_31:
                                        ; implicit-def: $vgpr43
                                        ; implicit-def: $vgpr37
                                        ; implicit-def: $vgpr39
                                        ; implicit-def: $vgpr41
.LBB34_32:
	v_mov_b32_e32 v43, 0
	v_mov_b32_e32 v42, 0
	;; [unrolled: 1-line block ×8, first 2 shown]
	s_and_saveexec_b64 s[8:9], s[0:1]
	s_cbranch_execz .LBB34_42
; %bb.33:
	v_or_b32_e32 v0, 64, v58
	v_mov_b32_e32 v1, s17
	v_subrev_co_u32_e32 v0, vcc, s16, v0
	v_subb_co_u32_e32 v1, vcc, 0, v1, vcc
	v_add_co_u32_e32 v0, vcc, v0, v26
	v_addc_co_u32_e32 v1, vcc, v1, v27, vcc
	v_cmp_gt_i64_e32 vcc, v[0:1], v[62:63]
	v_cndmask_b32_e32 v1, v63, v1, vcc
	v_cndmask_b32_e32 v0, v62, v0, vcc
	v_mov_b32_e32 v4, s17
	v_sub_co_u32_e32 v5, vcc, s16, v58
	v_not_b32_e32 v3, v26
	v_subbrev_co_u32_e32 v4, vcc, 0, v4, vcc
	v_not_b32_e32 v2, v27
	v_add_co_u32_e32 v3, vcc, v5, v3
	v_addc_co_u32_e32 v2, vcc, v4, v2, vcc
	v_add_co_u32_e32 v0, vcc, v3, v0
	v_addc_co_u32_e32 v1, vcc, v2, v1, vcc
	v_lshrrev_b32_e32 v2, 6, v0
	v_add_u32_e32 v2, 1, v2
	v_and_b32_e32 v2, 3, v2
	v_mov_b32_e32 v41, 0
	v_cmp_ne_u32_e32 vcc, 0, v2
	v_mov_b32_e32 v40, v41
	v_mov_b32_e32 v39, v41
	;; [unrolled: 1-line block ×7, first 2 shown]
	s_and_saveexec_b64 s[2:3], vcc
	s_cbranch_execz .LBB34_37
; %bb.34:
	v_lshlrev_b64 v[4:5], 2, v[60:61]
	v_mov_b32_e32 v3, 0
	v_mov_b32_e32 v6, s13
	v_add_co_u32_e32 v4, vcc, s12, v4
	v_addc_co_u32_e32 v5, vcc, v6, v5, vcc
	v_lshlrev_b32_e32 v2, 2, v2
	s_mov_b64 s[10:11], 0
	s_movk_i32 s14, 0x2000
	v_mov_b32_e32 v6, s7
	v_mov_b32_e32 v40, v3
	;; [unrolled: 1-line block ×9, first 2 shown]
.LBB34_35:                              ; =>This Inner Loop Header: Depth=1
	global_load_dword v7, v[4:5], off
	global_load_dwordx4 v[8:11], v[64:65], off offset:48
	global_load_dwordx4 v[12:15], v[64:65], off offset:32
	;; [unrolled: 1-line block ×3, first 2 shown]
	global_load_dwordx4 v[20:23], v[64:65], off
	global_load_dwordx4 v[24:27], v[64:65], off offset:96
	global_load_dwordx4 v[28:31], v[64:65], off offset:80
	;; [unrolled: 1-line block ×3, first 2 shown]
	v_add_co_u32_e64 v60, s[0:1], 64, v60
	v_addc_co_u32_e64 v61, s[0:1], 0, v61, s[0:1]
	v_add_co_u32_e64 v2, s[0:1], -4, v2
	v_addc_co_u32_e64 v3, s[0:1], -1, v3, s[0:1]
	v_cmp_eq_u64_e64 s[0:1], 0, v[2:3]
	s_or_b64 s[10:11], s[0:1], s[10:11]
	s_waitcnt vmcnt(7)
	v_subrev_u32_e32 v7, s16, v7
	v_lshlrev_b32_e32 v44, 2, v7
	v_ashrrev_i32_e32 v45, 31, v44
	v_lshlrev_b64 v[44:45], 3, v[44:45]
	v_add_co_u32_e32 v70, vcc, s6, v44
	v_addc_co_u32_e32 v71, vcc, v6, v45, vcc
	global_load_dwordx4 v[44:47], v[70:71], off offset:16
	global_load_dwordx4 v[48:51], v[70:71], off
	global_load_dwordx4 v[66:69], v[64:65], off offset:112
	s_waitcnt vmcnt(6)
	v_xor_b32_e32 v70, 0x80000000, v23
	v_mov_b32_e32 v71, v22
	v_xor_b32_e32 v78, 0x80000000, v19
	v_mov_b32_e32 v79, v18
	;; [unrolled: 2-line block ×4, first 2 shown]
	v_add_co_u32_e32 v64, vcc, s14, v64
	s_waitcnt vmcnt(3)
	v_xor_b32_e32 v74, 0x80000000, v35
	v_mov_b32_e32 v75, v34
	v_xor_b32_e32 v82, 0x80000000, v31
	v_mov_b32_e32 v83, v30
	v_addc_co_u32_e32 v65, vcc, 0, v65, vcc
	v_add_co_u32_e32 v4, vcc, 0x100, v4
	v_xor_b32_e32 v76, 0x80000000, v27
	v_mov_b32_e32 v77, v26
	v_addc_co_u32_e32 v5, vcc, 0, v5, vcc
	s_waitcnt vmcnt(2)
	v_mov_b32_e32 v88, v47
	s_waitcnt vmcnt(1)
	v_pk_fma_f32 v[42:43], v[20:21], v[48:49], v[42:43] op_sel_hi:[1,0,1]
	v_pk_fma_f32 v[22:23], v[22:23], v[48:49], v[40:41] op_sel_hi:[1,0,1]
	;; [unrolled: 1-line block ×4, first 2 shown]
	v_pk_fma_f32 v[20:21], v[20:21], v[48:49], v[42:43] op_sel:[1,1,0] op_sel_hi:[0,1,1] neg_lo:[1,0,0]
	v_pk_fma_f32 v[22:23], v[70:71], v[48:49], v[22:23] op_sel:[0,1,0]
	v_pk_fma_f32 v[16:17], v[16:17], v[48:49], v[38:39] op_sel:[1,1,0] op_sel_hi:[0,1,1] neg_lo:[1,0,0]
	v_pk_fma_f32 v[18:19], v[78:79], v[48:49], v[18:19] op_sel:[0,1,0]
	v_mov_b32_e32 v86, v51
	v_pk_fma_f32 v[20:21], v[12:13], v[50:51], v[20:21] op_sel_hi:[1,0,1]
	v_pk_fma_f32 v[14:15], v[14:15], v[50:51], v[22:23] op_sel_hi:[1,0,1]
	;; [unrolled: 1-line block ×4, first 2 shown]
	v_pk_fma_f32 v[12:13], v[12:13], v[86:87], v[20:21] op_sel:[1,0,0] op_sel_hi:[0,0,1] neg_lo:[1,0,0]
	v_pk_fma_f32 v[14:15], v[72:73], v[86:87], v[14:15] op_sel_hi:[1,0,1]
	v_pk_fma_f32 v[8:9], v[8:9], v[86:87], v[16:17] op_sel:[1,0,0] op_sel_hi:[0,0,1] neg_lo:[1,0,0]
	v_pk_fma_f32 v[10:11], v[80:81], v[86:87], v[10:11] op_sel_hi:[1,0,1]
	v_pk_fma_f32 v[12:13], v[32:33], v[44:45], v[12:13] op_sel_hi:[1,0,1]
	;; [unrolled: 1-line block ×5, first 2 shown]
	v_pk_fma_f32 v[12:13], v[32:33], v[44:45], v[12:13] op_sel:[1,1,0] op_sel_hi:[0,1,1] neg_lo:[1,0,0]
	v_pk_fma_f32 v[14:15], v[74:75], v[44:45], v[14:15] op_sel:[0,1,0]
	v_pk_fma_f32 v[8:9], v[28:29], v[44:45], v[8:9] op_sel:[1,1,0] op_sel_hi:[0,1,1] neg_lo:[1,0,0]
	v_pk_fma_f32 v[10:11], v[82:83], v[44:45], v[10:11] op_sel:[0,1,0]
	s_waitcnt vmcnt(0)
	v_xor_b32_e32 v84, 0x80000000, v69
	v_mov_b32_e32 v85, v68
	v_pk_fma_f32 v[12:13], v[24:25], v[46:47], v[12:13] op_sel_hi:[1,0,1]
	v_pk_fma_f32 v[14:15], v[26:27], v[46:47], v[14:15] op_sel_hi:[1,0,1]
	;; [unrolled: 1-line block ×4, first 2 shown]
	v_pk_fma_f32 v[42:43], v[24:25], v[88:89], v[12:13] op_sel:[1,0,0] op_sel_hi:[0,0,1] neg_lo:[1,0,0]
	v_pk_fma_f32 v[40:41], v[76:77], v[88:89], v[14:15] op_sel_hi:[1,0,1]
	v_pk_fma_f32 v[38:39], v[66:67], v[88:89], v[8:9] op_sel:[1,0,0] op_sel_hi:[0,0,1] neg_lo:[1,0,0]
	v_pk_fma_f32 v[36:37], v[84:85], v[88:89], v[10:11] op_sel_hi:[1,0,1]
	s_andn2_b64 exec, exec, s[10:11]
	s_cbranch_execnz .LBB34_35
; %bb.36:
	s_or_b64 exec, exec, s[10:11]
.LBB34_37:
	s_or_b64 exec, exec, s[2:3]
	s_mov_b64 s[0:1], 0xbf
	v_cmp_lt_u64_e32 vcc, s[0:1], v[0:1]
	s_and_saveexec_b64 s[10:11], vcc
	s_cbranch_execz .LBB34_41
; %bb.38:
	v_lshlrev_b64 v[0:1], 2, v[60:61]
	v_mov_b32_e32 v2, s13
	v_add_co_u32_e32 v0, vcc, s12, v0
	v_addc_co_u32_e32 v1, vcc, v1, v2, vcc
	v_add_co_u32_e32 v66, vcc, 0x200, v0
	v_addc_co_u32_e32 v67, vcc, 0, v1, vcc
	s_mov_b64 s[12:13], 0
	v_mov_b32_e32 v57, s7
	s_movk_i32 s7, 0x2000
	s_movk_i32 s14, 0x4000
	;; [unrolled: 1-line block ×4, first 2 shown]
.LBB34_39:                              ; =>This Inner Loop Header: Depth=1
	global_load_dword v46, v[66:67], off offset:-512
	global_load_dwordx4 v[28:31], v[64:65], off
	global_load_dwordx4 v[24:27], v[64:65], off offset:16
	global_load_dwordx4 v[12:15], v[64:65], off offset:48
	;; [unrolled: 1-line block ×7, first 2 shown]
	global_load_dword v47, v[66:67], off offset:-256
	global_load_dword v59, v[66:67], off
	global_load_dword v70, v[66:67], off offset:256
	v_add_co_u32_e32 v60, vcc, s17, v60
	s_mov_b64 s[0:1], vcc
	v_add_co_u32_e32 v104, vcc, s7, v64
	v_addc_co_u32_e32 v105, vcc, 0, v65, vcc
	v_add_co_u32_e32 v44, vcc, s14, v64
	v_addc_co_u32_e32 v45, vcc, 0, v65, vcc
	;; [unrolled: 2-line block ×3, first 2 shown]
	v_add_co_u32_e32 v66, vcc, 0x400, v66
	s_mov_b64 s[2:3], vcc
	global_load_dwordx4 v[72:75], v[104:105], off offset:48
	global_load_dwordx4 v[76:79], v[104:105], off offset:32
	global_load_dwordx4 v[48:51], v[104:105], off
	global_load_dwordx4 v[80:83], v[104:105], off offset:16
	global_load_dwordx4 v[32:35], v[104:105], off offset:112
	;; [unrolled: 1-line block ×3, first 2 shown]
	s_waitcnt vmcnt(17)
	v_subrev_u32_e32 v46, s16, v46
	v_lshlrev_b32_e32 v88, 2, v46
	v_ashrrev_i32_e32 v89, 31, v88
	v_lshlrev_b64 v[88:89], 3, v[88:89]
	v_add_co_u32_e32 v96, vcc, s6, v88
	v_addc_co_u32_e32 v97, vcc, v57, v89, vcc
	global_load_dwordx4 v[88:91], v[96:97], off
	global_load_dwordx4 v[92:95], v[96:97], off offset:16
	s_waitcnt vmcnt(18)
	v_xor_b32_e32 v106, 0x80000000, v31
	v_mov_b32_e32 v107, v30
	global_load_dwordx4 v[96:99], v[104:105], off offset:80
	global_load_dwordx4 v[100:103], v[104:105], off offset:64
	s_waitcnt vmcnt(11)
	v_subrev_u32_e32 v59, s16, v59
	s_waitcnt vmcnt(3)
	v_pk_fma_f32 v[42:43], v[28:29], v[88:89], v[42:43] op_sel_hi:[1,0,1]
	v_pk_fma_f32 v[30:31], v[30:31], v[88:89], v[40:41] op_sel_hi:[1,0,1]
	v_xor_b32_e32 v40, 0x80000000, v27
	v_mov_b32_e32 v41, v26
	v_pk_fma_f32 v[38:39], v[24:25], v[88:89], v[38:39] op_sel_hi:[1,0,1]
	v_pk_fma_f32 v[26:27], v[26:27], v[88:89], v[36:37] op_sel_hi:[1,0,1]
	v_pk_fma_f32 v[28:29], v[28:29], v[88:89], v[42:43] op_sel:[1,1,0] op_sel_hi:[0,1,1] neg_lo:[1,0,0]
	v_pk_fma_f32 v[36:37], v[24:25], v[88:89], v[38:39] op_sel:[1,1,0] op_sel_hi:[0,1,1] neg_lo:[1,0,0]
	v_pk_fma_f32 v[30:31], v[106:107], v[88:89], v[30:31] op_sel:[0,1,0]
	v_pk_fma_f32 v[38:39], v[40:41], v[88:89], v[26:27] op_sel:[0,1,0]
	v_pk_fma_f32 v[28:29], v[16:17], v[90:91], v[28:29] op_sel_hi:[1,0,1]
	v_pk_fma_f32 v[30:31], v[18:19], v[90:91], v[30:31] op_sel_hi:[1,0,1]
	;; [unrolled: 1-line block ×4, first 2 shown]
	v_mov_b32_e32 v40, v91
	v_xor_b32_e32 v42, 0x80000000, v19
	v_mov_b32_e32 v43, v18
	v_xor_b32_e32 v90, 0x80000000, v15
	v_mov_b32_e32 v91, v14
	v_pk_fma_f32 v[88:89], v[16:17], v[40:41], v[28:29] op_sel:[1,0,0] op_sel_hi:[0,0,1] neg_lo:[1,0,0]
	v_pk_fma_f32 v[12:13], v[12:13], v[40:41], v[36:37] op_sel:[1,0,0] op_sel_hi:[0,0,1] neg_lo:[1,0,0]
	v_pk_fma_f32 v[14:15], v[42:43], v[40:41], v[30:31] op_sel_hi:[1,0,1]
	v_pk_fma_f32 v[40:41], v[90:91], v[40:41], v[38:39] op_sel_hi:[1,0,1]
	v_xor_b32_e32 v42, 0x80000000, v23
	v_mov_b32_e32 v43, v22
	s_waitcnt vmcnt(2)
	v_pk_fma_f32 v[14:15], v[22:23], v[92:93], v[14:15] op_sel_hi:[1,0,1]
	v_xor_b32_e32 v22, 0x80000000, v11
	v_mov_b32_e32 v23, v10
	v_pk_fma_f32 v[40:41], v[10:11], v[92:93], v[40:41] op_sel_hi:[1,0,1]
	v_pk_fma_f32 v[22:23], v[22:23], v[92:93], v[40:41] op_sel:[0,1,0]
	v_pk_fma_f32 v[22:23], v[2:3], v[94:95], v[22:23] op_sel_hi:[1,0,1]
	v_mov_b32_e32 v91, v2
	v_subrev_u32_e32 v2, s16, v47
	v_lshlrev_b32_e32 v2, 2, v2
	v_xor_b32_e32 v90, 0x80000000, v3
	v_ashrrev_i32_e32 v3, 31, v2
	v_pk_fma_f32 v[36:37], v[20:21], v[92:93], v[88:89] op_sel_hi:[1,0,1]
	v_lshlrev_b64 v[2:3], 3, v[2:3]
	v_pk_fma_f32 v[20:21], v[20:21], v[92:93], v[36:37] op_sel:[1,1,0] op_sel_hi:[0,1,1] neg_lo:[1,0,0]
	v_pk_fma_f32 v[12:13], v[8:9], v[92:93], v[12:13] op_sel_hi:[1,0,1]
	v_add_co_u32_e32 v2, vcc, s6, v2
	v_pk_fma_f32 v[88:89], v[8:9], v[92:93], v[12:13] op_sel:[1,1,0] op_sel_hi:[0,1,1] neg_lo:[1,0,0]
	v_pk_fma_f32 v[42:43], v[42:43], v[92:93], v[14:15] op_sel:[0,1,0]
	v_pk_fma_f32 v[20:21], v[4:5], v[94:95], v[20:21] op_sel_hi:[1,0,1]
	v_mov_b32_e32 v46, v95
	v_addc_co_u32_e32 v3, vcc, v57, v3, vcc
	v_pk_fma_f32 v[40:41], v[6:7], v[94:95], v[42:43] op_sel_hi:[1,0,1]
	v_pk_fma_f32 v[42:43], v[0:1], v[94:95], v[88:89] op_sel_hi:[1,0,1]
	v_xor_b32_e32 v88, 0x80000000, v7
	v_mov_b32_e32 v89, v6
	v_pk_fma_f32 v[20:21], v[4:5], v[46:47], v[20:21] op_sel:[1,0,0] op_sel_hi:[0,0,1] neg_lo:[1,0,0]
	global_load_dwordx4 v[4:7], v[2:3], off
	v_pk_fma_f32 v[40:41], v[88:89], v[46:47], v[40:41] op_sel_hi:[1,0,1]
	v_pk_fma_f32 v[22:23], v[90:91], v[46:47], v[22:23] op_sel_hi:[1,0,1]
	global_load_dwordx4 v[88:91], v[2:3], off offset:16
	v_pk_fma_f32 v[0:1], v[0:1], v[46:47], v[42:43] op_sel:[1,0,0] op_sel_hi:[0,0,1] neg_lo:[1,0,0]
	v_xor_b32_e32 v42, 0x80000000, v51
	v_mov_b32_e32 v43, v50
	v_xor_b32_e32 v46, 0x80000000, v83
	v_mov_b32_e32 v47, v82
	global_load_dwordx4 v[24:27], v[44:45], off offset:48
	global_load_dwordx4 v[16:19], v[44:45], off offset:32
	global_load_dwordx4 v[28:31], v[44:45], off
	global_load_dwordx4 v[36:39], v[44:45], off offset:16
	global_load_dwordx4 v[8:11], v[44:45], off offset:112
	;; [unrolled: 1-line block ×3, first 2 shown]
	v_addc_co_u32_e64 v61, vcc, 0, v61, s[0:1]
	v_add_co_u32_e32 v64, vcc, 0x8000, v64
	v_addc_co_u32_e32 v65, vcc, 0, v65, vcc
	v_addc_co_u32_e64 v67, s[0:1], 0, v67, s[2:3]
	v_cmp_ge_i64_e64 s[0:1], v[60:61], v[62:63]
	s_or_b64 s[12:13], s[0:1], s[12:13]
	s_waitcnt vmcnt(7)
	v_pk_fma_f32 v[2:3], v[48:49], v[4:5], v[20:21] op_sel_hi:[1,0,1]
	v_pk_fma_f32 v[20:21], v[50:51], v[4:5], v[40:41] op_sel_hi:[1,0,1]
	;; [unrolled: 1-line block ×4, first 2 shown]
	v_pk_fma_f32 v[40:41], v[48:49], v[4:5], v[2:3] op_sel:[1,1,0] op_sel_hi:[0,1,1] neg_lo:[1,0,0]
	v_pk_fma_f32 v[92:93], v[80:81], v[4:5], v[0:1] op_sel:[1,1,0] op_sel_hi:[0,1,1] neg_lo:[1,0,0]
	v_pk_fma_f32 v[20:21], v[42:43], v[4:5], v[20:21] op_sel:[0,1,0]
	v_pk_fma_f32 v[4:5], v[46:47], v[4:5], v[22:23] op_sel:[0,1,0]
	global_load_dwordx4 v[48:51], v[44:45], off offset:80
	global_load_dwordx4 v[80:83], v[44:45], off offset:64
	v_xor_b32_e32 v22, 0x80000000, v79
	v_mov_b32_e32 v23, v78
	v_pk_fma_f32 v[40:41], v[76:77], v[6:7], v[40:41] op_sel_hi:[1,0,1]
	v_pk_fma_f32 v[20:21], v[78:79], v[6:7], v[20:21] op_sel_hi:[1,0,1]
	;; [unrolled: 1-line block ×4, first 2 shown]
	v_mov_b32_e32 v46, v7
	v_xor_b32_e32 v78, 0x80000000, v75
	v_mov_b32_e32 v79, v74
	v_pk_fma_f32 v[76:77], v[76:77], v[46:47], v[40:41] op_sel:[1,0,0] op_sel_hi:[0,0,1] neg_lo:[1,0,0]
	v_pk_fma_f32 v[72:73], v[72:73], v[46:47], v[42:43] op_sel:[1,0,0] op_sel_hi:[0,0,1] neg_lo:[1,0,0]
	v_pk_fma_f32 v[20:21], v[22:23], v[46:47], v[20:21] op_sel_hi:[1,0,1]
	v_pk_fma_f32 v[22:23], v[78:79], v[46:47], v[44:45] op_sel_hi:[1,0,1]
	v_xor_b32_e32 v74, 0x80000000, v103
	v_mov_b32_e32 v75, v102
	s_waitcnt vmcnt(8)
	v_pk_fma_f32 v[76:77], v[100:101], v[88:89], v[76:77] op_sel_hi:[1,0,1]
	v_pk_fma_f32 v[78:79], v[102:103], v[88:89], v[20:21] op_sel_hi:[1,0,1]
	v_xor_b32_e32 v92, 0x80000000, v99
	v_mov_b32_e32 v93, v98
	v_pk_fma_f32 v[20:21], v[96:97], v[88:89], v[72:73] op_sel_hi:[1,0,1]
	v_pk_fma_f32 v[94:95], v[98:99], v[88:89], v[22:23] op_sel_hi:[1,0,1]
	v_pk_fma_f32 v[76:77], v[100:101], v[88:89], v[76:77] op_sel:[1,1,0] op_sel_hi:[0,1,1] neg_lo:[1,0,0]
	v_pk_fma_f32 v[96:97], v[96:97], v[88:89], v[20:21] op_sel:[1,1,0] op_sel_hi:[0,1,1] neg_lo:[1,0,0]
	v_pk_fma_f32 v[78:79], v[74:75], v[88:89], v[78:79] op_sel:[0,1,0]
	v_pk_fma_f32 v[88:89], v[92:93], v[88:89], v[94:95] op_sel:[0,1,0]
	v_xor_b32_e32 v92, 0x80000000, v87
	v_mov_b32_e32 v93, v86
	v_pk_fma_f32 v[76:77], v[84:85], v[90:91], v[76:77] op_sel_hi:[1,0,1]
	v_pk_fma_f32 v[86:87], v[86:87], v[90:91], v[78:79] op_sel_hi:[1,0,1]
	;; [unrolled: 1-line block ×4, first 2 shown]
	v_mov_b32_e32 v90, v91
	global_load_dwordx4 v[0:3], v[68:69], off offset:48
	global_load_dwordx4 v[4:7], v[68:69], off offset:32
	global_load_dwordx4 v[40:43], v[68:69], off
	global_load_dwordx4 v[44:47], v[68:69], off offset:16
	global_load_dwordx4 v[20:23], v[68:69], off offset:112
	;; [unrolled: 1-line block ×3, first 2 shown]
	v_pk_fma_f32 v[96:97], v[84:85], v[90:91], v[76:77] op_sel:[1,0,0] op_sel_hi:[0,0,1] neg_lo:[1,0,0]
	global_load_dwordx4 v[76:79], v[68:69], off offset:80
	v_xor_b32_e32 v84, 0x80000000, v35
	v_mov_b32_e32 v85, v34
	v_pk_fma_f32 v[94:95], v[32:33], v[90:91], v[94:95] op_sel:[1,0,0] op_sel_hi:[0,0,1] neg_lo:[1,0,0]
	global_load_dwordx4 v[32:35], v[68:69], off offset:64
	v_lshlrev_b32_e32 v68, 2, v59
	v_ashrrev_i32_e32 v69, 31, v68
	v_lshlrev_b64 v[68:69], 3, v[68:69]
	v_add_co_u32_e32 v98, vcc, s6, v68
	v_addc_co_u32_e32 v99, vcc, v57, v69, vcc
	v_subrev_u32_e32 v102, s16, v70
	v_pk_fma_f32 v[92:93], v[92:93], v[90:91], v[86:87] op_sel_hi:[1,0,1]
	v_pk_fma_f32 v[88:89], v[84:85], v[90:91], v[88:89] op_sel_hi:[1,0,1]
	global_load_dwordx4 v[68:71], v[98:99], off
	global_load_dwordx4 v[84:87], v[98:99], off offset:16
	s_waitcnt vmcnt(15)
	v_xor_b32_e32 v100, 0x80000000, v31
	v_mov_b32_e32 v101, v30
	s_waitcnt vmcnt(1)
	v_pk_fma_f32 v[90:91], v[28:29], v[68:69], v[96:97] op_sel_hi:[1,0,1]
	v_pk_fma_f32 v[90:91], v[28:29], v[68:69], v[90:91] op_sel:[1,1,0] op_sel_hi:[0,1,1] neg_lo:[1,0,0]
	v_lshlrev_b32_e32 v28, 2, v102
	v_ashrrev_i32_e32 v29, 31, v28
	v_pk_fma_f32 v[94:95], v[36:37], v[68:69], v[94:95] op_sel_hi:[1,0,1]
	v_lshlrev_b64 v[28:29], 3, v[28:29]
	v_pk_fma_f32 v[30:31], v[30:31], v[68:69], v[92:93] op_sel_hi:[1,0,1]
	v_xor_b32_e32 v92, 0x80000000, v39
	v_mov_b32_e32 v93, v38
	v_pk_fma_f32 v[38:39], v[38:39], v[68:69], v[88:89] op_sel_hi:[1,0,1]
	v_pk_fma_f32 v[88:89], v[36:37], v[68:69], v[94:95] op_sel:[1,1,0] op_sel_hi:[0,1,1] neg_lo:[1,0,0]
	v_add_co_u32_e32 v36, vcc, s6, v28
	v_addc_co_u32_e32 v37, vcc, v57, v29, vcc
	v_pk_fma_f32 v[96:97], v[100:101], v[68:69], v[30:31] op_sel:[0,1,0]
	global_load_dwordx4 v[28:31], v[36:37], off
	v_pk_fma_f32 v[68:69], v[92:93], v[68:69], v[38:39] op_sel:[0,1,0]
	global_load_dwordx4 v[36:39], v[36:37], off offset:16
	v_xor_b32_e32 v94, 0x80000000, v19
	v_mov_b32_e32 v95, v18
	v_pk_fma_f32 v[90:91], v[16:17], v[70:71], v[90:91] op_sel_hi:[1,0,1]
	v_pk_fma_f32 v[18:19], v[18:19], v[70:71], v[96:97] op_sel_hi:[1,0,1]
	;; [unrolled: 1-line block ×4, first 2 shown]
	v_mov_b32_e32 v70, v71
	v_xor_b32_e32 v92, 0x80000000, v27
	v_mov_b32_e32 v93, v26
	v_pk_fma_f32 v[16:17], v[16:17], v[70:71], v[90:91] op_sel:[1,0,0] op_sel_hi:[0,0,1] neg_lo:[1,0,0]
	v_pk_fma_f32 v[24:25], v[24:25], v[70:71], v[88:89] op_sel:[1,0,0] op_sel_hi:[0,0,1] neg_lo:[1,0,0]
	v_pk_fma_f32 v[18:19], v[94:95], v[70:71], v[18:19] op_sel_hi:[1,0,1]
	v_pk_fma_f32 v[68:69], v[92:93], v[70:71], v[68:69] op_sel_hi:[1,0,1]
	v_xor_b32_e32 v26, 0x80000000, v83
	v_xor_b32_e32 v90, 0x80000000, v51
	v_mov_b32_e32 v27, v82
	v_mov_b32_e32 v91, v50
	s_waitcnt vmcnt(2)
	v_pk_fma_f32 v[16:17], v[80:81], v[84:85], v[16:17] op_sel_hi:[1,0,1]
	v_pk_fma_f32 v[18:19], v[82:83], v[84:85], v[18:19] op_sel_hi:[1,0,1]
	;; [unrolled: 1-line block ×4, first 2 shown]
	v_pk_fma_f32 v[16:17], v[80:81], v[84:85], v[16:17] op_sel:[1,1,0] op_sel_hi:[0,1,1] neg_lo:[1,0,0]
	v_pk_fma_f32 v[24:25], v[48:49], v[84:85], v[24:25] op_sel:[1,1,0] op_sel_hi:[0,1,1] neg_lo:[1,0,0]
	v_pk_fma_f32 v[18:19], v[26:27], v[84:85], v[18:19] op_sel:[0,1,0]
	v_pk_fma_f32 v[50:51], v[90:91], v[84:85], v[50:51] op_sel:[0,1,0]
	v_xor_b32_e32 v88, 0x80000000, v15
	v_mov_b32_e32 v89, v14
	v_xor_b32_e32 v80, 0x80000000, v11
	v_mov_b32_e32 v81, v10
	v_mov_b32_e32 v84, v87
	v_pk_fma_f32 v[16:17], v[12:13], v[86:87], v[16:17] op_sel_hi:[1,0,1]
	v_pk_fma_f32 v[14:15], v[14:15], v[86:87], v[18:19] op_sel_hi:[1,0,1]
	;; [unrolled: 1-line block ×4, first 2 shown]
	v_pk_fma_f32 v[12:13], v[12:13], v[84:85], v[16:17] op_sel:[1,0,0] op_sel_hi:[0,0,1] neg_lo:[1,0,0]
	v_pk_fma_f32 v[14:15], v[88:89], v[84:85], v[14:15] op_sel_hi:[1,0,1]
	v_pk_fma_f32 v[8:9], v[8:9], v[84:85], v[18:19] op_sel:[1,0,0] op_sel_hi:[0,0,1] neg_lo:[1,0,0]
	v_pk_fma_f32 v[10:11], v[80:81], v[84:85], v[10:11] op_sel_hi:[1,0,1]
	v_xor_b32_e32 v96, 0x80000000, v43
	v_mov_b32_e32 v97, v42
	v_xor_b32_e32 v82, 0x80000000, v47
	v_mov_b32_e32 v83, v46
	;; [unrolled: 2-line block ×8, first 2 shown]
	s_waitcnt vmcnt(1)
	v_pk_fma_f32 v[12:13], v[40:41], v[28:29], v[12:13] op_sel_hi:[1,0,1]
	v_pk_fma_f32 v[14:15], v[42:43], v[28:29], v[14:15] op_sel_hi:[1,0,1]
	;; [unrolled: 1-line block ×4, first 2 shown]
	v_pk_fma_f32 v[12:13], v[40:41], v[28:29], v[12:13] op_sel:[1,1,0] op_sel_hi:[0,1,1] neg_lo:[1,0,0]
	v_pk_fma_f32 v[14:15], v[96:97], v[28:29], v[14:15] op_sel:[0,1,0]
	v_pk_fma_f32 v[8:9], v[44:45], v[28:29], v[8:9] op_sel:[1,1,0] op_sel_hi:[0,1,1] neg_lo:[1,0,0]
	v_pk_fma_f32 v[10:11], v[82:83], v[28:29], v[10:11] op_sel:[0,1,0]
	v_mov_b32_e32 v24, v31
	v_pk_fma_f32 v[12:13], v[4:5], v[30:31], v[12:13] op_sel_hi:[1,0,1]
	v_pk_fma_f32 v[6:7], v[6:7], v[30:31], v[14:15] op_sel_hi:[1,0,1]
	;; [unrolled: 1-line block ×4, first 2 shown]
	v_pk_fma_f32 v[4:5], v[4:5], v[24:25], v[12:13] op_sel:[1,0,0] op_sel_hi:[0,0,1] neg_lo:[1,0,0]
	v_pk_fma_f32 v[6:7], v[94:95], v[24:25], v[6:7] op_sel_hi:[1,0,1]
	v_pk_fma_f32 v[0:1], v[0:1], v[24:25], v[8:9] op_sel:[1,0,0] op_sel_hi:[0,0,1] neg_lo:[1,0,0]
	v_pk_fma_f32 v[2:3], v[48:49], v[24:25], v[2:3] op_sel_hi:[1,0,1]
	s_waitcnt vmcnt(0)
	v_pk_fma_f32 v[4:5], v[32:33], v[36:37], v[4:5] op_sel_hi:[1,0,1]
	v_pk_fma_f32 v[6:7], v[34:35], v[36:37], v[6:7] op_sel_hi:[1,0,1]
	;; [unrolled: 1-line block ×4, first 2 shown]
	v_pk_fma_f32 v[4:5], v[32:33], v[36:37], v[4:5] op_sel:[1,1,0] op_sel_hi:[0,1,1] neg_lo:[1,0,0]
	v_pk_fma_f32 v[6:7], v[70:71], v[36:37], v[6:7] op_sel:[0,1,0]
	v_pk_fma_f32 v[0:1], v[76:77], v[36:37], v[0:1] op_sel:[1,1,0] op_sel_hi:[0,1,1] neg_lo:[1,0,0]
	v_pk_fma_f32 v[2:3], v[68:69], v[36:37], v[2:3] op_sel:[0,1,0]
	v_mov_b32_e32 v50, v39
	v_pk_fma_f32 v[4:5], v[72:73], v[38:39], v[4:5] op_sel_hi:[1,0,1]
	v_pk_fma_f32 v[6:7], v[74:75], v[38:39], v[6:7] op_sel_hi:[1,0,1]
	;; [unrolled: 1-line block ×4, first 2 shown]
	v_pk_fma_f32 v[42:43], v[72:73], v[50:51], v[4:5] op_sel:[1,0,0] op_sel_hi:[0,0,1] neg_lo:[1,0,0]
	v_pk_fma_f32 v[40:41], v[92:93], v[50:51], v[6:7] op_sel_hi:[1,0,1]
	v_pk_fma_f32 v[38:39], v[20:21], v[50:51], v[0:1] op_sel:[1,0,0] op_sel_hi:[0,0,1] neg_lo:[1,0,0]
	v_pk_fma_f32 v[36:37], v[26:27], v[50:51], v[2:3] op_sel_hi:[1,0,1]
	s_andn2_b64 exec, exec, s[12:13]
	s_cbranch_execnz .LBB34_39
; %bb.40:
	s_or_b64 exec, exec, s[12:13]
.LBB34_41:
	s_or_b64 exec, exec, s[10:11]
.LBB34_42:
	s_or_b64 exec, exec, s[8:9]
.LBB34_43:
	v_mov_b32_dpp v6, v41 row_shr:1 row_mask:0xf bank_mask:0xf
	v_add_f32_e32 v6, v41, v6
	v_mov_b32_dpp v0, v42 row_shr:1 row_mask:0xf bank_mask:0xf
	v_mov_b32_dpp v2, v43 row_shr:1 row_mask:0xf bank_mask:0xf
	;; [unrolled: 1-line block ×3, first 2 shown]
	v_add_f32_e32 v6, v6, v7
	v_mov_b32_dpp v4, v40 row_shr:1 row_mask:0xf bank_mask:0xf
	v_add_f32_e32 v0, v42, v0
	v_mov_b32_dpp v7, v6 row_shr:4 row_mask:0xf bank_mask:0xe
	v_add_f32_e32 v6, v6, v7
	v_add_f32_e32 v2, v43, v2
	;; [unrolled: 1-line block ×3, first 2 shown]
	v_mov_b32_dpp v7, v6 row_shr:8 row_mask:0xf bank_mask:0xc
	v_add_f32_e32 v6, v6, v7
	v_mov_b32_dpp v1, v0 row_shr:2 row_mask:0xf bank_mask:0xf
	v_mov_b32_dpp v3, v2 row_shr:2 row_mask:0xf bank_mask:0xf
	v_mov_b32_dpp v7, v6 row_bcast:15 row_mask:0xa bank_mask:0xf
	v_add_f32_e32 v7, v6, v7
	v_mov_b32_dpp v6, v38 row_shr:1 row_mask:0xf bank_mask:0xf
	v_add_f32_e32 v6, v38, v6
	v_mov_b32_dpp v5, v4 row_shr:2 row_mask:0xf bank_mask:0xf
	;; [unrolled: 2-line block ×3, first 2 shown]
	v_add_f32_e32 v6, v6, v8
	v_add_f32_e32 v2, v2, v3
	;; [unrolled: 1-line block ×3, first 2 shown]
	v_mov_b32_dpp v8, v6 row_shr:4 row_mask:0xf bank_mask:0xe
	v_add_f32_e32 v6, v6, v8
	v_mov_b32_dpp v1, v0 row_shr:4 row_mask:0xf bank_mask:0xe
	v_mov_b32_dpp v3, v2 row_shr:4 row_mask:0xf bank_mask:0xe
	;; [unrolled: 1-line block ×3, first 2 shown]
	v_add_f32_e32 v6, v6, v8
	v_mov_b32_dpp v5, v4 row_shr:4 row_mask:0xf bank_mask:0xe
	v_add_f32_e32 v0, v0, v1
	v_mov_b32_dpp v8, v6 row_bcast:15 row_mask:0xa bank_mask:0xf
	v_add_f32_e32 v10, v6, v8
	v_mov_b32_dpp v6, v39 row_shr:1 row_mask:0xf bank_mask:0xf
	v_add_f32_e32 v6, v39, v6
	v_add_f32_e32 v2, v2, v3
	;; [unrolled: 1-line block ×3, first 2 shown]
	v_mov_b32_dpp v8, v6 row_shr:2 row_mask:0xf bank_mask:0xf
	v_add_f32_e32 v6, v6, v8
	v_mov_b32_dpp v1, v0 row_shr:8 row_mask:0xf bank_mask:0xc
	v_mov_b32_dpp v3, v2 row_shr:8 row_mask:0xf bank_mask:0xc
	;; [unrolled: 1-line block ×3, first 2 shown]
	v_add_f32_e32 v6, v6, v8
	v_mov_b32_dpp v5, v4 row_shr:8 row_mask:0xf bank_mask:0xc
	v_add_f32_e32 v0, v0, v1
	v_mov_b32_dpp v8, v6 row_shr:8 row_mask:0xf bank_mask:0xc
	v_add_f32_e32 v6, v6, v8
	v_add_f32_e32 v2, v2, v3
	;; [unrolled: 1-line block ×3, first 2 shown]
	v_mov_b32_dpp v8, v6 row_bcast:15 row_mask:0xa bank_mask:0xf
	v_add_f32_e32 v13, v6, v8
	v_mov_b32_dpp v6, v36 row_shr:1 row_mask:0xf bank_mask:0xf
	v_add_f32_e32 v6, v36, v6
	v_mov_b32_dpp v1, v0 row_bcast:15 row_mask:0xa bank_mask:0xf
	v_mov_b32_dpp v3, v2 row_bcast:15 row_mask:0xa bank_mask:0xf
	v_mov_b32_dpp v8, v6 row_shr:2 row_mask:0xf bank_mask:0xf
	v_add_f32_e32 v6, v6, v8
	v_mov_b32_dpp v5, v4 row_bcast:15 row_mask:0xa bank_mask:0xf
	v_add_f32_e32 v0, v0, v1
	v_mov_b32_dpp v8, v6 row_shr:4 row_mask:0xf bank_mask:0xe
	v_add_f32_e32 v6, v6, v8
	v_add_f32_e32 v2, v2, v3
	;; [unrolled: 1-line block ×3, first 2 shown]
	v_mov_b32_dpp v8, v6 row_shr:8 row_mask:0xf bank_mask:0xc
	v_add_f32_e32 v6, v6, v8
	v_mov_b32_dpp v1, v0 row_bcast:31 row_mask:0xc bank_mask:0xf
	v_mov_b32_dpp v3, v2 row_bcast:31 row_mask:0xc bank_mask:0xf
	;; [unrolled: 1-line block ×3, first 2 shown]
	v_add_f32_e32 v16, v6, v8
	v_mov_b32_dpp v6, v37 row_shr:1 row_mask:0xf bank_mask:0xf
	v_add_f32_e32 v6, v37, v6
	v_mov_b32_dpp v5, v4 row_bcast:31 row_mask:0xc bank_mask:0xf
	v_mov_b32_dpp v9, v7 row_bcast:31 row_mask:0xc bank_mask:0xf
	v_mov_b32_dpp v8, v6 row_shr:2 row_mask:0xf bank_mask:0xf
	v_add_f32_e32 v6, v6, v8
	v_mov_b32_dpp v11, v10 row_bcast:31 row_mask:0xc bank_mask:0xf
	v_mov_b32_dpp v15, v13 row_bcast:31 row_mask:0xc bank_mask:0xf
	v_mov_b32_dpp v8, v6 row_shr:4 row_mask:0xf bank_mask:0xe
	v_add_f32_e32 v6, v6, v8
	v_mov_b32_dpp v17, v16 row_bcast:31 row_mask:0xc bank_mask:0xf
	v_cmp_eq_u32_e32 vcc, 63, v58
	v_mov_b32_dpp v8, v6 row_shr:8 row_mask:0xf bank_mask:0xc
	v_add_f32_e32 v6, v6, v8
	s_nop 1
	v_mov_b32_dpp v8, v6 row_bcast:15 row_mask:0xa bank_mask:0xf
	v_add_f32_e32 v18, v6, v8
	s_nop 1
	v_mov_b32_dpp v19, v18 row_bcast:31 row_mask:0xc bank_mask:0xf
	s_and_b64 exec, exec, vcc
	s_cbranch_execz .LBB34_14
; %bb.44:
	s_load_dwordx2 s[2:3], s[4:5], 0x50
	v_add_f32_e32 v8, v0, v1
	v_and_b32_e32 v1, 0x7fffffff, v54
	v_cmp_eq_u32_e32 vcc, 0, v1
	v_cmp_eq_f32_e64 s[0:1], 0, v55
	v_add_f32_e32 v14, v2, v3
	v_add_f32_e32 v6, v4, v5
	;; [unrolled: 1-line block ×7, first 2 shown]
	s_and_b64 s[0:1], vcc, s[0:1]
	v_lshlrev_b32_e32 v16, 2, v56
	s_and_saveexec_b64 s[4:5], s[0:1]
	s_xor_b64 s[0:1], exec, s[4:5]
	s_cbranch_execz .LBB34_46
; %bb.45:
	v_xor_b32_e32 v18, 0x80000000, v53
	v_ashrrev_i32_e32 v17, 31, v16
	v_mov_b32_e32 v19, v52
	v_lshlrev_b64 v[16:17], 3, v[16:17]
	v_pk_mul_f32 v[14:15], v[14:15], v[18:19] op_sel_hi:[0,1]
	s_waitcnt lgkmcnt(0)
	v_mov_b32_e32 v1, s3
	v_add_co_u32_e32 v20, vcc, s2, v16
	v_pk_fma_f32 v[14:15], v[52:53], v[8:9], v[14:15] op_sel_hi:[1,0,1]
	v_pk_mul_f32 v[8:9], v[12:13], v[18:19] op_sel_hi:[0,1]
	v_addc_co_u32_e32 v21, vcc, v1, v17, vcc
	v_pk_fma_f32 v[16:17], v[52:53], v[6:7], v[8:9] op_sel_hi:[1,0,1]
	v_pk_mul_f32 v[6:7], v[10:11], v[18:19] op_sel_hi:[0,1]
	v_pk_mul_f32 v[4:5], v[4:5], v[18:19] op_sel_hi:[0,1]
	v_pk_fma_f32 v[2:3], v[52:53], v[2:3], v[6:7] op_sel_hi:[1,0,1]
	v_pk_fma_f32 v[4:5], v[52:53], v[0:1], v[4:5] op_sel_hi:[1,0,1]
	global_store_dwordx4 v[20:21], v[14:17], off
	global_store_dwordx4 v[20:21], v[2:5], off offset:16
                                        ; implicit-def: $vgpr53
                                        ; implicit-def: $vgpr54
                                        ; implicit-def: $vgpr8
                                        ; implicit-def: $vgpr14
                                        ; implicit-def: $vgpr6
                                        ; implicit-def: $vgpr12
                                        ; implicit-def: $vgpr2
                                        ; implicit-def: $vgpr10
                                        ; implicit-def: $vgpr0
                                        ; implicit-def: $vgpr4
                                        ; implicit-def: $vgpr16
.LBB34_46:
	s_andn2_saveexec_b64 s[0:1], s[0:1]
	s_cbranch_execz .LBB34_14
; %bb.47:
	v_ashrrev_i32_e32 v17, 31, v16
	v_lshlrev_b64 v[16:17], 3, v[16:17]
	s_waitcnt lgkmcnt(0)
	v_mov_b32_e32 v1, s3
	v_add_co_u32_e32 v24, vcc, s2, v16
	v_addc_co_u32_e32 v25, vcc, v1, v17, vcc
	global_load_dwordx4 v[16:19], v[24:25], off
	global_load_dwordx4 v[20:23], v[24:25], off offset:16
	v_xor_b32_e32 v26, 0x80000000, v53
	v_mov_b32_e32 v27, v52
	v_pk_mul_f32 v[14:15], v[14:15], v[26:27] op_sel_hi:[0,1]
	v_pk_mul_f32 v[12:13], v[12:13], v[26:27] op_sel_hi:[0,1]
	;; [unrolled: 1-line block ×4, first 2 shown]
	v_pk_fma_f32 v[8:9], v[52:53], v[8:9], v[14:15] op_sel_hi:[1,0,1]
	v_pk_fma_f32 v[6:7], v[52:53], v[6:7], v[12:13] op_sel_hi:[1,0,1]
	v_xor_b32_e32 v28, 0x80000000, v55
	v_mov_b32_e32 v29, v54
	v_pk_fma_f32 v[2:3], v[52:53], v[2:3], v[10:11] op_sel_hi:[1,0,1]
	v_pk_fma_f32 v[0:1], v[52:53], v[0:1], v[4:5] op_sel_hi:[1,0,1]
	s_waitcnt vmcnt(1)
	v_pk_fma_f32 v[4:5], v[54:55], v[16:17], v[8:9] op_sel_hi:[1,0,1]
	v_pk_fma_f32 v[6:7], v[54:55], v[18:19], v[6:7] op_sel_hi:[1,0,1]
	v_mov_b32_e32 v8, v19
	s_waitcnt vmcnt(0)
	v_pk_fma_f32 v[10:11], v[54:55], v[20:21], v[2:3] op_sel_hi:[1,0,1]
	v_pk_fma_f32 v[12:13], v[54:55], v[22:23], v[0:1] op_sel_hi:[1,0,1]
	v_mov_b32_e32 v14, v23
	v_pk_fma_f32 v[0:1], v[28:29], v[16:17], v[4:5] op_sel:[0,1,0]
	v_pk_fma_f32 v[2:3], v[28:29], v[8:9], v[6:7] op_sel_hi:[1,0,1]
	v_pk_fma_f32 v[4:5], v[28:29], v[20:21], v[10:11] op_sel:[0,1,0]
	v_pk_fma_f32 v[6:7], v[28:29], v[14:15], v[12:13] op_sel_hi:[1,0,1]
	global_store_dwordx4 v[24:25], v[0:3], off
	global_store_dwordx4 v[24:25], v[4:7], off offset:16
	s_endpgm
	.section	.rodata,"a",@progbits
	.p2align	6, 0x0
	.amdhsa_kernel _ZN9rocsparseL18bsrxmvn_4x4_kernelILj128ELj64E21rocsparse_complex_numIfEliS2_S2_S2_EEvT3_20rocsparse_direction_NS_24const_host_device_scalarIT1_EES3_PKS3_PKT2_SC_S9_PKT4_PKT5_S7_PT6_21rocsparse_index_base_b
		.amdhsa_group_segment_fixed_size 0
		.amdhsa_private_segment_fixed_size 0
		.amdhsa_kernarg_size 96
		.amdhsa_user_sgpr_count 6
		.amdhsa_user_sgpr_private_segment_buffer 1
		.amdhsa_user_sgpr_dispatch_ptr 0
		.amdhsa_user_sgpr_queue_ptr 0
		.amdhsa_user_sgpr_kernarg_segment_ptr 1
		.amdhsa_user_sgpr_dispatch_id 0
		.amdhsa_user_sgpr_flat_scratch_init 0
		.amdhsa_user_sgpr_kernarg_preload_length 0
		.amdhsa_user_sgpr_kernarg_preload_offset 0
		.amdhsa_user_sgpr_private_segment_size 0
		.amdhsa_uses_dynamic_stack 0
		.amdhsa_system_sgpr_private_segment_wavefront_offset 0
		.amdhsa_system_sgpr_workgroup_id_x 1
		.amdhsa_system_sgpr_workgroup_id_y 0
		.amdhsa_system_sgpr_workgroup_id_z 0
		.amdhsa_system_sgpr_workgroup_info 0
		.amdhsa_system_vgpr_workitem_id 0
		.amdhsa_next_free_vgpr 108
		.amdhsa_next_free_sgpr 22
		.amdhsa_accum_offset 108
		.amdhsa_reserve_vcc 1
		.amdhsa_reserve_flat_scratch 0
		.amdhsa_float_round_mode_32 0
		.amdhsa_float_round_mode_16_64 0
		.amdhsa_float_denorm_mode_32 3
		.amdhsa_float_denorm_mode_16_64 3
		.amdhsa_dx10_clamp 1
		.amdhsa_ieee_mode 1
		.amdhsa_fp16_overflow 0
		.amdhsa_tg_split 0
		.amdhsa_exception_fp_ieee_invalid_op 0
		.amdhsa_exception_fp_denorm_src 0
		.amdhsa_exception_fp_ieee_div_zero 0
		.amdhsa_exception_fp_ieee_overflow 0
		.amdhsa_exception_fp_ieee_underflow 0
		.amdhsa_exception_fp_ieee_inexact 0
		.amdhsa_exception_int_div_zero 0
	.end_amdhsa_kernel
	.section	.text._ZN9rocsparseL18bsrxmvn_4x4_kernelILj128ELj64E21rocsparse_complex_numIfEliS2_S2_S2_EEvT3_20rocsparse_direction_NS_24const_host_device_scalarIT1_EES3_PKS3_PKT2_SC_S9_PKT4_PKT5_S7_PT6_21rocsparse_index_base_b,"axG",@progbits,_ZN9rocsparseL18bsrxmvn_4x4_kernelILj128ELj64E21rocsparse_complex_numIfEliS2_S2_S2_EEvT3_20rocsparse_direction_NS_24const_host_device_scalarIT1_EES3_PKS3_PKT2_SC_S9_PKT4_PKT5_S7_PT6_21rocsparse_index_base_b,comdat
.Lfunc_end34:
	.size	_ZN9rocsparseL18bsrxmvn_4x4_kernelILj128ELj64E21rocsparse_complex_numIfEliS2_S2_S2_EEvT3_20rocsparse_direction_NS_24const_host_device_scalarIT1_EES3_PKS3_PKT2_SC_S9_PKT4_PKT5_S7_PT6_21rocsparse_index_base_b, .Lfunc_end34-_ZN9rocsparseL18bsrxmvn_4x4_kernelILj128ELj64E21rocsparse_complex_numIfEliS2_S2_S2_EEvT3_20rocsparse_direction_NS_24const_host_device_scalarIT1_EES3_PKS3_PKT2_SC_S9_PKT4_PKT5_S7_PT6_21rocsparse_index_base_b
                                        ; -- End function
	.section	.AMDGPU.csdata,"",@progbits
; Kernel info:
; codeLenInByte = 7592
; NumSgprs: 26
; NumVgprs: 108
; NumAgprs: 0
; TotalNumVgprs: 108
; ScratchSize: 0
; MemoryBound: 0
; FloatMode: 240
; IeeeMode: 1
; LDSByteSize: 0 bytes/workgroup (compile time only)
; SGPRBlocks: 3
; VGPRBlocks: 13
; NumSGPRsForWavesPerEU: 26
; NumVGPRsForWavesPerEU: 108
; AccumOffset: 108
; Occupancy: 4
; WaveLimiterHint : 1
; COMPUTE_PGM_RSRC2:SCRATCH_EN: 0
; COMPUTE_PGM_RSRC2:USER_SGPR: 6
; COMPUTE_PGM_RSRC2:TRAP_HANDLER: 0
; COMPUTE_PGM_RSRC2:TGID_X_EN: 1
; COMPUTE_PGM_RSRC2:TGID_Y_EN: 0
; COMPUTE_PGM_RSRC2:TGID_Z_EN: 0
; COMPUTE_PGM_RSRC2:TIDIG_COMP_CNT: 0
; COMPUTE_PGM_RSRC3_GFX90A:ACCUM_OFFSET: 26
; COMPUTE_PGM_RSRC3_GFX90A:TG_SPLIT: 0
	.section	.text._ZN9rocsparseL18bsrxmvn_4x4_kernelILj128ELj4E21rocsparse_complex_numIdEliS2_S2_S2_EEvT3_20rocsparse_direction_NS_24const_host_device_scalarIT1_EES3_PKS3_PKT2_SC_S9_PKT4_PKT5_S7_PT6_21rocsparse_index_base_b,"axG",@progbits,_ZN9rocsparseL18bsrxmvn_4x4_kernelILj128ELj4E21rocsparse_complex_numIdEliS2_S2_S2_EEvT3_20rocsparse_direction_NS_24const_host_device_scalarIT1_EES3_PKS3_PKT2_SC_S9_PKT4_PKT5_S7_PT6_21rocsparse_index_base_b,comdat
	.globl	_ZN9rocsparseL18bsrxmvn_4x4_kernelILj128ELj4E21rocsparse_complex_numIdEliS2_S2_S2_EEvT3_20rocsparse_direction_NS_24const_host_device_scalarIT1_EES3_PKS3_PKT2_SC_S9_PKT4_PKT5_S7_PT6_21rocsparse_index_base_b ; -- Begin function _ZN9rocsparseL18bsrxmvn_4x4_kernelILj128ELj4E21rocsparse_complex_numIdEliS2_S2_S2_EEvT3_20rocsparse_direction_NS_24const_host_device_scalarIT1_EES3_PKS3_PKT2_SC_S9_PKT4_PKT5_S7_PT6_21rocsparse_index_base_b
	.p2align	8
	.type	_ZN9rocsparseL18bsrxmvn_4x4_kernelILj128ELj4E21rocsparse_complex_numIdEliS2_S2_S2_EEvT3_20rocsparse_direction_NS_24const_host_device_scalarIT1_EES3_PKS3_PKT2_SC_S9_PKT4_PKT5_S7_PT6_21rocsparse_index_base_b,@function
_ZN9rocsparseL18bsrxmvn_4x4_kernelILj128ELj4E21rocsparse_complex_numIdEliS2_S2_S2_EEvT3_20rocsparse_direction_NS_24const_host_device_scalarIT1_EES3_PKS3_PKT2_SC_S9_PKT4_PKT5_S7_PT6_21rocsparse_index_base_b: ; @_ZN9rocsparseL18bsrxmvn_4x4_kernelILj128ELj4E21rocsparse_complex_numIdEliS2_S2_S2_EEvT3_20rocsparse_direction_NS_24const_host_device_scalarIT1_EES3_PKS3_PKT2_SC_S9_PKT4_PKT5_S7_PT6_21rocsparse_index_base_b
; %bb.0:
	s_load_dwordx2 s[20:21], s[6:7], 0x68
	s_load_dwordx4 s[12:15], s[6:7], 0x8
	s_load_dwordx2 s[10:11], s[4:5], 0x4
	s_load_dwordx4 s[16:19], s[6:7], 0x50
	s_mov_b64 s[2:3], src_shared_base
	v_bfe_u32 v2, v0, 10, 10
	s_waitcnt lgkmcnt(0)
	s_bitcmp1_b32 s21, 0
	s_cselect_b64 s[0:1], -1, 0
	s_and_b64 vcc, s[0:1], exec
	s_cselect_b32 s2, s3, s13
	s_lshr_b32 s4, s10, 16
	v_and_b32_e32 v1, 0x3ff, v0
	s_mul_i32 s4, s4, s11
	v_mul_u32_u24_e32 v2, s11, v2
	v_mad_u32_u24 v2, s4, v1, v2
	v_bfe_u32 v0, v0, 20, 10
	v_add_lshl_u32 v0, v2, v0, 3
	v_mov_b32_e32 v6, s12
	v_add_u32_e32 v7, 0x400, v0
	v_pk_mov_b32 v[2:3], s[12:13], s[12:13] op_sel:[0,1]
	v_pk_mov_b32 v[4:5], s[16:17], s[16:17] op_sel:[0,1]
	ds_write2st64_b64 v0, v[4:5], v[2:3] offset1:2
	v_cndmask_b32_e64 v2, v6, v7, s[0:1]
	v_mov_b32_e32 v3, s2
	flat_load_dwordx2 v[36:37], v[2:3]
	s_xor_b64 s[4:5], s[0:1], -1
	v_pk_mov_b32 v[38:39], s[14:15], s[14:15] op_sel:[0,1]
	s_cbranch_vccnz .LBB35_2
; %bb.1:
	v_pk_mov_b32 v[2:3], s[12:13], s[12:13] op_sel:[0,1]
	flat_load_dwordx2 v[38:39], v[2:3] offset:8
.LBB35_2:
	s_and_b64 s[10:11], s[0:1], exec
	s_cselect_b32 s2, s3, s17
	v_mov_b32_e32 v2, s16
	v_cndmask_b32_e64 v2, v2, v0, s[0:1]
	v_mov_b32_e32 v3, s2
	flat_load_dwordx2 v[32:33], v[2:3]
	s_andn2_b64 vcc, exec, s[4:5]
	v_pk_mov_b32 v[34:35], s[18:19], s[18:19] op_sel:[0,1]
	s_cbranch_vccnz .LBB35_4
; %bb.3:
	v_pk_mov_b32 v[2:3], s[16:17], s[16:17] op_sel:[0,1]
	flat_load_dwordx2 v[34:35], v[2:3] offset:8
.LBB35_4:
	s_waitcnt vmcnt(0) lgkmcnt(0)
	v_cmp_eq_f64_e32 vcc, 0, v[36:37]
	v_cmp_eq_f64_e64 s[0:1], 0, v[38:39]
	s_and_b64 s[4:5], vcc, s[0:1]
	s_mov_b64 s[0:1], -1
	s_and_saveexec_b64 s[2:3], s[4:5]
; %bb.5:
	v_cmp_neq_f64_e32 vcc, 1.0, v[32:33]
	v_cmp_neq_f64_e64 s[0:1], 0, v[34:35]
	s_or_b64 s[0:1], vcc, s[0:1]
	s_orn2_b64 s[0:1], s[0:1], exec
; %bb.6:
	s_or_b64 exec, exec, s[2:3]
	s_and_saveexec_b64 s[2:3], s[0:1]
	s_cbranch_execz .LBB35_12
; %bb.7:
	s_load_dwordx2 s[4:5], s[6:7], 0x20
	s_load_dwordx2 s[0:1], s[6:7], 0x0
	v_lshrrev_b32_e32 v0, 2, v1
	v_lshl_or_b32 v40, s8, 5, v0
	s_mov_b64 s[2:3], 0
	s_waitcnt lgkmcnt(0)
	s_cmp_lg_u64 s[4:5], 0
	s_cbranch_scc0 .LBB35_13
; %bb.8:
	s_load_dword s8, s[6:7], 0x18
                                        ; implicit-def: $vgpr0
	s_waitcnt lgkmcnt(0)
	v_cmp_gt_i32_e32 vcc, s8, v40
	s_and_saveexec_b64 s[8:9], vcc
	s_xor_b64 s[8:9], exec, s[8:9]
	s_cbranch_execz .LBB35_10
; %bb.9:
	v_ashrrev_i32_e32 v41, 31, v40
	v_lshlrev_b64 v[2:3], 2, v[40:41]
	v_mov_b32_e32 v0, s5
	v_add_co_u32_e32 v2, vcc, s4, v2
	v_addc_co_u32_e32 v3, vcc, v0, v3, vcc
	global_load_dword v0, v[2:3], off
	s_mov_b64 s[2:3], exec
	s_waitcnt vmcnt(0)
	v_subrev_u32_e32 v0, s20, v0
.LBB35_10:
	s_or_b64 exec, exec, s[8:9]
	s_branch .LBB35_14
.LBB35_11:
	v_cmp_gt_i32_e32 vcc, s0, v40
	s_andn2_b64 s[2:3], s[2:3], exec
	s_and_b64 s[4:5], vcc, exec
	s_or_b64 s[2:3], s[2:3], s[4:5]
	s_and_b64 exec, exec, s[2:3]
	s_cbranch_execnz .LBB35_15
.LBB35_12:
	s_endpgm
.LBB35_13:
                                        ; implicit-def: $vgpr0
	s_cbranch_execnz .LBB35_11
.LBB35_14:
	v_mov_b32_e32 v40, v0
	s_and_b64 exec, exec, s[2:3]
	s_cbranch_execz .LBB35_12
.LBB35_15:
	s_load_dwordx8 s[8:15], s[6:7], 0x28
	v_ashrrev_i32_e32 v41, 31, v40
	v_lshlrev_b64 v[2:3], 3, v[40:41]
	v_and_b32_e32 v42, 3, v1
	s_load_dwordx2 s[4:5], s[6:7], 0x48
	s_waitcnt lgkmcnt(0)
	v_mov_b32_e32 v0, s9
	v_add_co_u32_e32 v4, vcc, s8, v2
	v_addc_co_u32_e32 v5, vcc, v0, v3, vcc
	v_add_co_u32_e32 v0, vcc, 8, v4
	global_load_dwordx2 v[16:17], v[4:5], off
	v_addc_co_u32_e32 v4, vcc, 0, v5, vcc
	v_mov_b32_e32 v5, s11
	v_add_co_u32_e32 v2, vcc, s10, v2
	s_cmp_eq_u64 s[10:11], 0
	v_addc_co_u32_e32 v3, vcc, v5, v3, vcc
	s_cselect_b64 vcc, -1, 0
	v_cndmask_b32_e32 v3, v3, v4, vcc
	v_cndmask_b32_e32 v2, v2, v0, vcc
	global_load_dwordx2 v[2:3], v[2:3], off
	v_mov_b32_e32 v4, s15
	s_mov_b32 s18, 0
	s_cmp_eq_u32 s1, 1
	s_waitcnt vmcnt(1)
	v_subrev_co_u32_e32 v0, vcc, s20, v16
	v_subbrev_co_u32_e32 v1, vcc, 0, v17, vcc
	v_add_co_u32_e32 v44, vcc, v0, v42
	v_addc_co_u32_e32 v45, vcc, 0, v1, vcc
	v_lshlrev_b64 v[0:1], 8, v[44:45]
	s_waitcnt vmcnt(0)
	v_subrev_co_u32_e32 v46, vcc, s20, v2
	v_subbrev_co_u32_e32 v47, vcc, 0, v3, vcc
	v_add_co_u32_e32 v48, vcc, s14, v0
	v_addc_co_u32_e32 v49, vcc, v4, v1, vcc
	v_cmp_lt_i64_e64 s[0:1], v[44:45], v[46:47]
	s_cbranch_scc1 .LBB35_27
; %bb.16:
	v_pk_mov_b32 v[52:53], 0, 0
	s_mov_b64 s[8:9], 0
	v_pk_mov_b32 v[58:59], v[52:53], v[52:53] op_sel:[0,1]
	v_pk_mov_b32 v[64:65], v[52:53], v[52:53] op_sel:[0,1]
	;; [unrolled: 1-line block ×7, first 2 shown]
	s_and_saveexec_b64 s[10:11], s[0:1]
	s_cbranch_execz .LBB35_26
; %bb.17:
	v_or_b32_e32 v0, 4, v42
	v_mov_b32_e32 v1, s18
	v_subrev_co_u32_e32 v0, vcc, s20, v0
	v_subb_co_u32_e32 v1, vcc, 0, v1, vcc
	v_add_co_u32_e32 v0, vcc, v0, v16
	v_addc_co_u32_e32 v1, vcc, v1, v17, vcc
	v_cmp_gt_i64_e32 vcc, v[0:1], v[46:47]
	v_cndmask_b32_e32 v1, v47, v1, vcc
	v_cndmask_b32_e32 v0, v46, v0, vcc
	v_mov_b32_e32 v4, s18
	v_sub_co_u32_e32 v5, vcc, s20, v42
	v_not_b32_e32 v3, v16
	v_subbrev_co_u32_e32 v4, vcc, 0, v4, vcc
	v_not_b32_e32 v2, v17
	v_add_co_u32_e32 v3, vcc, v5, v3
	v_addc_co_u32_e32 v2, vcc, v4, v2, vcc
	v_add_co_u32_e32 v22, vcc, v3, v0
	v_lshrrev_b32_e32 v0, 2, v22
	v_add_u32_e32 v0, 1, v0
	v_addc_co_u32_e32 v23, vcc, v2, v1, vcc
	v_and_b32_e32 v0, 3, v0
	v_pk_mov_b32 v[56:57], 0, 0
	v_cmp_ne_u32_e32 vcc, 0, v0
	s_mov_b64 s[16:17], 0
	v_pk_mov_b32 v[60:61], v[56:57], v[56:57] op_sel:[0,1]
	v_pk_mov_b32 v[54:55], v[56:57], v[56:57] op_sel:[0,1]
	;; [unrolled: 1-line block ×9, first 2 shown]
	s_and_saveexec_b64 s[14:15], vcc
	s_cbranch_execz .LBB35_21
; %bb.18:
	v_lshlrev_b64 v[2:3], 2, v[44:45]
	v_mov_b32_e32 v1, s13
	v_add_co_u32_e32 v26, vcc, s12, v2
	v_pk_mov_b32 v[52:53], 0, 0
	v_mov_b32_e32 v25, 0
	v_addc_co_u32_e32 v27, vcc, v1, v3, vcc
	v_lshlrev_b32_e32 v24, 2, v0
	s_movk_i32 s19, 0x400
	v_mov_b32_e32 v28, s5
	v_pk_mov_b32 v[20:21], v[44:45], v[44:45] op_sel:[0,1]
	v_pk_mov_b32 v[18:19], v[48:49], v[48:49] op_sel:[0,1]
	;; [unrolled: 1-line block ×9, first 2 shown]
.LBB35_19:                              ; =>This Inner Loop Header: Depth=1
	global_load_dword v29, v[26:27], off
	global_load_dwordx4 v[0:3], v[18:19], off offset:16
	global_load_dwordx4 v[4:7], v[18:19], off
	global_load_dwordx4 v[8:11], v[18:19], off offset:80
	global_load_dwordx4 v[12:15], v[18:19], off offset:64
	;; [unrolled: 1-line block ×14, first 2 shown]
	v_add_co_u32_e32 v18, vcc, s19, v18
	v_addc_co_u32_e32 v19, vcc, 0, v19, vcc
	s_waitcnt vmcnt(16)
	v_subrev_u32_e32 v29, s20, v29
	v_lshlrev_b32_e32 v30, 2, v29
	v_ashrrev_i32_e32 v31, 31, v30
	v_lshlrev_b64 v[30:31], 4, v[30:31]
	v_add_co_u32_e64 v30, s[2:3], s4, v30
	v_addc_co_u32_e64 v31, s[2:3], v28, v31, s[2:3]
	global_load_dwordx4 v[114:117], v[30:31], off
	global_load_dwordx4 v[118:121], v[30:31], off offset:16
	global_load_dwordx4 v[122:125], v[30:31], off offset:32
	;; [unrolled: 1-line block ×3, first 2 shown]
	v_add_co_u32_e64 v20, s[2:3], 4, v20
	v_addc_co_u32_e64 v21, s[2:3], 0, v21, s[2:3]
	v_add_co_u32_e64 v26, s[2:3], 16, v26
	v_addc_co_u32_e64 v27, s[2:3], 0, v27, s[2:3]
	v_add_co_u32_e64 v24, s[2:3], -4, v24
	v_addc_co_u32_e64 v25, s[2:3], -1, v25, s[2:3]
	v_cmp_eq_u64_e32 vcc, 0, v[24:25]
	s_or_b64 s[16:17], vcc, s[16:17]
	s_waitcnt vmcnt(3)
	v_fmac_f64_e32 v[58:59], v[4:5], v[114:115]
	v_fmac_f64_e32 v[52:53], v[6:7], v[114:115]
	v_fmac_f64_e32 v[60:61], v[12:13], v[114:115]
	v_fmac_f64_e32 v[56:57], v[14:15], v[114:115]
	v_fmac_f64_e32 v[62:63], v[70:71], v[114:115]
	v_fmac_f64_e32 v[54:55], v[72:73], v[114:115]
	v_fmac_f64_e32 v[64:65], v[74:75], v[114:115]
	v_fmac_f64_e32 v[50:51], v[76:77], v[114:115]
	v_fma_f64 v[6:7], -v[6:7], v[116:117], v[58:59]
	v_fmac_f64_e32 v[52:53], v[4:5], v[116:117]
	v_fma_f64 v[4:5], -v[14:15], v[116:117], v[60:61]
	v_fmac_f64_e32 v[56:57], v[12:13], v[116:117]
	v_fma_f64 v[12:13], -v[72:73], v[116:117], v[62:63]
	v_fmac_f64_e32 v[54:55], v[70:71], v[116:117]
	v_fma_f64 v[14:15], -v[76:77], v[116:117], v[64:65]
	v_fmac_f64_e32 v[50:51], v[74:75], v[116:117]
	s_waitcnt vmcnt(2)
	v_fmac_f64_e32 v[6:7], v[0:1], v[118:119]
	v_fmac_f64_e32 v[52:53], v[2:3], v[118:119]
	v_fmac_f64_e32 v[4:5], v[8:9], v[118:119]
	v_fmac_f64_e32 v[56:57], v[10:11], v[118:119]
	v_fmac_f64_e32 v[12:13], v[66:67], v[118:119]
	v_fmac_f64_e32 v[54:55], v[68:69], v[118:119]
	v_fmac_f64_e32 v[14:15], v[78:79], v[118:119]
	v_fmac_f64_e32 v[50:51], v[80:81], v[118:119]
	v_fma_f64 v[2:3], -v[2:3], v[120:121], v[6:7]
	v_fmac_f64_e32 v[52:53], v[0:1], v[120:121]
	v_fma_f64 v[0:1], -v[10:11], v[120:121], v[4:5]
	v_fmac_f64_e32 v[56:57], v[8:9], v[120:121]
	v_fma_f64 v[4:5], -v[68:69], v[120:121], v[12:13]
	v_fmac_f64_e32 v[54:55], v[66:67], v[120:121]
	v_fma_f64 v[6:7], -v[80:81], v[120:121], v[14:15]
	v_fmac_f64_e32 v[50:51], v[78:79], v[120:121]
	;; [unrolled: 17-line block ×4, first 2 shown]
	s_andn2_b64 exec, exec, s[16:17]
	s_cbranch_execnz .LBB35_19
; %bb.20:
	s_or_b64 exec, exec, s[16:17]
.LBB35_21:
	s_or_b64 exec, exec, s[14:15]
	v_cmp_lt_u64_e32 vcc, 11, v[22:23]
	s_and_saveexec_b64 s[2:3], vcc
	s_cbranch_execz .LBB35_25
; %bb.22:
	v_lshlrev_b64 v[0:1], 2, v[20:21]
	v_mov_b32_e32 v2, s13
	v_add_co_u32_e32 v0, vcc, s12, v0
	v_addc_co_u32_e32 v1, vcc, v1, v2, vcc
	v_add_co_u32_e32 v22, vcc, 32, v0
	v_addc_co_u32_e32 v23, vcc, 0, v1, vcc
	s_mov_b64 s[14:15], 0
	v_mov_b32_e32 v41, s5
	s_movk_i32 s16, 0x1000
.LBB35_23:                              ; =>This Inner Loop Header: Depth=1
	global_load_dword v0, v[22:23], off offset:-32
	global_load_dwordx4 v[26:29], v[18:19], off offset:48
	global_load_dwordx4 v[66:69], v[18:19], off offset:32
	;; [unrolled: 1-line block ×3, first 2 shown]
	global_load_dwordx4 v[74:77], v[18:19], off
	s_waitcnt vmcnt(4)
	v_subrev_u32_e32 v0, s20, v0
	v_lshlrev_b32_e32 v0, 2, v0
	v_ashrrev_i32_e32 v1, 31, v0
	v_lshlrev_b64 v[0:1], 4, v[0:1]
	v_add_co_u32_e32 v24, vcc, s4, v0
	v_addc_co_u32_e32 v25, vcc, v41, v1, vcc
	global_load_dwordx4 v[0:3], v[24:25], off offset:48
	global_load_dwordx4 v[4:7], v[24:25], off offset:32
	;; [unrolled: 1-line block ×3, first 2 shown]
	global_load_dwordx4 v[12:15], v[24:25], off
	s_waitcnt vmcnt(0)
	v_fmac_f64_e32 v[58:59], v[74:75], v[12:13]
	v_fma_f64 v[24:25], -v[76:77], v[14:15], v[58:59]
	v_fmac_f64_e32 v[52:53], v[76:77], v[12:13]
	v_fmac_f64_e32 v[52:53], v[74:75], v[14:15]
	v_fmac_f64_e32 v[24:25], v[70:71], v[8:9]
	v_fma_f64 v[24:25], -v[72:73], v[10:11], v[24:25]
	v_fmac_f64_e32 v[52:53], v[72:73], v[8:9]
	v_fmac_f64_e32 v[52:53], v[70:71], v[10:11]
	v_fmac_f64_e32 v[24:25], v[66:67], v[4:5]
	v_fma_f64 v[24:25], -v[68:69], v[6:7], v[24:25]
	v_fmac_f64_e32 v[52:53], v[68:69], v[4:5]
	v_fmac_f64_e32 v[52:53], v[66:67], v[6:7]
	v_fmac_f64_e32 v[24:25], v[26:27], v[0:1]
	v_fma_f64 v[24:25], -v[28:29], v[2:3], v[24:25]
	v_fmac_f64_e32 v[52:53], v[28:29], v[0:1]
	global_load_dwordx4 v[28:31], v[18:19], off offset:112
	global_load_dwordx4 v[66:69], v[18:19], off offset:96
	;; [unrolled: 1-line block ×4, first 2 shown]
	v_fmac_f64_e32 v[52:53], v[26:27], v[2:3]
	s_waitcnt vmcnt(0)
	v_fmac_f64_e32 v[60:61], v[74:75], v[12:13]
	v_fmac_f64_e32 v[56:57], v[76:77], v[12:13]
	v_fma_f64 v[26:27], -v[76:77], v[14:15], v[60:61]
	v_fmac_f64_e32 v[56:57], v[74:75], v[14:15]
	v_fmac_f64_e32 v[26:27], v[70:71], v[8:9]
	v_fmac_f64_e32 v[56:57], v[72:73], v[8:9]
	v_fma_f64 v[26:27], -v[72:73], v[10:11], v[26:27]
	v_fmac_f64_e32 v[56:57], v[70:71], v[10:11]
	;; [unrolled: 4-line block ×4, first 2 shown]
	global_load_dwordx4 v[58:61], v[18:19], off offset:176
	global_load_dwordx4 v[28:31], v[18:19], off offset:160
	global_load_dwordx4 v[66:69], v[18:19], off offset:144
	global_load_dwordx4 v[70:73], v[18:19], off offset:128
	s_waitcnt vmcnt(0)
	v_fmac_f64_e32 v[62:63], v[70:71], v[12:13]
	v_fmac_f64_e32 v[54:55], v[72:73], v[12:13]
	v_fma_f64 v[62:63], -v[72:73], v[14:15], v[62:63]
	v_fmac_f64_e32 v[54:55], v[70:71], v[14:15]
	v_fmac_f64_e32 v[62:63], v[66:67], v[8:9]
	v_fmac_f64_e32 v[54:55], v[68:69], v[8:9]
	v_fma_f64 v[62:63], -v[68:69], v[10:11], v[62:63]
	v_fmac_f64_e32 v[54:55], v[66:67], v[10:11]
	;; [unrolled: 4-line block ×4, first 2 shown]
	global_load_dwordx4 v[58:61], v[18:19], off offset:240
	global_load_dwordx4 v[66:69], v[18:19], off offset:224
	;; [unrolled: 1-line block ×4, first 2 shown]
	s_waitcnt vmcnt(0)
	v_fmac_f64_e32 v[64:65], v[74:75], v[12:13]
	v_fmac_f64_e32 v[50:51], v[76:77], v[12:13]
	v_fma_f64 v[30:31], -v[76:77], v[14:15], v[64:65]
	v_fmac_f64_e32 v[50:51], v[74:75], v[14:15]
	v_fmac_f64_e32 v[30:31], v[70:71], v[8:9]
	v_fmac_f64_e32 v[50:51], v[72:73], v[8:9]
	v_fma_f64 v[12:13], -v[72:73], v[10:11], v[30:31]
	v_fmac_f64_e32 v[50:51], v[70:71], v[10:11]
	;; [unrolled: 4-line block ×3, first 2 shown]
	v_fmac_f64_e32 v[8:9], v[58:59], v[0:1]
	v_fmac_f64_e32 v[50:51], v[60:61], v[0:1]
	global_load_dword v0, v[22:23], off offset:-16
	v_fma_f64 v[6:7], -v[60:61], v[2:3], v[8:9]
	v_fmac_f64_e32 v[50:51], v[58:59], v[2:3]
	global_load_dwordx4 v[2:5], v[18:19], off offset:1072
	global_load_dwordx4 v[8:11], v[18:19], off offset:1056
	;; [unrolled: 1-line block ×4, first 2 shown]
	s_waitcnt vmcnt(4)
	v_subrev_u32_e32 v0, s20, v0
	v_lshlrev_b32_e32 v0, 2, v0
	v_ashrrev_i32_e32 v1, 31, v0
	v_lshlrev_b64 v[0:1], 4, v[0:1]
	v_add_co_u32_e32 v0, vcc, s4, v0
	v_addc_co_u32_e32 v1, vcc, v41, v1, vcc
	global_load_dwordx4 v[62:65], v[0:1], off offset:48
	global_load_dwordx4 v[66:69], v[0:1], off offset:32
	;; [unrolled: 1-line block ×3, first 2 shown]
	global_load_dwordx4 v[74:77], v[0:1], off
	s_waitcnt vmcnt(0)
	v_fmac_f64_e32 v[24:25], v[58:59], v[74:75]
	v_fmac_f64_e32 v[52:53], v[60:61], v[74:75]
	v_fma_f64 v[0:1], -v[60:61], v[76:77], v[24:25]
	v_fmac_f64_e32 v[52:53], v[58:59], v[76:77]
	v_fmac_f64_e32 v[0:1], v[12:13], v[70:71]
	v_fmac_f64_e32 v[52:53], v[14:15], v[70:71]
	v_fma_f64 v[0:1], -v[14:15], v[72:73], v[0:1]
	v_fmac_f64_e32 v[52:53], v[12:13], v[72:73]
	v_fmac_f64_e32 v[0:1], v[8:9], v[66:67]
	v_fmac_f64_e32 v[52:53], v[10:11], v[66:67]
	v_fma_f64 v[0:1], -v[10:11], v[68:69], v[0:1]
	v_fmac_f64_e32 v[52:53], v[8:9], v[68:69]
	v_fmac_f64_e32 v[0:1], v[2:3], v[62:63]
	v_fmac_f64_e32 v[52:53], v[4:5], v[62:63]
	v_fma_f64 v[0:1], -v[4:5], v[64:65], v[0:1]
	v_fmac_f64_e32 v[52:53], v[2:3], v[64:65]
	global_load_dwordx4 v[8:11], v[18:19], off offset:1136
	global_load_dwordx4 v[2:5], v[18:19], off offset:1120
	global_load_dwordx4 v[12:15], v[18:19], off offset:1104
	global_load_dwordx4 v[58:61], v[18:19], off offset:1088
	s_waitcnt vmcnt(0)
	v_fmac_f64_e32 v[26:27], v[58:59], v[74:75]
	v_fmac_f64_e32 v[56:57], v[60:61], v[74:75]
	v_fma_f64 v[24:25], -v[60:61], v[76:77], v[26:27]
	v_fmac_f64_e32 v[56:57], v[58:59], v[76:77]
	v_fmac_f64_e32 v[24:25], v[12:13], v[70:71]
	v_fmac_f64_e32 v[56:57], v[14:15], v[70:71]
	v_fma_f64 v[24:25], -v[14:15], v[72:73], v[24:25]
	v_fmac_f64_e32 v[56:57], v[12:13], v[72:73]
	v_fmac_f64_e32 v[24:25], v[2:3], v[66:67]
	v_fmac_f64_e32 v[56:57], v[4:5], v[66:67]
	v_fma_f64 v[12:13], -v[4:5], v[68:69], v[24:25]
	v_fmac_f64_e32 v[56:57], v[2:3], v[68:69]
	v_fmac_f64_e32 v[12:13], v[8:9], v[62:63]
	v_fmac_f64_e32 v[56:57], v[10:11], v[62:63]
	v_fma_f64 v[2:3], -v[10:11], v[64:65], v[12:13]
	v_fmac_f64_e32 v[56:57], v[8:9], v[64:65]
	global_load_dwordx4 v[8:11], v[18:19], off offset:1200
	global_load_dwordx4 v[12:15], v[18:19], off offset:1184
	global_load_dwordx4 v[24:27], v[18:19], off offset:1168
	global_load_dwordx4 v[58:61], v[18:19], off offset:1152
	;; [unrolled: 21-line block ×3, first 2 shown]
	s_waitcnt vmcnt(0)
	v_fmac_f64_e32 v[50:51], v[30:31], v[74:75]
	v_fmac_f64_e32 v[6:7], v[28:29], v[74:75]
	v_fmac_f64_e32 v[50:51], v[28:29], v[76:77]
	v_fma_f64 v[6:7], -v[30:31], v[76:77], v[6:7]
	v_fmac_f64_e32 v[50:51], v[26:27], v[70:71]
	v_fmac_f64_e32 v[6:7], v[24:25], v[70:71]
	v_fmac_f64_e32 v[50:51], v[24:25], v[72:73]
	v_fma_f64 v[6:7], -v[26:27], v[72:73], v[6:7]
	;; [unrolled: 4-line block ×3, first 2 shown]
	v_fmac_f64_e32 v[50:51], v[10:11], v[62:63]
	v_fmac_f64_e32 v[6:7], v[8:9], v[62:63]
	;; [unrolled: 1-line block ×3, first 2 shown]
	global_load_dword v8, v[22:23], off
	v_fma_f64 v[6:7], -v[10:11], v[64:65], v[6:7]
	s_waitcnt vmcnt(0)
	v_subrev_u32_e32 v8, s20, v8
	v_lshlrev_b32_e32 v58, 2, v8
	v_ashrrev_i32_e32 v59, 31, v58
	v_lshlrev_b64 v[58:59], 4, v[58:59]
	v_add_co_u32_e32 v74, vcc, s4, v58
	v_addc_co_u32_e32 v75, vcc, v41, v59, vcc
	global_load_dwordx4 v[8:11], v[18:19], off offset:2096
	global_load_dwordx4 v[12:15], v[18:19], off offset:2080
	;; [unrolled: 1-line block ×7, first 2 shown]
	global_load_dwordx4 v[70:73], v[74:75], off
	s_waitcnt vmcnt(0)
	v_fmac_f64_e32 v[0:1], v[28:29], v[70:71]
	v_fmac_f64_e32 v[52:53], v[30:31], v[70:71]
	v_fma_f64 v[0:1], -v[30:31], v[72:73], v[0:1]
	v_fmac_f64_e32 v[52:53], v[28:29], v[72:73]
	v_fmac_f64_e32 v[0:1], v[24:25], v[66:67]
	v_fmac_f64_e32 v[52:53], v[26:27], v[66:67]
	v_fma_f64 v[0:1], -v[26:27], v[68:69], v[0:1]
	v_fmac_f64_e32 v[52:53], v[24:25], v[68:69]
	v_fmac_f64_e32 v[0:1], v[12:13], v[62:63]
	v_fmac_f64_e32 v[52:53], v[14:15], v[62:63]
	v_fma_f64 v[0:1], -v[14:15], v[64:65], v[0:1]
	v_fmac_f64_e32 v[52:53], v[12:13], v[64:65]
	v_fmac_f64_e32 v[0:1], v[8:9], v[58:59]
	v_fmac_f64_e32 v[52:53], v[10:11], v[58:59]
	v_fma_f64 v[30:31], -v[10:11], v[60:61], v[0:1]
	v_fmac_f64_e32 v[52:53], v[8:9], v[60:61]
	global_load_dwordx4 v[8:11], v[18:19], off offset:2160
	global_load_dwordx4 v[12:15], v[18:19], off offset:2144
	global_load_dwordx4 v[24:27], v[18:19], off offset:2128
	global_load_dwordx4 v[74:77], v[18:19], off offset:2112
	s_waitcnt vmcnt(0)
	v_fmac_f64_e32 v[2:3], v[74:75], v[70:71]
	v_fmac_f64_e32 v[56:57], v[76:77], v[70:71]
	v_fma_f64 v[0:1], -v[76:77], v[72:73], v[2:3]
	v_fmac_f64_e32 v[56:57], v[74:75], v[72:73]
	v_fmac_f64_e32 v[0:1], v[24:25], v[66:67]
	v_fmac_f64_e32 v[56:57], v[26:27], v[66:67]
	v_fma_f64 v[0:1], -v[26:27], v[68:69], v[0:1]
	v_fmac_f64_e32 v[56:57], v[24:25], v[68:69]
	v_fmac_f64_e32 v[0:1], v[12:13], v[62:63]
	v_fmac_f64_e32 v[56:57], v[14:15], v[62:63]
	v_fma_f64 v[0:1], -v[14:15], v[64:65], v[0:1]
	v_fmac_f64_e32 v[56:57], v[12:13], v[64:65]
	v_fmac_f64_e32 v[0:1], v[8:9], v[58:59]
	v_fmac_f64_e32 v[56:57], v[10:11], v[58:59]
	v_fma_f64 v[28:29], -v[10:11], v[60:61], v[0:1]
	v_fmac_f64_e32 v[56:57], v[8:9], v[60:61]
	global_load_dwordx4 v[0:3], v[18:19], off offset:2224
	global_load_dwordx4 v[8:11], v[18:19], off offset:2208
	global_load_dwordx4 v[12:15], v[18:19], off offset:2192
	global_load_dwordx4 v[24:27], v[18:19], off offset:2176
	;; [unrolled: 21-line block ×3, first 2 shown]
	s_waitcnt vmcnt(0)
	v_fmac_f64_e32 v[50:51], v[76:77], v[70:71]
	v_fmac_f64_e32 v[6:7], v[74:75], v[70:71]
	v_fmac_f64_e32 v[50:51], v[74:75], v[72:73]
	v_fma_f64 v[4:5], -v[76:77], v[72:73], v[6:7]
	v_fmac_f64_e32 v[50:51], v[14:15], v[66:67]
	v_fmac_f64_e32 v[4:5], v[12:13], v[66:67]
	v_fmac_f64_e32 v[50:51], v[12:13], v[68:69]
	v_fma_f64 v[4:5], -v[14:15], v[68:69], v[4:5]
	;; [unrolled: 4-line block ×3, first 2 shown]
	v_fmac_f64_e32 v[50:51], v[2:3], v[58:59]
	v_fmac_f64_e32 v[4:5], v[0:1], v[58:59]
	;; [unrolled: 1-line block ×3, first 2 shown]
	global_load_dword v0, v[22:23], off offset:16
	v_fma_f64 v[24:25], -v[2:3], v[60:61], v[4:5]
	global_load_dwordx4 v[60:63], v[18:19], off offset:3120
	global_load_dwordx4 v[64:67], v[18:19], off offset:3104
	;; [unrolled: 1-line block ×4, first 2 shown]
	s_waitcnt vmcnt(4)
	v_subrev_u32_e32 v0, s20, v0
	v_lshlrev_b32_e32 v0, 2, v0
	v_ashrrev_i32_e32 v1, 31, v0
	v_lshlrev_b64 v[0:1], 4, v[0:1]
	v_add_co_u32_e32 v58, vcc, s4, v0
	v_addc_co_u32_e32 v59, vcc, v41, v1, vcc
	global_load_dwordx4 v[0:3], v[58:59], off offset:48
	global_load_dwordx4 v[4:7], v[58:59], off offset:32
	global_load_dwordx4 v[8:11], v[58:59], off offset:16
	global_load_dwordx4 v[12:15], v[58:59], off
	s_waitcnt vmcnt(0)
	v_fmac_f64_e32 v[30:31], v[72:73], v[12:13]
	v_fma_f64 v[30:31], -v[74:75], v[14:15], v[30:31]
	v_fmac_f64_e32 v[52:53], v[74:75], v[12:13]
	v_fmac_f64_e32 v[52:53], v[72:73], v[14:15]
	v_fmac_f64_e32 v[30:31], v[68:69], v[8:9]
	v_fma_f64 v[30:31], -v[70:71], v[10:11], v[30:31]
	v_fmac_f64_e32 v[52:53], v[70:71], v[8:9]
	v_fmac_f64_e32 v[52:53], v[68:69], v[10:11]
	;; [unrolled: 4-line block ×3, first 2 shown]
	v_fmac_f64_e32 v[30:31], v[60:61], v[0:1]
	v_fma_f64 v[58:59], -v[62:63], v[2:3], v[30:31]
	v_fmac_f64_e32 v[52:53], v[62:63], v[0:1]
	global_load_dwordx4 v[62:65], v[18:19], off offset:3184
	global_load_dwordx4 v[66:69], v[18:19], off offset:3168
	;; [unrolled: 1-line block ×4, first 2 shown]
	v_fmac_f64_e32 v[52:53], v[60:61], v[2:3]
	s_waitcnt vmcnt(0)
	v_fmac_f64_e32 v[28:29], v[74:75], v[12:13]
	v_fmac_f64_e32 v[56:57], v[76:77], v[12:13]
	v_fma_f64 v[28:29], -v[76:77], v[14:15], v[28:29]
	v_fmac_f64_e32 v[56:57], v[74:75], v[14:15]
	v_fmac_f64_e32 v[28:29], v[70:71], v[8:9]
	v_fmac_f64_e32 v[56:57], v[72:73], v[8:9]
	v_fma_f64 v[28:29], -v[72:73], v[10:11], v[28:29]
	v_fmac_f64_e32 v[56:57], v[70:71], v[10:11]
	;; [unrolled: 4-line block ×4, first 2 shown]
	global_load_dwordx4 v[28:31], v[18:19], off offset:3248
	global_load_dwordx4 v[62:65], v[18:19], off offset:3232
	;; [unrolled: 1-line block ×4, first 2 shown]
	s_waitcnt vmcnt(0)
	v_fmac_f64_e32 v[26:27], v[70:71], v[12:13]
	v_fmac_f64_e32 v[54:55], v[72:73], v[12:13]
	v_fma_f64 v[26:27], -v[72:73], v[14:15], v[26:27]
	v_fmac_f64_e32 v[54:55], v[70:71], v[14:15]
	v_fmac_f64_e32 v[26:27], v[66:67], v[8:9]
	v_fmac_f64_e32 v[54:55], v[68:69], v[8:9]
	v_fma_f64 v[26:27], -v[68:69], v[10:11], v[26:27]
	v_fmac_f64_e32 v[54:55], v[66:67], v[10:11]
	;; [unrolled: 4-line block ×4, first 2 shown]
	global_load_dwordx4 v[26:29], v[18:19], off offset:3312
	global_load_dwordx4 v[64:67], v[18:19], off offset:3296
	;; [unrolled: 1-line block ×4, first 2 shown]
	v_add_co_u32_e32 v18, vcc, s16, v18
	v_addc_co_u32_e32 v19, vcc, 0, v19, vcc
	v_add_co_u32_e32 v20, vcc, 16, v20
	v_addc_co_u32_e32 v21, vcc, 0, v21, vcc
	;; [unrolled: 2-line block ×3, first 2 shown]
	v_cmp_ge_i64_e32 vcc, v[20:21], v[46:47]
	s_or_b64 s[14:15], vcc, s[14:15]
	s_waitcnt vmcnt(0)
	v_fmac_f64_e32 v[24:25], v[72:73], v[12:13]
	v_fmac_f64_e32 v[50:51], v[74:75], v[12:13]
	v_fma_f64 v[24:25], -v[74:75], v[14:15], v[24:25]
	v_fmac_f64_e32 v[50:51], v[72:73], v[14:15]
	v_fmac_f64_e32 v[24:25], v[68:69], v[8:9]
	v_fmac_f64_e32 v[50:51], v[70:71], v[8:9]
	v_fma_f64 v[12:13], -v[70:71], v[10:11], v[24:25]
	v_fmac_f64_e32 v[50:51], v[68:69], v[10:11]
	;; [unrolled: 4-line block ×4, first 2 shown]
	s_andn2_b64 exec, exec, s[14:15]
	s_cbranch_execnz .LBB35_23
; %bb.24:
	s_or_b64 exec, exec, s[14:15]
.LBB35_25:
	s_or_b64 exec, exec, s[2:3]
.LBB35_26:
	s_or_b64 exec, exec, s[10:11]
	s_andn2_b64 vcc, exec, s[8:9]
	s_cbranch_vccz .LBB35_28
	s_branch .LBB35_39
.LBB35_27:
                                        ; implicit-def: $vgpr52_vgpr53
                                        ; implicit-def: $vgpr58_vgpr59
                                        ; implicit-def: $vgpr64_vgpr65
                                        ; implicit-def: $vgpr50_vgpr51
                                        ; implicit-def: $vgpr62_vgpr63
                                        ; implicit-def: $vgpr54_vgpr55
                                        ; implicit-def: $vgpr60_vgpr61
                                        ; implicit-def: $vgpr56_vgpr57
.LBB35_28:
	v_pk_mov_b32 v[52:53], 0, 0
	v_pk_mov_b32 v[58:59], v[52:53], v[52:53] op_sel:[0,1]
	v_pk_mov_b32 v[64:65], v[52:53], v[52:53] op_sel:[0,1]
	;; [unrolled: 1-line block ×7, first 2 shown]
	s_and_saveexec_b64 s[2:3], s[0:1]
	s_cbranch_execz .LBB35_38
; %bb.29:
	v_or_b32_e32 v0, 4, v42
	v_mov_b32_e32 v1, s18
	v_subrev_co_u32_e32 v0, vcc, s20, v0
	v_subb_co_u32_e32 v1, vcc, 0, v1, vcc
	v_add_co_u32_e32 v0, vcc, v0, v16
	v_addc_co_u32_e32 v1, vcc, v1, v17, vcc
	v_cmp_gt_i64_e32 vcc, v[0:1], v[46:47]
	v_cndmask_b32_e32 v1, v47, v1, vcc
	v_cndmask_b32_e32 v0, v46, v0, vcc
	v_mov_b32_e32 v4, s18
	v_sub_co_u32_e32 v5, vcc, s20, v42
	v_not_b32_e32 v3, v16
	v_subbrev_co_u32_e32 v4, vcc, 0, v4, vcc
	v_not_b32_e32 v2, v17
	v_add_co_u32_e32 v3, vcc, v5, v3
	v_addc_co_u32_e32 v2, vcc, v4, v2, vcc
	v_add_co_u32_e32 v66, vcc, v3, v0
	v_lshrrev_b32_e32 v0, 2, v66
	v_add_u32_e32 v0, 1, v0
	v_addc_co_u32_e32 v67, vcc, v2, v1, vcc
	v_and_b32_e32 v0, 3, v0
	v_pk_mov_b32 v[56:57], 0, 0
	v_cmp_ne_u32_e32 vcc, 0, v0
	s_mov_b64 s[10:11], 0
	v_pk_mov_b32 v[60:61], v[56:57], v[56:57] op_sel:[0,1]
	v_pk_mov_b32 v[54:55], v[56:57], v[56:57] op_sel:[0,1]
	;; [unrolled: 1-line block ×7, first 2 shown]
	s_and_saveexec_b64 s[8:9], vcc
	s_cbranch_execz .LBB35_33
; %bb.30:
	v_lshlrev_b64 v[2:3], 2, v[44:45]
	v_mov_b32_e32 v1, s13
	v_add_co_u32_e32 v70, vcc, s12, v2
	v_pk_mov_b32 v[52:53], 0, 0
	v_mov_b32_e32 v69, 0
	v_addc_co_u32_e32 v71, vcc, v1, v3, vcc
	v_lshlrev_b32_e32 v68, 2, v0
	s_movk_i32 s14, 0x400
	v_mov_b32_e32 v41, s5
	v_pk_mov_b32 v[58:59], v[52:53], v[52:53] op_sel:[0,1]
	v_pk_mov_b32 v[64:65], v[52:53], v[52:53] op_sel:[0,1]
	v_pk_mov_b32 v[50:51], v[52:53], v[52:53] op_sel:[0,1]
	v_pk_mov_b32 v[62:63], v[52:53], v[52:53] op_sel:[0,1]
	v_pk_mov_b32 v[54:55], v[52:53], v[52:53] op_sel:[0,1]
	v_pk_mov_b32 v[60:61], v[52:53], v[52:53] op_sel:[0,1]
	v_pk_mov_b32 v[56:57], v[52:53], v[52:53] op_sel:[0,1]
.LBB35_31:                              ; =>This Inner Loop Header: Depth=1
	global_load_dword v43, v[70:71], off
	global_load_dwordx4 v[0:3], v[48:49], off offset:48
	global_load_dwordx4 v[4:7], v[48:49], off offset:32
	;; [unrolled: 1-line block ×3, first 2 shown]
	global_load_dwordx4 v[12:15], v[48:49], off
	global_load_dwordx4 v[16:19], v[48:49], off offset:112
	global_load_dwordx4 v[20:23], v[48:49], off offset:96
	;; [unrolled: 1-line block ×12, first 2 shown]
	v_add_co_u32_e32 v48, vcc, s14, v48
	v_addc_co_u32_e32 v49, vcc, 0, v49, vcc
	s_waitcnt vmcnt(16)
	v_subrev_u32_e32 v43, s20, v43
	v_lshlrev_b32_e32 v104, 2, v43
	v_ashrrev_i32_e32 v105, 31, v104
	v_lshlrev_b64 v[104:105], 4, v[104:105]
	v_add_co_u32_e64 v120, s[0:1], s4, v104
	v_addc_co_u32_e64 v121, s[0:1], v41, v105, s[0:1]
	global_load_dwordx4 v[104:107], v[120:121], off
	global_load_dwordx4 v[108:111], v[120:121], off offset:16
	global_load_dwordx4 v[112:115], v[120:121], off offset:32
	;; [unrolled: 1-line block ×3, first 2 shown]
	v_add_co_u32_e64 v44, s[0:1], 4, v44
	v_addc_co_u32_e64 v45, s[0:1], 0, v45, s[0:1]
	v_add_co_u32_e64 v70, s[0:1], 16, v70
	v_addc_co_u32_e64 v71, s[0:1], 0, v71, s[0:1]
	v_add_co_u32_e64 v68, s[0:1], -4, v68
	v_addc_co_u32_e64 v69, s[0:1], -1, v69, s[0:1]
	v_cmp_eq_u64_e32 vcc, 0, v[68:69]
	s_or_b64 s[10:11], vcc, s[10:11]
	s_waitcnt vmcnt(3)
	v_fmac_f64_e32 v[58:59], v[12:13], v[104:105]
	v_fmac_f64_e32 v[52:53], v[14:15], v[104:105]
	v_fmac_f64_e32 v[60:61], v[8:9], v[104:105]
	v_fmac_f64_e32 v[56:57], v[10:11], v[104:105]
	v_fmac_f64_e32 v[62:63], v[4:5], v[104:105]
	v_fmac_f64_e32 v[54:55], v[6:7], v[104:105]
	v_fmac_f64_e32 v[64:65], v[0:1], v[104:105]
	v_fmac_f64_e32 v[50:51], v[2:3], v[104:105]
	v_fma_f64 v[14:15], -v[14:15], v[106:107], v[58:59]
	v_fmac_f64_e32 v[52:53], v[12:13], v[106:107]
	v_fma_f64 v[10:11], -v[10:11], v[106:107], v[60:61]
	v_fmac_f64_e32 v[56:57], v[8:9], v[106:107]
	v_fma_f64 v[6:7], -v[6:7], v[106:107], v[62:63]
	v_fmac_f64_e32 v[54:55], v[4:5], v[106:107]
	v_fma_f64 v[2:3], -v[2:3], v[106:107], v[64:65]
	v_fmac_f64_e32 v[50:51], v[0:1], v[106:107]
	s_waitcnt vmcnt(2)
	v_fmac_f64_e32 v[14:15], v[28:29], v[108:109]
	v_fmac_f64_e32 v[52:53], v[30:31], v[108:109]
	v_fmac_f64_e32 v[10:11], v[24:25], v[108:109]
	v_fmac_f64_e32 v[56:57], v[26:27], v[108:109]
	v_fmac_f64_e32 v[6:7], v[20:21], v[108:109]
	v_fmac_f64_e32 v[54:55], v[22:23], v[108:109]
	v_fmac_f64_e32 v[2:3], v[16:17], v[108:109]
	v_fmac_f64_e32 v[50:51], v[18:19], v[108:109]
	v_fma_f64 v[0:1], -v[30:31], v[110:111], v[14:15]
	v_fmac_f64_e32 v[52:53], v[28:29], v[110:111]
	v_fma_f64 v[4:5], -v[26:27], v[110:111], v[10:11]
	v_fmac_f64_e32 v[56:57], v[24:25], v[110:111]
	v_fma_f64 v[6:7], -v[22:23], v[110:111], v[6:7]
	v_fmac_f64_e32 v[54:55], v[20:21], v[110:111]
	v_fma_f64 v[2:3], -v[18:19], v[110:111], v[2:3]
	v_fmac_f64_e32 v[50:51], v[16:17], v[110:111]
	s_waitcnt vmcnt(1)
	v_fmac_f64_e32 v[0:1], v[84:85], v[112:113]
	v_fmac_f64_e32 v[52:53], v[86:87], v[112:113]
	v_fmac_f64_e32 v[4:5], v[80:81], v[112:113]
	v_fmac_f64_e32 v[56:57], v[82:83], v[112:113]
	v_fmac_f64_e32 v[6:7], v[76:77], v[112:113]
	v_fmac_f64_e32 v[54:55], v[78:79], v[112:113]
	v_fmac_f64_e32 v[2:3], v[72:73], v[112:113]
	v_fmac_f64_e32 v[50:51], v[74:75], v[112:113]
	v_fma_f64 v[0:1], -v[86:87], v[114:115], v[0:1]
	v_fmac_f64_e32 v[52:53], v[84:85], v[114:115]
	v_fma_f64 v[4:5], -v[82:83], v[114:115], v[4:5]
	v_fmac_f64_e32 v[56:57], v[80:81], v[114:115]
	v_fma_f64 v[6:7], -v[78:79], v[114:115], v[6:7]
	v_fmac_f64_e32 v[54:55], v[76:77], v[114:115]
	v_fma_f64 v[2:3], -v[74:75], v[114:115], v[2:3]
	v_fmac_f64_e32 v[50:51], v[72:73], v[114:115]
	s_waitcnt vmcnt(0)
	v_fmac_f64_e32 v[0:1], v[92:93], v[116:117]
	v_fmac_f64_e32 v[52:53], v[94:95], v[116:117]
	v_fmac_f64_e32 v[4:5], v[88:89], v[116:117]
	v_fmac_f64_e32 v[56:57], v[90:91], v[116:117]
	v_fmac_f64_e32 v[6:7], v[96:97], v[116:117]
	v_fmac_f64_e32 v[54:55], v[98:99], v[116:117]
	v_fmac_f64_e32 v[2:3], v[100:101], v[116:117]
	v_fmac_f64_e32 v[50:51], v[102:103], v[116:117]
	v_fma_f64 v[58:59], -v[94:95], v[118:119], v[0:1]
	v_fmac_f64_e32 v[52:53], v[92:93], v[118:119]
	v_fma_f64 v[60:61], -v[90:91], v[118:119], v[4:5]
	v_fmac_f64_e32 v[56:57], v[88:89], v[118:119]
	v_fma_f64 v[62:63], -v[98:99], v[118:119], v[6:7]
	v_fmac_f64_e32 v[54:55], v[96:97], v[118:119]
	v_fma_f64 v[64:65], -v[102:103], v[118:119], v[2:3]
	v_fmac_f64_e32 v[50:51], v[100:101], v[118:119]
	s_andn2_b64 exec, exec, s[10:11]
	s_cbranch_execnz .LBB35_31
; %bb.32:
	s_or_b64 exec, exec, s[10:11]
.LBB35_33:
	s_or_b64 exec, exec, s[8:9]
	v_cmp_lt_u64_e32 vcc, 11, v[66:67]
	s_and_saveexec_b64 s[0:1], vcc
	s_cbranch_execz .LBB35_37
; %bb.34:
	v_lshlrev_b64 v[0:1], 2, v[44:45]
	v_mov_b32_e32 v2, s13
	v_add_co_u32_e32 v0, vcc, s12, v0
	v_addc_co_u32_e32 v1, vcc, v1, v2, vcc
	v_add_co_u32_e32 v8, vcc, 32, v0
	v_addc_co_u32_e32 v9, vcc, 0, v1, vcc
	s_mov_b64 s[8:9], 0
	v_mov_b32_e32 v18, s5
	s_movk_i32 s5, 0x1000
.LBB35_35:                              ; =>This Inner Loop Header: Depth=1
	global_load_dword v0, v[8:9], off offset:-32
	global_load_dwordx4 v[10:13], v[48:49], off offset:48
	global_load_dwordx4 v[14:17], v[48:49], off offset:32
	;; [unrolled: 1-line block ×3, first 2 shown]
	global_load_dwordx4 v[24:27], v[48:49], off
	s_waitcnt vmcnt(4)
	v_subrev_u32_e32 v0, s20, v0
	v_lshlrev_b32_e32 v0, 2, v0
	v_ashrrev_i32_e32 v1, 31, v0
	v_lshlrev_b64 v[0:1], 4, v[0:1]
	v_add_co_u32_e32 v70, vcc, s4, v0
	v_addc_co_u32_e32 v71, vcc, v18, v1, vcc
	global_load_dwordx4 v[0:3], v[70:71], off offset:48
	global_load_dwordx4 v[4:7], v[70:71], off offset:32
	;; [unrolled: 1-line block ×3, first 2 shown]
	global_load_dwordx4 v[66:69], v[70:71], off
	s_waitcnt vmcnt(0)
	v_fmac_f64_e32 v[58:59], v[24:25], v[66:67]
	v_fmac_f64_e32 v[52:53], v[26:27], v[66:67]
	;; [unrolled: 1-line block ×8, first 2 shown]
	v_fma_f64 v[58:59], -v[26:27], v[68:69], v[58:59]
	v_fmac_f64_e32 v[52:53], v[24:25], v[68:69]
	v_fma_f64 v[60:61], -v[22:23], v[68:69], v[60:61]
	v_fmac_f64_e32 v[56:57], v[20:21], v[68:69]
	v_fma_f64 v[62:63], -v[16:17], v[68:69], v[62:63]
	v_fmac_f64_e32 v[54:55], v[14:15], v[68:69]
	v_fma_f64 v[64:65], -v[12:13], v[68:69], v[64:65]
	v_fmac_f64_e32 v[50:51], v[10:11], v[68:69]
	global_load_dwordx4 v[10:13], v[48:49], off offset:112
	global_load_dwordx4 v[14:17], v[48:49], off offset:96
	global_load_dwordx4 v[20:23], v[48:49], off offset:80
	global_load_dwordx4 v[24:27], v[48:49], off offset:64
	s_waitcnt vmcnt(3)
	v_fmac_f64_e32 v[64:65], v[10:11], v[28:29]
	s_waitcnt vmcnt(2)
	v_fmac_f64_e32 v[62:63], v[14:15], v[28:29]
	s_waitcnt vmcnt(1)
	v_fmac_f64_e32 v[60:61], v[20:21], v[28:29]
	s_waitcnt vmcnt(0)
	v_fmac_f64_e32 v[58:59], v[24:25], v[28:29]
	v_fmac_f64_e32 v[52:53], v[26:27], v[28:29]
	v_fmac_f64_e32 v[56:57], v[22:23], v[28:29]
	v_fmac_f64_e32 v[54:55], v[16:17], v[28:29]
	v_fmac_f64_e32 v[50:51], v[12:13], v[28:29]
	v_fma_f64 v[58:59], -v[26:27], v[30:31], v[58:59]
	v_fmac_f64_e32 v[52:53], v[24:25], v[30:31]
	v_fma_f64 v[60:61], -v[22:23], v[30:31], v[60:61]
	v_fmac_f64_e32 v[56:57], v[20:21], v[30:31]
	v_fma_f64 v[62:63], -v[16:17], v[30:31], v[62:63]
	v_fmac_f64_e32 v[54:55], v[14:15], v[30:31]
	v_fma_f64 v[64:65], -v[12:13], v[30:31], v[64:65]
	v_fmac_f64_e32 v[50:51], v[10:11], v[30:31]
	global_load_dwordx4 v[10:13], v[48:49], off offset:176
	global_load_dwordx4 v[14:17], v[48:49], off offset:160
	global_load_dwordx4 v[20:23], v[48:49], off offset:144
	global_load_dwordx4 v[24:27], v[48:49], off offset:128
	s_waitcnt vmcnt(3)
	v_fmac_f64_e32 v[64:65], v[10:11], v[4:5]
	s_waitcnt vmcnt(2)
	v_fmac_f64_e32 v[62:63], v[14:15], v[4:5]
	s_waitcnt vmcnt(1)
	v_fmac_f64_e32 v[60:61], v[20:21], v[4:5]
	s_waitcnt vmcnt(0)
	v_fmac_f64_e32 v[58:59], v[24:25], v[4:5]
	v_fmac_f64_e32 v[52:53], v[26:27], v[4:5]
	v_fmac_f64_e32 v[56:57], v[22:23], v[4:5]
	v_fmac_f64_e32 v[54:55], v[16:17], v[4:5]
	v_fmac_f64_e32 v[50:51], v[12:13], v[4:5]
	;; [unrolled: 24-line block ×3, first 2 shown]
	global_load_dword v0, v[8:9], off offset:-16
	v_fmac_f64_e32 v[52:53], v[20:21], v[2:3]
	v_fma_f64 v[62:63], -v[22:23], v[2:3], v[28:29]
	v_fma_f64 v[64:65], -v[16:17], v[2:3], v[24:25]
	v_fmac_f64_e32 v[56:57], v[14:15], v[2:3]
	v_fma_f64 v[66:67], -v[12:13], v[2:3], v[26:27]
	v_fmac_f64_e32 v[54:55], v[10:11], v[2:3]
	;; [unrolled: 2-line block ×3, first 2 shown]
	s_waitcnt vmcnt(0)
	v_subrev_u32_e32 v0, s20, v0
	v_lshlrev_b32_e32 v20, 2, v0
	v_ashrrev_i32_e32 v21, 31, v20
	v_lshlrev_b64 v[20:21], 4, v[20:21]
	v_add_co_u32_e32 v70, vcc, s4, v20
	v_addc_co_u32_e32 v71, vcc, v18, v21, vcc
	global_load_dwordx4 v[0:3], v[48:49], off offset:1072
	global_load_dwordx4 v[4:7], v[48:49], off offset:1056
	;; [unrolled: 1-line block ×7, first 2 shown]
	global_load_dwordx4 v[58:61], v[70:71], off
	s_waitcnt vmcnt(0)
	v_fmac_f64_e32 v[62:63], v[14:15], v[58:59]
	v_fmac_f64_e32 v[52:53], v[16:17], v[58:59]
	;; [unrolled: 1-line block ×8, first 2 shown]
	v_fma_f64 v[62:63], -v[16:17], v[60:61], v[62:63]
	v_fmac_f64_e32 v[52:53], v[14:15], v[60:61]
	v_fma_f64 v[64:65], -v[12:13], v[60:61], v[64:65]
	v_fmac_f64_e32 v[56:57], v[10:11], v[60:61]
	v_fma_f64 v[66:67], -v[6:7], v[60:61], v[66:67]
	v_fmac_f64_e32 v[54:55], v[4:5], v[60:61]
	v_fma_f64 v[68:69], -v[2:3], v[60:61], v[68:69]
	v_fmac_f64_e32 v[50:51], v[0:1], v[60:61]
	global_load_dwordx4 v[0:3], v[48:49], off offset:1136
	global_load_dwordx4 v[4:7], v[48:49], off offset:1120
	;; [unrolled: 1-line block ×4, first 2 shown]
	s_waitcnt vmcnt(3)
	v_fmac_f64_e32 v[68:69], v[0:1], v[28:29]
	s_waitcnt vmcnt(2)
	v_fmac_f64_e32 v[66:67], v[4:5], v[28:29]
	;; [unrolled: 2-line block ×4, first 2 shown]
	v_fmac_f64_e32 v[52:53], v[16:17], v[28:29]
	v_fmac_f64_e32 v[56:57], v[12:13], v[28:29]
	;; [unrolled: 1-line block ×4, first 2 shown]
	v_fma_f64 v[58:59], -v[16:17], v[30:31], v[62:63]
	v_fmac_f64_e32 v[52:53], v[14:15], v[30:31]
	v_fma_f64 v[60:61], -v[12:13], v[30:31], v[64:65]
	v_fmac_f64_e32 v[56:57], v[10:11], v[30:31]
	;; [unrolled: 2-line block ×4, first 2 shown]
	global_load_dwordx4 v[0:3], v[48:49], off offset:1200
	global_load_dwordx4 v[4:7], v[48:49], off offset:1184
	global_load_dwordx4 v[10:13], v[48:49], off offset:1168
	global_load_dwordx4 v[14:17], v[48:49], off offset:1152
	s_waitcnt vmcnt(3)
	v_fmac_f64_e32 v[64:65], v[0:1], v[24:25]
	s_waitcnt vmcnt(2)
	v_fmac_f64_e32 v[62:63], v[4:5], v[24:25]
	;; [unrolled: 2-line block ×4, first 2 shown]
	v_fmac_f64_e32 v[52:53], v[16:17], v[24:25]
	v_fmac_f64_e32 v[56:57], v[12:13], v[24:25]
	;; [unrolled: 1-line block ×4, first 2 shown]
	v_fma_f64 v[28:29], -v[16:17], v[26:27], v[58:59]
	v_fmac_f64_e32 v[52:53], v[14:15], v[26:27]
	v_fma_f64 v[30:31], -v[12:13], v[26:27], v[60:61]
	v_fmac_f64_e32 v[56:57], v[10:11], v[26:27]
	;; [unrolled: 2-line block ×4, first 2 shown]
	global_load_dwordx4 v[10:13], v[48:49], off offset:1264
	global_load_dwordx4 v[14:17], v[48:49], off offset:1248
	;; [unrolled: 1-line block ×4, first 2 shown]
	s_waitcnt vmcnt(3)
	v_fmac_f64_e32 v[50:51], v[12:13], v[20:21]
	v_fmac_f64_e32 v[60:61], v[10:11], v[20:21]
	;; [unrolled: 1-line block ×3, first 2 shown]
	global_load_dword v10, v[8:9], off
	s_waitcnt vmcnt(1)
	v_fmac_f64_e32 v[28:29], v[24:25], v[20:21]
	v_fma_f64 v[0:1], -v[26:27], v[22:23], v[28:29]
	v_fmac_f64_e32 v[52:53], v[26:27], v[20:21]
	v_fmac_f64_e32 v[30:31], v[4:5], v[20:21]
	;; [unrolled: 1-line block ×6, first 2 shown]
	v_fma_f64 v[2:3], -v[6:7], v[22:23], v[30:31]
	v_fmac_f64_e32 v[56:57], v[4:5], v[22:23]
	v_fma_f64 v[4:5], -v[16:17], v[22:23], v[58:59]
	v_fmac_f64_e32 v[54:55], v[14:15], v[22:23]
	v_fma_f64 v[6:7], -v[12:13], v[22:23], v[60:61]
	s_waitcnt vmcnt(0)
	v_subrev_u32_e32 v10, s20, v10
	v_lshlrev_b32_e32 v28, 2, v10
	v_ashrrev_i32_e32 v29, 31, v28
	v_lshlrev_b64 v[28:29], 4, v[28:29]
	v_add_co_u32_e32 v70, vcc, s4, v28
	v_addc_co_u32_e32 v71, vcc, v18, v29, vcc
	global_load_dwordx4 v[10:13], v[48:49], off offset:2096
	global_load_dwordx4 v[14:17], v[48:49], off offset:2080
	;; [unrolled: 1-line block ×7, first 2 shown]
	global_load_dwordx4 v[66:69], v[70:71], off
	s_waitcnt vmcnt(0)
	v_fmac_f64_e32 v[0:1], v[24:25], v[66:67]
	v_fmac_f64_e32 v[52:53], v[26:27], v[66:67]
	;; [unrolled: 1-line block ×8, first 2 shown]
	v_fma_f64 v[70:71], -v[26:27], v[68:69], v[0:1]
	v_fmac_f64_e32 v[52:53], v[24:25], v[68:69]
	v_fma_f64 v[24:25], -v[22:23], v[68:69], v[2:3]
	v_fmac_f64_e32 v[56:57], v[20:21], v[68:69]
	;; [unrolled: 2-line block ×4, first 2 shown]
	global_load_dwordx4 v[0:3], v[48:49], off offset:2160
	global_load_dwordx4 v[4:7], v[48:49], off offset:2144
	;; [unrolled: 1-line block ×4, first 2 shown]
	s_waitcnt vmcnt(3)
	v_fmac_f64_e32 v[22:23], v[0:1], v[62:63]
	s_waitcnt vmcnt(2)
	v_fmac_f64_e32 v[20:21], v[4:5], v[62:63]
	;; [unrolled: 2-line block ×4, first 2 shown]
	v_fmac_f64_e32 v[52:53], v[16:17], v[62:63]
	v_fmac_f64_e32 v[56:57], v[12:13], v[62:63]
	;; [unrolled: 1-line block ×4, first 2 shown]
	v_fma_f64 v[26:27], -v[16:17], v[64:65], v[70:71]
	v_fmac_f64_e32 v[52:53], v[14:15], v[64:65]
	v_fma_f64 v[24:25], -v[12:13], v[64:65], v[24:25]
	v_fmac_f64_e32 v[56:57], v[10:11], v[64:65]
	;; [unrolled: 2-line block ×4, first 2 shown]
	global_load_dwordx4 v[0:3], v[48:49], off offset:2224
	global_load_dwordx4 v[4:7], v[48:49], off offset:2208
	;; [unrolled: 1-line block ×4, first 2 shown]
	s_waitcnt vmcnt(3)
	v_fmac_f64_e32 v[22:23], v[0:1], v[58:59]
	s_waitcnt vmcnt(2)
	v_fmac_f64_e32 v[20:21], v[4:5], v[58:59]
	v_fmac_f64_e32 v[54:55], v[6:7], v[58:59]
	s_waitcnt vmcnt(0)
	v_fmac_f64_e32 v[26:27], v[14:15], v[58:59]
	v_fmac_f64_e32 v[52:53], v[16:17], v[58:59]
	v_fmac_f64_e32 v[50:51], v[2:3], v[58:59]
	v_fma_f64 v[26:27], -v[16:17], v[60:61], v[26:27]
	v_fmac_f64_e32 v[52:53], v[14:15], v[60:61]
	v_fma_f64 v[62:63], -v[6:7], v[60:61], v[20:21]
	v_fmac_f64_e32 v[54:55], v[4:5], v[60:61]
	;; [unrolled: 2-line block ×3, first 2 shown]
	global_load_dwordx4 v[0:3], v[48:49], off offset:2288
	global_load_dwordx4 v[4:7], v[48:49], off offset:2272
	;; [unrolled: 1-line block ×4, first 2 shown]
	v_fmac_f64_e32 v[24:25], v[10:11], v[58:59]
	v_fmac_f64_e32 v[56:57], v[12:13], v[58:59]
	v_fma_f64 v[24:25], -v[12:13], v[60:61], v[24:25]
	v_fmac_f64_e32 v[56:57], v[10:11], v[60:61]
	s_waitcnt vmcnt(3)
	v_fmac_f64_e32 v[50:51], v[2:3], v[28:29]
	v_fmac_f64_e32 v[64:65], v[0:1], v[28:29]
	;; [unrolled: 1-line block ×3, first 2 shown]
	global_load_dword v0, v[8:9], off offset:16
	s_waitcnt vmcnt(1)
	v_fmac_f64_e32 v[26:27], v[20:21], v[28:29]
	v_fmac_f64_e32 v[52:53], v[22:23], v[28:29]
	;; [unrolled: 1-line block ×6, first 2 shown]
	v_fma_f64 v[10:11], -v[22:23], v[30:31], v[26:27]
	v_fmac_f64_e32 v[52:53], v[20:21], v[30:31]
	v_fma_f64 v[12:13], -v[16:17], v[30:31], v[24:25]
	v_fmac_f64_e32 v[56:57], v[14:15], v[30:31]
	v_fma_f64 v[14:15], -v[6:7], v[30:31], v[62:63]
	v_fmac_f64_e32 v[54:55], v[4:5], v[30:31]
	v_fma_f64 v[16:17], -v[2:3], v[30:31], v[64:65]
	global_load_dwordx4 v[20:23], v[48:49], off offset:3120
	global_load_dwordx4 v[24:27], v[48:49], off offset:3104
	;; [unrolled: 1-line block ×4, first 2 shown]
	s_waitcnt vmcnt(4)
	v_subrev_u32_e32 v0, s20, v0
	v_lshlrev_b32_e32 v0, 2, v0
	v_ashrrev_i32_e32 v1, 31, v0
	v_lshlrev_b64 v[0:1], 4, v[0:1]
	v_add_co_u32_e32 v70, vcc, s4, v0
	v_addc_co_u32_e32 v71, vcc, v18, v1, vcc
	global_load_dwordx4 v[0:3], v[70:71], off offset:48
	global_load_dwordx4 v[4:7], v[70:71], off offset:32
	;; [unrolled: 1-line block ×3, first 2 shown]
	global_load_dwordx4 v[66:69], v[70:71], off
	s_waitcnt vmcnt(0)
	v_fmac_f64_e32 v[10:11], v[58:59], v[66:67]
	v_fmac_f64_e32 v[52:53], v[60:61], v[66:67]
	;; [unrolled: 1-line block ×8, first 2 shown]
	v_fma_f64 v[70:71], -v[60:61], v[68:69], v[10:11]
	v_fmac_f64_e32 v[52:53], v[58:59], v[68:69]
	v_fma_f64 v[58:59], -v[30:31], v[68:69], v[12:13]
	v_fmac_f64_e32 v[56:57], v[28:29], v[68:69]
	;; [unrolled: 2-line block ×4, first 2 shown]
	global_load_dwordx4 v[10:13], v[48:49], off offset:3184
	global_load_dwordx4 v[14:17], v[48:49], off offset:3168
	;; [unrolled: 1-line block ×4, first 2 shown]
	s_waitcnt vmcnt(3)
	v_fmac_f64_e32 v[30:31], v[10:11], v[62:63]
	s_waitcnt vmcnt(2)
	v_fmac_f64_e32 v[28:29], v[14:15], v[62:63]
	;; [unrolled: 2-line block ×4, first 2 shown]
	v_fmac_f64_e32 v[52:53], v[26:27], v[62:63]
	v_fmac_f64_e32 v[56:57], v[22:23], v[62:63]
	;; [unrolled: 1-line block ×4, first 2 shown]
	v_fma_f64 v[60:61], -v[26:27], v[64:65], v[70:71]
	v_fmac_f64_e32 v[52:53], v[24:25], v[64:65]
	v_fma_f64 v[58:59], -v[22:23], v[64:65], v[58:59]
	v_fmac_f64_e32 v[56:57], v[20:21], v[64:65]
	v_fma_f64 v[28:29], -v[16:17], v[64:65], v[28:29]
	v_fmac_f64_e32 v[54:55], v[14:15], v[64:65]
	v_fma_f64 v[30:31], -v[12:13], v[64:65], v[30:31]
	v_fmac_f64_e32 v[50:51], v[10:11], v[64:65]
	global_load_dwordx4 v[10:13], v[48:49], off offset:3248
	global_load_dwordx4 v[14:17], v[48:49], off offset:3232
	;; [unrolled: 1-line block ×4, first 2 shown]
	s_waitcnt vmcnt(3)
	v_fmac_f64_e32 v[30:31], v[10:11], v[4:5]
	s_waitcnt vmcnt(2)
	v_fmac_f64_e32 v[28:29], v[14:15], v[4:5]
	;; [unrolled: 2-line block ×4, first 2 shown]
	v_fmac_f64_e32 v[52:53], v[26:27], v[4:5]
	v_fmac_f64_e32 v[56:57], v[22:23], v[4:5]
	;; [unrolled: 1-line block ×4, first 2 shown]
	v_fma_f64 v[60:61], -v[26:27], v[6:7], v[60:61]
	v_fmac_f64_e32 v[52:53], v[24:25], v[6:7]
	v_fma_f64 v[24:25], -v[22:23], v[6:7], v[58:59]
	v_fmac_f64_e32 v[56:57], v[20:21], v[6:7]
	;; [unrolled: 2-line block ×4, first 2 shown]
	global_load_dwordx4 v[4:7], v[48:49], off offset:3312
	global_load_dwordx4 v[10:13], v[48:49], off offset:3296
	;; [unrolled: 1-line block ×4, first 2 shown]
	v_add_co_u32_e32 v48, vcc, s5, v48
	v_addc_co_u32_e32 v49, vcc, 0, v49, vcc
	v_add_co_u32_e32 v44, vcc, 16, v44
	v_addc_co_u32_e32 v45, vcc, 0, v45, vcc
	;; [unrolled: 2-line block ×3, first 2 shown]
	v_cmp_ge_i64_e32 vcc, v[44:45], v[46:47]
	s_or_b64 s[8:9], vcc, s[8:9]
	s_waitcnt vmcnt(3)
	v_fmac_f64_e32 v[28:29], v[4:5], v[0:1]
	s_waitcnt vmcnt(2)
	v_fmac_f64_e32 v[26:27], v[10:11], v[0:1]
	;; [unrolled: 2-line block ×4, first 2 shown]
	v_fmac_f64_e32 v[52:53], v[22:23], v[0:1]
	v_fmac_f64_e32 v[56:57], v[16:17], v[0:1]
	;; [unrolled: 1-line block ×4, first 2 shown]
	v_fma_f64 v[58:59], -v[22:23], v[2:3], v[60:61]
	v_fmac_f64_e32 v[52:53], v[20:21], v[2:3]
	v_fma_f64 v[60:61], -v[16:17], v[2:3], v[24:25]
	v_fmac_f64_e32 v[56:57], v[14:15], v[2:3]
	;; [unrolled: 2-line block ×4, first 2 shown]
	s_andn2_b64 exec, exec, s[8:9]
	s_cbranch_execnz .LBB35_35
; %bb.36:
	s_or_b64 exec, exec, s[8:9]
.LBB35_37:
	s_or_b64 exec, exec, s[0:1]
.LBB35_38:
	s_or_b64 exec, exec, s[2:3]
.LBB35_39:
	v_mov_b32_dpp v0, v58 row_shr:1 row_mask:0xf bank_mask:0xf
	v_mov_b32_dpp v1, v59 row_shr:1 row_mask:0xf bank_mask:0xf
	;; [unrolled: 1-line block ×16, first 2 shown]
	v_add_f64 v[0:1], v[58:59], v[0:1]
	v_add_f64 v[4:5], v[52:53], v[4:5]
	;; [unrolled: 1-line block ×8, first 2 shown]
	v_mov_b32_dpp v2, v0 row_shr:2 row_mask:0xf bank_mask:0xf
	v_mov_b32_dpp v3, v1 row_shr:2 row_mask:0xf bank_mask:0xf
	;; [unrolled: 1-line block ×16, first 2 shown]
	v_cmp_eq_u32_e32 vcc, 3, v42
	s_and_b64 exec, exec, vcc
	s_cbranch_execz .LBB35_12
; %bb.40:
	s_load_dwordx2 s[2:3], s[6:7], 0x60
	v_add_f64 v[42:43], v[0:1], v[2:3]
	v_add_f64 v[0:1], v[4:5], v[6:7]
	;; [unrolled: 1-line block ×8, first 2 shown]
	v_cmp_eq_f64_e32 vcc, 0, v[32:33]
	v_cmp_eq_f64_e64 s[0:1], 0, v[34:35]
	v_mul_f64 v[12:13], v[0:1], -v[38:39]
	v_mul_f64 v[14:15], v[36:37], v[0:1]
	v_mul_f64 v[8:9], v[2:3], -v[38:39]
	v_mul_f64 v[10:11], v[36:37], v[2:3]
	;; [unrolled: 2-line block ×4, first 2 shown]
	s_and_b64 s[0:1], vcc, s[0:1]
	v_fmac_f64_e32 v[12:13], v[36:37], v[42:43]
	v_fmac_f64_e32 v[14:15], v[38:39], v[42:43]
	v_lshlrev_b32_e32 v16, 2, v40
	v_fmac_f64_e32 v[8:9], v[36:37], v[44:45]
	v_fmac_f64_e32 v[10:11], v[38:39], v[44:45]
	;; [unrolled: 1-line block ×6, first 2 shown]
	s_and_saveexec_b64 s[4:5], s[0:1]
	s_xor_b64 s[0:1], exec, s[4:5]
	s_cbranch_execz .LBB35_42
; %bb.41:
	v_ashrrev_i32_e32 v17, 31, v16
	v_lshlrev_b64 v[16:17], 4, v[16:17]
	s_waitcnt lgkmcnt(0)
	v_mov_b32_e32 v18, s3
	v_add_co_u32_e32 v16, vcc, s2, v16
	v_addc_co_u32_e32 v17, vcc, v18, v17, vcc
	global_store_dwordx4 v[16:17], v[12:15], off
	global_store_dwordx4 v[16:17], v[8:11], off offset:16
	global_store_dwordx4 v[16:17], v[4:7], off offset:32
	;; [unrolled: 1-line block ×3, first 2 shown]
                                        ; implicit-def: $vgpr32_vgpr33
                                        ; implicit-def: $vgpr34_vgpr35
                                        ; implicit-def: $vgpr12_vgpr13
                                        ; implicit-def: $vgpr16
                                        ; implicit-def: $vgpr8_vgpr9
                                        ; implicit-def: $vgpr4_vgpr5
                                        ; implicit-def: $vgpr0_vgpr1
.LBB35_42:
	s_andn2_saveexec_b64 s[0:1], s[0:1]
	s_cbranch_execz .LBB35_12
; %bb.43:
	v_ashrrev_i32_e32 v17, 31, v16
	v_lshlrev_b64 v[16:17], 4, v[16:17]
	s_waitcnt lgkmcnt(0)
	v_mov_b32_e32 v18, s3
	v_add_co_u32_e32 v36, vcc, s2, v16
	v_addc_co_u32_e32 v37, vcc, v18, v17, vcc
	global_load_dwordx4 v[16:19], v[36:37], off
	global_load_dwordx4 v[20:23], v[36:37], off offset:16
	global_load_dwordx4 v[24:27], v[36:37], off offset:32
	;; [unrolled: 1-line block ×3, first 2 shown]
	s_waitcnt vmcnt(3)
	v_fmac_f64_e32 v[12:13], v[32:33], v[16:17]
	v_fmac_f64_e32 v[14:15], v[34:35], v[16:17]
	s_waitcnt vmcnt(2)
	v_fmac_f64_e32 v[8:9], v[32:33], v[20:21]
	v_fmac_f64_e32 v[10:11], v[34:35], v[20:21]
	;; [unrolled: 3-line block ×4, first 2 shown]
	v_fma_f64 v[12:13], -v[34:35], v[18:19], v[12:13]
	v_fmac_f64_e32 v[14:15], v[32:33], v[18:19]
	v_fma_f64 v[8:9], -v[34:35], v[22:23], v[8:9]
	v_fmac_f64_e32 v[10:11], v[32:33], v[22:23]
	;; [unrolled: 2-line block ×4, first 2 shown]
	global_store_dwordx4 v[36:37], v[12:15], off
	global_store_dwordx4 v[36:37], v[8:11], off offset:16
	global_store_dwordx4 v[36:37], v[4:7], off offset:32
	;; [unrolled: 1-line block ×3, first 2 shown]
	s_endpgm
	.section	.rodata,"a",@progbits
	.p2align	6, 0x0
	.amdhsa_kernel _ZN9rocsparseL18bsrxmvn_4x4_kernelILj128ELj4E21rocsparse_complex_numIdEliS2_S2_S2_EEvT3_20rocsparse_direction_NS_24const_host_device_scalarIT1_EES3_PKS3_PKT2_SC_S9_PKT4_PKT5_S7_PT6_21rocsparse_index_base_b
		.amdhsa_group_segment_fixed_size 2048
		.amdhsa_private_segment_fixed_size 0
		.amdhsa_kernarg_size 112
		.amdhsa_user_sgpr_count 8
		.amdhsa_user_sgpr_private_segment_buffer 1
		.amdhsa_user_sgpr_dispatch_ptr 1
		.amdhsa_user_sgpr_queue_ptr 0
		.amdhsa_user_sgpr_kernarg_segment_ptr 1
		.amdhsa_user_sgpr_dispatch_id 0
		.amdhsa_user_sgpr_flat_scratch_init 0
		.amdhsa_user_sgpr_kernarg_preload_length 0
		.amdhsa_user_sgpr_kernarg_preload_offset 0
		.amdhsa_user_sgpr_private_segment_size 0
		.amdhsa_uses_dynamic_stack 0
		.amdhsa_system_sgpr_private_segment_wavefront_offset 0
		.amdhsa_system_sgpr_workgroup_id_x 1
		.amdhsa_system_sgpr_workgroup_id_y 0
		.amdhsa_system_sgpr_workgroup_id_z 0
		.amdhsa_system_sgpr_workgroup_info 0
		.amdhsa_system_vgpr_workitem_id 2
		.amdhsa_next_free_vgpr 130
		.amdhsa_next_free_sgpr 22
		.amdhsa_accum_offset 132
		.amdhsa_reserve_vcc 1
		.amdhsa_reserve_flat_scratch 0
		.amdhsa_float_round_mode_32 0
		.amdhsa_float_round_mode_16_64 0
		.amdhsa_float_denorm_mode_32 3
		.amdhsa_float_denorm_mode_16_64 3
		.amdhsa_dx10_clamp 1
		.amdhsa_ieee_mode 1
		.amdhsa_fp16_overflow 0
		.amdhsa_tg_split 0
		.amdhsa_exception_fp_ieee_invalid_op 0
		.amdhsa_exception_fp_denorm_src 0
		.amdhsa_exception_fp_ieee_div_zero 0
		.amdhsa_exception_fp_ieee_overflow 0
		.amdhsa_exception_fp_ieee_underflow 0
		.amdhsa_exception_fp_ieee_inexact 0
		.amdhsa_exception_int_div_zero 0
	.end_amdhsa_kernel
	.section	.text._ZN9rocsparseL18bsrxmvn_4x4_kernelILj128ELj4E21rocsparse_complex_numIdEliS2_S2_S2_EEvT3_20rocsparse_direction_NS_24const_host_device_scalarIT1_EES3_PKS3_PKT2_SC_S9_PKT4_PKT5_S7_PT6_21rocsparse_index_base_b,"axG",@progbits,_ZN9rocsparseL18bsrxmvn_4x4_kernelILj128ELj4E21rocsparse_complex_numIdEliS2_S2_S2_EEvT3_20rocsparse_direction_NS_24const_host_device_scalarIT1_EES3_PKS3_PKT2_SC_S9_PKT4_PKT5_S7_PT6_21rocsparse_index_base_b,comdat
.Lfunc_end35:
	.size	_ZN9rocsparseL18bsrxmvn_4x4_kernelILj128ELj4E21rocsparse_complex_numIdEliS2_S2_S2_EEvT3_20rocsparse_direction_NS_24const_host_device_scalarIT1_EES3_PKS3_PKT2_SC_S9_PKT4_PKT5_S7_PT6_21rocsparse_index_base_b, .Lfunc_end35-_ZN9rocsparseL18bsrxmvn_4x4_kernelILj128ELj4E21rocsparse_complex_numIdEliS2_S2_S2_EEvT3_20rocsparse_direction_NS_24const_host_device_scalarIT1_EES3_PKS3_PKT2_SC_S9_PKT4_PKT5_S7_PT6_21rocsparse_index_base_b
                                        ; -- End function
	.section	.AMDGPU.csdata,"",@progbits
; Kernel info:
; codeLenInByte = 8040
; NumSgprs: 26
; NumVgprs: 130
; NumAgprs: 0
; TotalNumVgprs: 130
; ScratchSize: 0
; MemoryBound: 1
; FloatMode: 240
; IeeeMode: 1
; LDSByteSize: 2048 bytes/workgroup (compile time only)
; SGPRBlocks: 3
; VGPRBlocks: 16
; NumSGPRsForWavesPerEU: 26
; NumVGPRsForWavesPerEU: 130
; AccumOffset: 132
; Occupancy: 3
; WaveLimiterHint : 1
; COMPUTE_PGM_RSRC2:SCRATCH_EN: 0
; COMPUTE_PGM_RSRC2:USER_SGPR: 8
; COMPUTE_PGM_RSRC2:TRAP_HANDLER: 0
; COMPUTE_PGM_RSRC2:TGID_X_EN: 1
; COMPUTE_PGM_RSRC2:TGID_Y_EN: 0
; COMPUTE_PGM_RSRC2:TGID_Z_EN: 0
; COMPUTE_PGM_RSRC2:TIDIG_COMP_CNT: 2
; COMPUTE_PGM_RSRC3_GFX90A:ACCUM_OFFSET: 32
; COMPUTE_PGM_RSRC3_GFX90A:TG_SPLIT: 0
	.section	.text._ZN9rocsparseL18bsrxmvn_4x4_kernelILj128ELj8E21rocsparse_complex_numIdEliS2_S2_S2_EEvT3_20rocsparse_direction_NS_24const_host_device_scalarIT1_EES3_PKS3_PKT2_SC_S9_PKT4_PKT5_S7_PT6_21rocsparse_index_base_b,"axG",@progbits,_ZN9rocsparseL18bsrxmvn_4x4_kernelILj128ELj8E21rocsparse_complex_numIdEliS2_S2_S2_EEvT3_20rocsparse_direction_NS_24const_host_device_scalarIT1_EES3_PKS3_PKT2_SC_S9_PKT4_PKT5_S7_PT6_21rocsparse_index_base_b,comdat
	.globl	_ZN9rocsparseL18bsrxmvn_4x4_kernelILj128ELj8E21rocsparse_complex_numIdEliS2_S2_S2_EEvT3_20rocsparse_direction_NS_24const_host_device_scalarIT1_EES3_PKS3_PKT2_SC_S9_PKT4_PKT5_S7_PT6_21rocsparse_index_base_b ; -- Begin function _ZN9rocsparseL18bsrxmvn_4x4_kernelILj128ELj8E21rocsparse_complex_numIdEliS2_S2_S2_EEvT3_20rocsparse_direction_NS_24const_host_device_scalarIT1_EES3_PKS3_PKT2_SC_S9_PKT4_PKT5_S7_PT6_21rocsparse_index_base_b
	.p2align	8
	.type	_ZN9rocsparseL18bsrxmvn_4x4_kernelILj128ELj8E21rocsparse_complex_numIdEliS2_S2_S2_EEvT3_20rocsparse_direction_NS_24const_host_device_scalarIT1_EES3_PKS3_PKT2_SC_S9_PKT4_PKT5_S7_PT6_21rocsparse_index_base_b,@function
_ZN9rocsparseL18bsrxmvn_4x4_kernelILj128ELj8E21rocsparse_complex_numIdEliS2_S2_S2_EEvT3_20rocsparse_direction_NS_24const_host_device_scalarIT1_EES3_PKS3_PKT2_SC_S9_PKT4_PKT5_S7_PT6_21rocsparse_index_base_b: ; @_ZN9rocsparseL18bsrxmvn_4x4_kernelILj128ELj8E21rocsparse_complex_numIdEliS2_S2_S2_EEvT3_20rocsparse_direction_NS_24const_host_device_scalarIT1_EES3_PKS3_PKT2_SC_S9_PKT4_PKT5_S7_PT6_21rocsparse_index_base_b
; %bb.0:
	s_load_dwordx2 s[20:21], s[6:7], 0x68
	s_load_dwordx4 s[12:15], s[6:7], 0x8
	s_load_dwordx2 s[10:11], s[4:5], 0x4
	s_load_dwordx4 s[16:19], s[6:7], 0x50
	s_mov_b64 s[2:3], src_shared_base
	v_bfe_u32 v2, v0, 10, 10
	s_waitcnt lgkmcnt(0)
	s_bitcmp1_b32 s21, 0
	s_cselect_b64 s[0:1], -1, 0
	s_and_b64 vcc, s[0:1], exec
	s_cselect_b32 s2, s3, s13
	s_lshr_b32 s4, s10, 16
	v_and_b32_e32 v1, 0x3ff, v0
	s_mul_i32 s4, s4, s11
	v_mul_u32_u24_e32 v2, s11, v2
	v_mad_u32_u24 v2, s4, v1, v2
	v_bfe_u32 v0, v0, 20, 10
	v_add_lshl_u32 v0, v2, v0, 3
	v_mov_b32_e32 v6, s12
	v_add_u32_e32 v7, 0x400, v0
	v_pk_mov_b32 v[2:3], s[12:13], s[12:13] op_sel:[0,1]
	v_pk_mov_b32 v[4:5], s[16:17], s[16:17] op_sel:[0,1]
	ds_write2st64_b64 v0, v[4:5], v[2:3] offset1:2
	v_cndmask_b32_e64 v2, v6, v7, s[0:1]
	v_mov_b32_e32 v3, s2
	flat_load_dwordx2 v[36:37], v[2:3]
	s_xor_b64 s[4:5], s[0:1], -1
	v_pk_mov_b32 v[38:39], s[14:15], s[14:15] op_sel:[0,1]
	s_cbranch_vccnz .LBB36_2
; %bb.1:
	v_pk_mov_b32 v[2:3], s[12:13], s[12:13] op_sel:[0,1]
	flat_load_dwordx2 v[38:39], v[2:3] offset:8
.LBB36_2:
	s_and_b64 s[10:11], s[0:1], exec
	s_cselect_b32 s2, s3, s17
	v_mov_b32_e32 v2, s16
	v_cndmask_b32_e64 v2, v2, v0, s[0:1]
	v_mov_b32_e32 v3, s2
	flat_load_dwordx2 v[32:33], v[2:3]
	s_andn2_b64 vcc, exec, s[4:5]
	v_pk_mov_b32 v[34:35], s[18:19], s[18:19] op_sel:[0,1]
	s_cbranch_vccnz .LBB36_4
; %bb.3:
	v_pk_mov_b32 v[2:3], s[16:17], s[16:17] op_sel:[0,1]
	flat_load_dwordx2 v[34:35], v[2:3] offset:8
.LBB36_4:
	s_waitcnt vmcnt(0) lgkmcnt(0)
	v_cmp_eq_f64_e32 vcc, 0, v[36:37]
	v_cmp_eq_f64_e64 s[0:1], 0, v[38:39]
	s_and_b64 s[4:5], vcc, s[0:1]
	s_mov_b64 s[0:1], -1
	s_and_saveexec_b64 s[2:3], s[4:5]
; %bb.5:
	v_cmp_neq_f64_e32 vcc, 1.0, v[32:33]
	v_cmp_neq_f64_e64 s[0:1], 0, v[34:35]
	s_or_b64 s[0:1], vcc, s[0:1]
	s_orn2_b64 s[0:1], s[0:1], exec
; %bb.6:
	s_or_b64 exec, exec, s[2:3]
	s_and_saveexec_b64 s[2:3], s[0:1]
	s_cbranch_execz .LBB36_12
; %bb.7:
	s_load_dwordx2 s[4:5], s[6:7], 0x20
	s_load_dwordx2 s[0:1], s[6:7], 0x0
	v_lshrrev_b32_e32 v0, 3, v1
	v_lshl_or_b32 v40, s8, 4, v0
	s_mov_b64 s[2:3], 0
	s_waitcnt lgkmcnt(0)
	s_cmp_lg_u64 s[4:5], 0
	s_cbranch_scc0 .LBB36_13
; %bb.8:
	s_load_dword s8, s[6:7], 0x18
                                        ; implicit-def: $vgpr0
	s_waitcnt lgkmcnt(0)
	v_cmp_gt_i32_e32 vcc, s8, v40
	s_and_saveexec_b64 s[8:9], vcc
	s_xor_b64 s[8:9], exec, s[8:9]
	s_cbranch_execz .LBB36_10
; %bb.9:
	v_ashrrev_i32_e32 v41, 31, v40
	v_lshlrev_b64 v[2:3], 2, v[40:41]
	v_mov_b32_e32 v0, s5
	v_add_co_u32_e32 v2, vcc, s4, v2
	v_addc_co_u32_e32 v3, vcc, v0, v3, vcc
	global_load_dword v0, v[2:3], off
	s_mov_b64 s[2:3], exec
	s_waitcnt vmcnt(0)
	v_subrev_u32_e32 v0, s20, v0
.LBB36_10:
	s_or_b64 exec, exec, s[8:9]
	s_branch .LBB36_14
.LBB36_11:
	v_cmp_gt_i32_e32 vcc, s0, v40
	s_andn2_b64 s[2:3], s[2:3], exec
	s_and_b64 s[4:5], vcc, exec
	s_or_b64 s[2:3], s[2:3], s[4:5]
	s_and_b64 exec, exec, s[2:3]
	s_cbranch_execnz .LBB36_15
.LBB36_12:
	s_endpgm
.LBB36_13:
                                        ; implicit-def: $vgpr0
	s_cbranch_execnz .LBB36_11
.LBB36_14:
	v_mov_b32_e32 v40, v0
	s_and_b64 exec, exec, s[2:3]
	s_cbranch_execz .LBB36_12
.LBB36_15:
	s_load_dwordx8 s[8:15], s[6:7], 0x28
	v_ashrrev_i32_e32 v41, 31, v40
	v_lshlrev_b64 v[2:3], 3, v[40:41]
	v_and_b32_e32 v42, 7, v1
	s_load_dwordx2 s[4:5], s[6:7], 0x48
	s_waitcnt lgkmcnt(0)
	v_mov_b32_e32 v0, s9
	v_add_co_u32_e32 v4, vcc, s8, v2
	v_addc_co_u32_e32 v5, vcc, v0, v3, vcc
	v_add_co_u32_e32 v0, vcc, 8, v4
	global_load_dwordx2 v[16:17], v[4:5], off
	v_addc_co_u32_e32 v4, vcc, 0, v5, vcc
	v_mov_b32_e32 v5, s11
	v_add_co_u32_e32 v2, vcc, s10, v2
	s_cmp_eq_u64 s[10:11], 0
	v_addc_co_u32_e32 v3, vcc, v5, v3, vcc
	s_cselect_b64 vcc, -1, 0
	v_cndmask_b32_e32 v3, v3, v4, vcc
	v_cndmask_b32_e32 v2, v2, v0, vcc
	global_load_dwordx2 v[2:3], v[2:3], off
	v_mov_b32_e32 v4, s15
	s_mov_b32 s18, 0
	s_cmp_eq_u32 s1, 1
	s_waitcnt vmcnt(1)
	v_subrev_co_u32_e32 v0, vcc, s20, v16
	v_subbrev_co_u32_e32 v1, vcc, 0, v17, vcc
	v_add_co_u32_e32 v44, vcc, v0, v42
	v_addc_co_u32_e32 v45, vcc, 0, v1, vcc
	v_lshlrev_b64 v[0:1], 8, v[44:45]
	s_waitcnt vmcnt(0)
	v_subrev_co_u32_e32 v46, vcc, s20, v2
	v_subbrev_co_u32_e32 v47, vcc, 0, v3, vcc
	v_add_co_u32_e32 v48, vcc, s14, v0
	v_addc_co_u32_e32 v49, vcc, v4, v1, vcc
	v_cmp_lt_i64_e64 s[0:1], v[44:45], v[46:47]
	s_cbranch_scc1 .LBB36_27
; %bb.16:
	v_pk_mov_b32 v[56:57], 0, 0
	s_mov_b64 s[8:9], 0
	v_pk_mov_b32 v[64:65], v[56:57], v[56:57] op_sel:[0,1]
	v_pk_mov_b32 v[58:59], v[56:57], v[56:57] op_sel:[0,1]
	;; [unrolled: 1-line block ×7, first 2 shown]
	s_and_saveexec_b64 s[10:11], s[0:1]
	s_cbranch_execz .LBB36_26
; %bb.17:
	v_or_b32_e32 v0, 8, v42
	v_mov_b32_e32 v1, s18
	v_subrev_co_u32_e32 v0, vcc, s20, v0
	v_subb_co_u32_e32 v1, vcc, 0, v1, vcc
	v_add_co_u32_e32 v0, vcc, v0, v16
	v_addc_co_u32_e32 v1, vcc, v1, v17, vcc
	v_cmp_gt_i64_e32 vcc, v[0:1], v[46:47]
	v_cndmask_b32_e32 v1, v47, v1, vcc
	v_cndmask_b32_e32 v0, v46, v0, vcc
	v_mov_b32_e32 v4, s18
	v_sub_co_u32_e32 v5, vcc, s20, v42
	v_not_b32_e32 v3, v16
	v_subbrev_co_u32_e32 v4, vcc, 0, v4, vcc
	v_not_b32_e32 v2, v17
	v_add_co_u32_e32 v3, vcc, v5, v3
	v_addc_co_u32_e32 v2, vcc, v4, v2, vcc
	v_add_co_u32_e32 v22, vcc, v3, v0
	v_lshrrev_b32_e32 v0, 3, v22
	v_add_u32_e32 v0, 1, v0
	v_addc_co_u32_e32 v23, vcc, v2, v1, vcc
	v_and_b32_e32 v0, 3, v0
	v_pk_mov_b32 v[54:55], 0, 0
	v_cmp_ne_u32_e32 vcc, 0, v0
	s_mov_b64 s[16:17], 0
	v_pk_mov_b32 v[62:63], v[54:55], v[54:55] op_sel:[0,1]
	v_pk_mov_b32 v[52:53], v[54:55], v[54:55] op_sel:[0,1]
	;; [unrolled: 1-line block ×9, first 2 shown]
	s_and_saveexec_b64 s[14:15], vcc
	s_cbranch_execz .LBB36_21
; %bb.18:
	v_lshlrev_b64 v[2:3], 2, v[44:45]
	v_mov_b32_e32 v1, s13
	v_add_co_u32_e32 v26, vcc, s12, v2
	v_pk_mov_b32 v[56:57], 0, 0
	v_mov_b32_e32 v25, 0
	v_addc_co_u32_e32 v27, vcc, v1, v3, vcc
	v_lshlrev_b32_e32 v24, 2, v0
	s_movk_i32 s19, 0x800
	v_mov_b32_e32 v28, s5
	v_pk_mov_b32 v[20:21], v[44:45], v[44:45] op_sel:[0,1]
	v_pk_mov_b32 v[18:19], v[48:49], v[48:49] op_sel:[0,1]
	;; [unrolled: 1-line block ×9, first 2 shown]
.LBB36_19:                              ; =>This Inner Loop Header: Depth=1
	global_load_dword v29, v[26:27], off
	global_load_dwordx4 v[0:3], v[18:19], off offset:16
	global_load_dwordx4 v[4:7], v[18:19], off
	global_load_dwordx4 v[8:11], v[18:19], off offset:80
	global_load_dwordx4 v[12:15], v[18:19], off offset:64
	;; [unrolled: 1-line block ×14, first 2 shown]
	v_add_co_u32_e32 v18, vcc, s19, v18
	v_addc_co_u32_e32 v19, vcc, 0, v19, vcc
	s_waitcnt vmcnt(16)
	v_subrev_u32_e32 v29, s20, v29
	v_lshlrev_b32_e32 v30, 2, v29
	v_ashrrev_i32_e32 v31, 31, v30
	v_lshlrev_b64 v[30:31], 4, v[30:31]
	v_add_co_u32_e64 v30, s[2:3], s4, v30
	v_addc_co_u32_e64 v31, s[2:3], v28, v31, s[2:3]
	global_load_dwordx4 v[114:117], v[30:31], off
	global_load_dwordx4 v[118:121], v[30:31], off offset:16
	global_load_dwordx4 v[122:125], v[30:31], off offset:32
	;; [unrolled: 1-line block ×3, first 2 shown]
	v_add_co_u32_e64 v20, s[2:3], 8, v20
	v_addc_co_u32_e64 v21, s[2:3], 0, v21, s[2:3]
	v_add_co_u32_e64 v26, s[2:3], 32, v26
	v_addc_co_u32_e64 v27, s[2:3], 0, v27, s[2:3]
	v_add_co_u32_e64 v24, s[2:3], -4, v24
	v_addc_co_u32_e64 v25, s[2:3], -1, v25, s[2:3]
	v_cmp_eq_u64_e32 vcc, 0, v[24:25]
	s_or_b64 s[16:17], vcc, s[16:17]
	s_waitcnt vmcnt(3)
	v_fmac_f64_e32 v[64:65], v[4:5], v[114:115]
	v_fmac_f64_e32 v[56:57], v[6:7], v[114:115]
	v_fmac_f64_e32 v[62:63], v[12:13], v[114:115]
	v_fmac_f64_e32 v[54:55], v[14:15], v[114:115]
	v_fmac_f64_e32 v[60:61], v[70:71], v[114:115]
	v_fmac_f64_e32 v[52:53], v[72:73], v[114:115]
	v_fmac_f64_e32 v[58:59], v[74:75], v[114:115]
	v_fmac_f64_e32 v[50:51], v[76:77], v[114:115]
	v_fma_f64 v[6:7], -v[6:7], v[116:117], v[64:65]
	v_fmac_f64_e32 v[56:57], v[4:5], v[116:117]
	v_fma_f64 v[4:5], -v[14:15], v[116:117], v[62:63]
	v_fmac_f64_e32 v[54:55], v[12:13], v[116:117]
	v_fma_f64 v[12:13], -v[72:73], v[116:117], v[60:61]
	v_fmac_f64_e32 v[52:53], v[70:71], v[116:117]
	v_fma_f64 v[14:15], -v[76:77], v[116:117], v[58:59]
	v_fmac_f64_e32 v[50:51], v[74:75], v[116:117]
	s_waitcnt vmcnt(2)
	v_fmac_f64_e32 v[6:7], v[0:1], v[118:119]
	v_fmac_f64_e32 v[56:57], v[2:3], v[118:119]
	v_fmac_f64_e32 v[4:5], v[8:9], v[118:119]
	v_fmac_f64_e32 v[54:55], v[10:11], v[118:119]
	v_fmac_f64_e32 v[12:13], v[66:67], v[118:119]
	v_fmac_f64_e32 v[52:53], v[68:69], v[118:119]
	v_fmac_f64_e32 v[14:15], v[78:79], v[118:119]
	v_fmac_f64_e32 v[50:51], v[80:81], v[118:119]
	v_fma_f64 v[2:3], -v[2:3], v[120:121], v[6:7]
	v_fmac_f64_e32 v[56:57], v[0:1], v[120:121]
	v_fma_f64 v[0:1], -v[10:11], v[120:121], v[4:5]
	v_fmac_f64_e32 v[54:55], v[8:9], v[120:121]
	v_fma_f64 v[4:5], -v[68:69], v[120:121], v[12:13]
	v_fmac_f64_e32 v[52:53], v[66:67], v[120:121]
	v_fma_f64 v[6:7], -v[80:81], v[120:121], v[14:15]
	v_fmac_f64_e32 v[50:51], v[78:79], v[120:121]
	;; [unrolled: 17-line block ×4, first 2 shown]
	s_andn2_b64 exec, exec, s[16:17]
	s_cbranch_execnz .LBB36_19
; %bb.20:
	s_or_b64 exec, exec, s[16:17]
.LBB36_21:
	s_or_b64 exec, exec, s[14:15]
	v_cmp_lt_u64_e32 vcc, 23, v[22:23]
	s_and_saveexec_b64 s[14:15], vcc
	s_cbranch_execz .LBB36_25
; %bb.22:
	v_lshlrev_b64 v[0:1], 2, v[20:21]
	v_mov_b32_e32 v2, s13
	v_add_co_u32_e32 v0, vcc, s12, v0
	v_addc_co_u32_e32 v1, vcc, v1, v2, vcc
	v_add_co_u32_e32 v22, vcc, 64, v0
	v_addc_co_u32_e32 v23, vcc, 0, v1, vcc
	s_mov_b64 s[16:17], 0
	v_mov_b32_e32 v30, s5
	s_movk_i32 s19, 0x1000
.LBB36_23:                              ; =>This Inner Loop Header: Depth=1
	global_load_dword v0, v[22:23], off offset:-64
	global_load_dwordx4 v[26:29], v[18:19], off offset:48
	global_load_dwordx4 v[66:69], v[18:19], off offset:32
	;; [unrolled: 1-line block ×3, first 2 shown]
	global_load_dwordx4 v[74:77], v[18:19], off
	s_waitcnt vmcnt(4)
	v_subrev_u32_e32 v0, s20, v0
	v_lshlrev_b32_e32 v0, 2, v0
	v_ashrrev_i32_e32 v1, 31, v0
	v_lshlrev_b64 v[0:1], 4, v[0:1]
	v_add_co_u32_e32 v24, vcc, s4, v0
	v_addc_co_u32_e32 v25, vcc, v30, v1, vcc
	global_load_dwordx4 v[0:3], v[24:25], off offset:48
	global_load_dwordx4 v[4:7], v[24:25], off offset:32
	;; [unrolled: 1-line block ×3, first 2 shown]
	global_load_dwordx4 v[12:15], v[24:25], off
	s_waitcnt vmcnt(0)
	v_fmac_f64_e32 v[64:65], v[74:75], v[12:13]
	v_fmac_f64_e32 v[56:57], v[76:77], v[12:13]
	v_fma_f64 v[24:25], -v[76:77], v[14:15], v[64:65]
	v_fmac_f64_e32 v[56:57], v[74:75], v[14:15]
	v_fmac_f64_e32 v[24:25], v[70:71], v[8:9]
	v_fmac_f64_e32 v[56:57], v[72:73], v[8:9]
	v_fma_f64 v[24:25], -v[72:73], v[10:11], v[24:25]
	v_fmac_f64_e32 v[56:57], v[70:71], v[10:11]
	v_fmac_f64_e32 v[24:25], v[66:67], v[4:5]
	v_fmac_f64_e32 v[56:57], v[68:69], v[4:5]
	v_fma_f64 v[24:25], -v[68:69], v[6:7], v[24:25]
	v_fmac_f64_e32 v[56:57], v[66:67], v[6:7]
	v_fmac_f64_e32 v[24:25], v[26:27], v[0:1]
	v_fmac_f64_e32 v[56:57], v[28:29], v[0:1]
	v_fma_f64 v[24:25], -v[28:29], v[2:3], v[24:25]
	v_fmac_f64_e32 v[56:57], v[26:27], v[2:3]
	global_load_dwordx4 v[64:67], v[18:19], off offset:112
	global_load_dwordx4 v[26:29], v[18:19], off offset:96
	global_load_dwordx4 v[68:71], v[18:19], off offset:80
	global_load_dwordx4 v[72:75], v[18:19], off offset:64
	s_waitcnt vmcnt(0)
	v_fmac_f64_e32 v[62:63], v[72:73], v[12:13]
	v_fmac_f64_e32 v[54:55], v[74:75], v[12:13]
	v_fma_f64 v[62:63], -v[74:75], v[14:15], v[62:63]
	v_fmac_f64_e32 v[54:55], v[72:73], v[14:15]
	v_fmac_f64_e32 v[62:63], v[68:69], v[8:9]
	v_fmac_f64_e32 v[54:55], v[70:71], v[8:9]
	v_fma_f64 v[62:63], -v[70:71], v[10:11], v[62:63]
	v_fmac_f64_e32 v[54:55], v[68:69], v[10:11]
	v_fmac_f64_e32 v[62:63], v[26:27], v[4:5]
	v_fmac_f64_e32 v[54:55], v[28:29], v[4:5]
	v_fma_f64 v[62:63], -v[28:29], v[6:7], v[62:63]
	v_fmac_f64_e32 v[54:55], v[26:27], v[6:7]
	v_fmac_f64_e32 v[62:63], v[64:65], v[0:1]
	v_fmac_f64_e32 v[54:55], v[66:67], v[0:1]
	v_fma_f64 v[26:27], -v[66:67], v[2:3], v[62:63]
	v_fmac_f64_e32 v[54:55], v[64:65], v[2:3]
	global_load_dwordx4 v[62:65], v[18:19], off offset:176
	global_load_dwordx4 v[66:69], v[18:19], off offset:160
	global_load_dwordx4 v[70:73], v[18:19], off offset:144
	global_load_dwordx4 v[74:77], v[18:19], off offset:128
	;; [unrolled: 21-line block ×3, first 2 shown]
	s_waitcnt vmcnt(0)
	v_fmac_f64_e32 v[58:59], v[72:73], v[12:13]
	v_fmac_f64_e32 v[50:51], v[74:75], v[12:13]
	v_fma_f64 v[58:59], -v[74:75], v[14:15], v[58:59]
	v_fmac_f64_e32 v[50:51], v[72:73], v[14:15]
	v_fmac_f64_e32 v[58:59], v[68:69], v[8:9]
	v_fmac_f64_e32 v[50:51], v[70:71], v[8:9]
	v_fma_f64 v[12:13], -v[70:71], v[10:11], v[58:59]
	v_fmac_f64_e32 v[50:51], v[68:69], v[10:11]
	;; [unrolled: 4-line block ×3, first 2 shown]
	v_fmac_f64_e32 v[8:9], v[60:61], v[0:1]
	v_fmac_f64_e32 v[50:51], v[62:63], v[0:1]
	global_load_dword v0, v[22:23], off offset:-32
	v_fma_f64 v[4:5], -v[62:63], v[2:3], v[8:9]
	v_fmac_f64_e32 v[50:51], v[60:61], v[2:3]
	s_waitcnt vmcnt(0)
	v_subrev_u32_e32 v0, s20, v0
	v_lshlrev_b32_e32 v14, 2, v0
	v_ashrrev_i32_e32 v15, 31, v14
	v_lshlrev_b64 v[14:15], 4, v[14:15]
	v_add_co_u32_e32 v14, vcc, s4, v14
	v_addc_co_u32_e32 v15, vcc, v30, v15, vcc
	global_load_dwordx4 v[6:9], v[18:19], off offset:2096
	global_load_dwordx4 v[0:3], v[18:19], off offset:2080
	;; [unrolled: 1-line block ×7, first 2 shown]
	global_load_dwordx4 v[74:77], v[14:15], off
	s_waitcnt vmcnt(0)
	v_fmac_f64_e32 v[24:25], v[58:59], v[74:75]
	v_fma_f64 v[14:15], -v[60:61], v[76:77], v[24:25]
	v_fmac_f64_e32 v[56:57], v[60:61], v[74:75]
	v_fmac_f64_e32 v[56:57], v[58:59], v[76:77]
	v_fmac_f64_e32 v[14:15], v[10:11], v[70:71]
	v_fma_f64 v[14:15], -v[12:13], v[72:73], v[14:15]
	v_fmac_f64_e32 v[56:57], v[12:13], v[70:71]
	v_fmac_f64_e32 v[56:57], v[10:11], v[72:73]
	v_fmac_f64_e32 v[14:15], v[0:1], v[66:67]
	v_fma_f64 v[10:11], -v[2:3], v[68:69], v[14:15]
	v_fmac_f64_e32 v[56:57], v[2:3], v[66:67]
	v_fmac_f64_e32 v[56:57], v[0:1], v[68:69]
	v_fmac_f64_e32 v[10:11], v[6:7], v[62:63]
	v_fma_f64 v[2:3], -v[8:9], v[64:65], v[10:11]
	v_fmac_f64_e32 v[56:57], v[8:9], v[62:63]
	global_load_dwordx4 v[8:11], v[18:19], off offset:2160
	global_load_dwordx4 v[12:15], v[18:19], off offset:2144
	global_load_dwordx4 v[58:61], v[18:19], off offset:2128
	global_load_dwordx4 v[78:81], v[18:19], off offset:2112
	v_fmac_f64_e32 v[56:57], v[6:7], v[64:65]
	s_waitcnt vmcnt(0)
	v_fmac_f64_e32 v[26:27], v[78:79], v[74:75]
	v_fma_f64 v[0:1], -v[80:81], v[76:77], v[26:27]
	v_fmac_f64_e32 v[54:55], v[80:81], v[74:75]
	v_fmac_f64_e32 v[54:55], v[78:79], v[76:77]
	v_fmac_f64_e32 v[0:1], v[58:59], v[70:71]
	v_fma_f64 v[0:1], -v[60:61], v[72:73], v[0:1]
	v_fmac_f64_e32 v[54:55], v[60:61], v[70:71]
	v_fmac_f64_e32 v[54:55], v[58:59], v[72:73]
	v_fmac_f64_e32 v[0:1], v[12:13], v[66:67]
	v_fma_f64 v[0:1], -v[14:15], v[68:69], v[0:1]
	v_fmac_f64_e32 v[54:55], v[14:15], v[66:67]
	v_fmac_f64_e32 v[54:55], v[12:13], v[68:69]
	v_fmac_f64_e32 v[0:1], v[8:9], v[62:63]
	v_fma_f64 v[6:7], -v[10:11], v[64:65], v[0:1]
	v_fmac_f64_e32 v[54:55], v[10:11], v[62:63]
	global_load_dwordx4 v[10:13], v[18:19], off offset:2224
	global_load_dwordx4 v[24:27], v[18:19], off offset:2208
	global_load_dwordx4 v[58:61], v[18:19], off offset:2192
	global_load_dwordx4 v[78:81], v[18:19], off offset:2176
	v_fmac_f64_e32 v[54:55], v[8:9], v[64:65]
	;; [unrolled: 21-line block ×3, first 2 shown]
	s_waitcnt vmcnt(0)
	v_fmac_f64_e32 v[4:5], v[78:79], v[74:75]
	v_fma_f64 v[0:1], -v[80:81], v[76:77], v[4:5]
	global_load_dword v4, v[22:23], off
	v_fmac_f64_e32 v[0:1], v[58:59], v[70:71]
	v_fma_f64 v[0:1], -v[60:61], v[72:73], v[0:1]
	v_fmac_f64_e32 v[50:51], v[80:81], v[74:75]
	v_fmac_f64_e32 v[0:1], v[24:25], v[66:67]
	;; [unrolled: 1-line block ×3, first 2 shown]
	v_fma_f64 v[0:1], -v[26:27], v[68:69], v[0:1]
	v_fmac_f64_e32 v[50:51], v[60:61], v[70:71]
	v_fmac_f64_e32 v[0:1], v[12:13], v[62:63]
	;; [unrolled: 1-line block ×3, first 2 shown]
	v_fma_f64 v[10:11], -v[14:15], v[64:65], v[0:1]
	v_add_co_u32_e32 v0, vcc, s19, v18
	v_fmac_f64_e32 v[50:51], v[26:27], v[66:67]
	v_addc_co_u32_e32 v1, vcc, 0, v19, vcc
	v_fmac_f64_e32 v[50:51], v[24:25], v[68:69]
	v_fmac_f64_e32 v[50:51], v[14:15], v[62:63]
	v_fmac_f64_e32 v[50:51], v[12:13], v[64:65]
	global_load_dwordx4 v[12:15], v[0:1], off
	global_load_dwordx4 v[24:27], v[0:1], off offset:48
	global_load_dwordx4 v[58:61], v[0:1], off offset:32
	;; [unrolled: 1-line block ×3, first 2 shown]
	s_waitcnt vmcnt(4)
	v_subrev_u32_e32 v4, s20, v4
	v_lshlrev_b32_e32 v4, 2, v4
	v_ashrrev_i32_e32 v5, 31, v4
	v_lshlrev_b64 v[4:5], 4, v[4:5]
	v_add_co_u32_e32 v4, vcc, s4, v4
	v_addc_co_u32_e32 v5, vcc, v30, v5, vcc
	global_load_dwordx4 v[66:69], v[4:5], off offset:48
	global_load_dwordx4 v[70:73], v[4:5], off offset:32
	;; [unrolled: 1-line block ×3, first 2 shown]
	global_load_dwordx4 v[78:81], v[4:5], off
	s_waitcnt vmcnt(0)
	v_fmac_f64_e32 v[2:3], v[12:13], v[78:79]
	v_fmac_f64_e32 v[56:57], v[14:15], v[78:79]
	v_fma_f64 v[2:3], -v[14:15], v[80:81], v[2:3]
	v_fmac_f64_e32 v[56:57], v[12:13], v[80:81]
	v_fmac_f64_e32 v[2:3], v[62:63], v[74:75]
	v_fmac_f64_e32 v[56:57], v[64:65], v[74:75]
	v_fma_f64 v[2:3], -v[64:65], v[76:77], v[2:3]
	v_fmac_f64_e32 v[56:57], v[62:63], v[76:77]
	v_fmac_f64_e32 v[2:3], v[58:59], v[70:71]
	v_fmac_f64_e32 v[56:57], v[60:61], v[70:71]
	v_fma_f64 v[2:3], -v[60:61], v[72:73], v[2:3]
	v_fmac_f64_e32 v[56:57], v[58:59], v[72:73]
	v_fmac_f64_e32 v[2:3], v[24:25], v[66:67]
	v_fmac_f64_e32 v[56:57], v[26:27], v[66:67]
	v_fma_f64 v[4:5], -v[26:27], v[68:69], v[2:3]
	v_fmac_f64_e32 v[56:57], v[24:25], v[68:69]
	global_load_dwordx4 v[12:15], v[0:1], off offset:112
	global_load_dwordx4 v[24:27], v[0:1], off offset:96
	global_load_dwordx4 v[58:61], v[0:1], off offset:80
	global_load_dwordx4 v[62:65], v[0:1], off offset:64
	s_waitcnt vmcnt(0)
	v_fmac_f64_e32 v[6:7], v[62:63], v[78:79]
	v_fmac_f64_e32 v[54:55], v[64:65], v[78:79]
	v_fma_f64 v[2:3], -v[64:65], v[80:81], v[6:7]
	v_fmac_f64_e32 v[54:55], v[62:63], v[80:81]
	v_fmac_f64_e32 v[2:3], v[58:59], v[74:75]
	v_fmac_f64_e32 v[54:55], v[60:61], v[74:75]
	v_fma_f64 v[2:3], -v[60:61], v[76:77], v[2:3]
	v_fmac_f64_e32 v[54:55], v[58:59], v[76:77]
	v_fmac_f64_e32 v[2:3], v[24:25], v[70:71]
	v_fmac_f64_e32 v[54:55], v[26:27], v[70:71]
	v_fma_f64 v[2:3], -v[26:27], v[72:73], v[2:3]
	v_fmac_f64_e32 v[54:55], v[24:25], v[72:73]
	v_fmac_f64_e32 v[2:3], v[12:13], v[66:67]
	v_fmac_f64_e32 v[54:55], v[14:15], v[66:67]
	v_fma_f64 v[6:7], -v[14:15], v[68:69], v[2:3]
	v_fmac_f64_e32 v[54:55], v[12:13], v[68:69]
	global_load_dwordx4 v[12:15], v[0:1], off offset:176
	global_load_dwordx4 v[24:27], v[0:1], off offset:160
	global_load_dwordx4 v[58:61], v[0:1], off offset:144
	global_load_dwordx4 v[62:65], v[0:1], off offset:128
	s_waitcnt vmcnt(0)
	v_fmac_f64_e32 v[8:9], v[62:63], v[78:79]
	v_fmac_f64_e32 v[52:53], v[64:65], v[78:79]
	v_fma_f64 v[2:3], -v[64:65], v[80:81], v[8:9]
	v_fmac_f64_e32 v[52:53], v[62:63], v[80:81]
	v_fmac_f64_e32 v[2:3], v[58:59], v[74:75]
	v_fmac_f64_e32 v[52:53], v[60:61], v[74:75]
	v_fma_f64 v[2:3], -v[60:61], v[76:77], v[2:3]
	v_fmac_f64_e32 v[52:53], v[58:59], v[76:77]
	v_fmac_f64_e32 v[2:3], v[24:25], v[70:71]
	v_fmac_f64_e32 v[52:53], v[26:27], v[70:71]
	v_fma_f64 v[2:3], -v[26:27], v[72:73], v[2:3]
	v_fmac_f64_e32 v[52:53], v[24:25], v[72:73]
	v_fmac_f64_e32 v[2:3], v[12:13], v[66:67]
	v_fmac_f64_e32 v[52:53], v[14:15], v[66:67]
	v_fma_f64 v[8:9], -v[14:15], v[68:69], v[2:3]
	v_fmac_f64_e32 v[52:53], v[12:13], v[68:69]
	global_load_dwordx4 v[12:15], v[0:1], off offset:240
	global_load_dwordx4 v[24:27], v[0:1], off offset:224
	global_load_dwordx4 v[58:61], v[0:1], off offset:208
	global_load_dwordx4 v[62:65], v[0:1], off offset:192
	s_waitcnt vmcnt(0)
	v_fmac_f64_e32 v[10:11], v[62:63], v[78:79]
	v_fma_f64 v[2:3], -v[64:65], v[80:81], v[10:11]
	global_load_dword v10, v[22:23], off offset:32
	v_fmac_f64_e32 v[50:51], v[64:65], v[78:79]
	v_fmac_f64_e32 v[50:51], v[62:63], v[80:81]
	v_fmac_f64_e32 v[2:3], v[58:59], v[74:75]
	v_fma_f64 v[2:3], -v[60:61], v[76:77], v[2:3]
	v_fmac_f64_e32 v[50:51], v[60:61], v[74:75]
	v_fmac_f64_e32 v[50:51], v[58:59], v[76:77]
	v_fmac_f64_e32 v[2:3], v[24:25], v[70:71]
	v_fma_f64 v[2:3], -v[26:27], v[72:73], v[2:3]
	;; [unrolled: 4-line block ×3, first 2 shown]
	v_fmac_f64_e32 v[50:51], v[14:15], v[66:67]
	v_fmac_f64_e32 v[50:51], v[12:13], v[68:69]
	s_waitcnt vmcnt(0)
	v_subrev_u32_e32 v10, s20, v10
	v_lshlrev_b32_e32 v14, 2, v10
	v_ashrrev_i32_e32 v15, 31, v14
	v_lshlrev_b64 v[14:15], 4, v[14:15]
	v_add_co_u32_e32 v14, vcc, s4, v14
	v_addc_co_u32_e32 v15, vcc, v30, v15, vcc
	global_load_dwordx4 v[10:13], v[0:1], off offset:2096
	global_load_dwordx4 v[24:27], v[0:1], off offset:2080
	;; [unrolled: 1-line block ×7, first 2 shown]
	global_load_dwordx4 v[78:81], v[14:15], off
	v_add_co_u32_e32 v20, vcc, 32, v20
	v_addc_co_u32_e32 v21, vcc, 0, v21, vcc
	v_add_co_u32_e32 v22, vcc, 0x80, v22
	v_addc_co_u32_e32 v23, vcc, 0, v23, vcc
	v_cmp_ge_i64_e64 s[2:3], v[20:21], v[46:47]
	v_add_co_u32_e32 v18, vcc, 0x2000, v18
	v_addc_co_u32_e32 v19, vcc, 0, v19, vcc
	s_or_b64 s[16:17], s[2:3], s[16:17]
	s_waitcnt vmcnt(0)
	v_fmac_f64_e32 v[4:5], v[62:63], v[78:79]
	v_fmac_f64_e32 v[56:57], v[64:65], v[78:79]
	v_fma_f64 v[4:5], -v[64:65], v[80:81], v[4:5]
	v_fmac_f64_e32 v[56:57], v[62:63], v[80:81]
	v_fmac_f64_e32 v[4:5], v[58:59], v[74:75]
	v_fmac_f64_e32 v[56:57], v[60:61], v[74:75]
	v_fma_f64 v[4:5], -v[60:61], v[76:77], v[4:5]
	v_fmac_f64_e32 v[56:57], v[58:59], v[76:77]
	v_fmac_f64_e32 v[4:5], v[24:25], v[70:71]
	v_fmac_f64_e32 v[56:57], v[26:27], v[70:71]
	v_fma_f64 v[4:5], -v[26:27], v[72:73], v[4:5]
	v_fmac_f64_e32 v[56:57], v[24:25], v[72:73]
	v_fmac_f64_e32 v[4:5], v[10:11], v[66:67]
	v_fmac_f64_e32 v[56:57], v[12:13], v[66:67]
	v_fma_f64 v[64:65], -v[12:13], v[68:69], v[4:5]
	v_fmac_f64_e32 v[56:57], v[10:11], v[68:69]
	global_load_dwordx4 v[10:13], v[0:1], off offset:2160
	global_load_dwordx4 v[24:27], v[0:1], off offset:2144
	global_load_dwordx4 v[58:61], v[0:1], off offset:2128
	global_load_dwordx4 v[82:85], v[0:1], off offset:2112
	s_waitcnt vmcnt(0)
	v_fmac_f64_e32 v[6:7], v[82:83], v[78:79]
	v_fmac_f64_e32 v[54:55], v[84:85], v[78:79]
	v_fma_f64 v[4:5], -v[84:85], v[80:81], v[6:7]
	v_fmac_f64_e32 v[54:55], v[82:83], v[80:81]
	v_fmac_f64_e32 v[4:5], v[58:59], v[74:75]
	v_fmac_f64_e32 v[54:55], v[60:61], v[74:75]
	v_fma_f64 v[4:5], -v[60:61], v[76:77], v[4:5]
	v_fmac_f64_e32 v[54:55], v[58:59], v[76:77]
	v_fmac_f64_e32 v[4:5], v[24:25], v[70:71]
	v_fmac_f64_e32 v[54:55], v[26:27], v[70:71]
	v_fma_f64 v[4:5], -v[26:27], v[72:73], v[4:5]
	v_fmac_f64_e32 v[54:55], v[24:25], v[72:73]
	v_fmac_f64_e32 v[4:5], v[10:11], v[66:67]
	v_fmac_f64_e32 v[54:55], v[12:13], v[66:67]
	v_fma_f64 v[62:63], -v[12:13], v[68:69], v[4:5]
	v_fmac_f64_e32 v[54:55], v[10:11], v[68:69]
	global_load_dwordx4 v[4:7], v[0:1], off offset:2224
	global_load_dwordx4 v[10:13], v[0:1], off offset:2208
	global_load_dwordx4 v[24:27], v[0:1], off offset:2192
	global_load_dwordx4 v[58:61], v[0:1], off offset:2176
	;; [unrolled: 21-line block ×3, first 2 shown]
	s_waitcnt vmcnt(0)
	v_fmac_f64_e32 v[2:3], v[24:25], v[78:79]
	v_fmac_f64_e32 v[50:51], v[26:27], v[78:79]
	v_fma_f64 v[0:1], -v[26:27], v[80:81], v[2:3]
	v_fmac_f64_e32 v[50:51], v[24:25], v[80:81]
	v_fmac_f64_e32 v[0:1], v[12:13], v[74:75]
	v_fmac_f64_e32 v[50:51], v[14:15], v[74:75]
	v_fma_f64 v[0:1], -v[14:15], v[76:77], v[0:1]
	v_fmac_f64_e32 v[50:51], v[12:13], v[76:77]
	;; [unrolled: 4-line block ×4, first 2 shown]
	s_andn2_b64 exec, exec, s[16:17]
	s_cbranch_execnz .LBB36_23
; %bb.24:
	s_or_b64 exec, exec, s[16:17]
.LBB36_25:
	s_or_b64 exec, exec, s[14:15]
.LBB36_26:
	s_or_b64 exec, exec, s[10:11]
	s_andn2_b64 vcc, exec, s[8:9]
	s_cbranch_vccz .LBB36_28
	s_branch .LBB36_39
.LBB36_27:
                                        ; implicit-def: $vgpr56_vgpr57
                                        ; implicit-def: $vgpr64_vgpr65
                                        ; implicit-def: $vgpr58_vgpr59
                                        ; implicit-def: $vgpr50_vgpr51
                                        ; implicit-def: $vgpr60_vgpr61
                                        ; implicit-def: $vgpr52_vgpr53
                                        ; implicit-def: $vgpr62_vgpr63
                                        ; implicit-def: $vgpr54_vgpr55
.LBB36_28:
	v_pk_mov_b32 v[56:57], 0, 0
	v_pk_mov_b32 v[64:65], v[56:57], v[56:57] op_sel:[0,1]
	v_pk_mov_b32 v[58:59], v[56:57], v[56:57] op_sel:[0,1]
	;; [unrolled: 1-line block ×7, first 2 shown]
	s_and_saveexec_b64 s[2:3], s[0:1]
	s_cbranch_execz .LBB36_38
; %bb.29:
	v_or_b32_e32 v0, 8, v42
	v_mov_b32_e32 v1, s18
	v_subrev_co_u32_e32 v0, vcc, s20, v0
	v_subb_co_u32_e32 v1, vcc, 0, v1, vcc
	v_add_co_u32_e32 v0, vcc, v0, v16
	v_addc_co_u32_e32 v1, vcc, v1, v17, vcc
	v_cmp_gt_i64_e32 vcc, v[0:1], v[46:47]
	v_cndmask_b32_e32 v1, v47, v1, vcc
	v_cndmask_b32_e32 v0, v46, v0, vcc
	v_mov_b32_e32 v4, s18
	v_sub_co_u32_e32 v5, vcc, s20, v42
	v_not_b32_e32 v3, v16
	v_subbrev_co_u32_e32 v4, vcc, 0, v4, vcc
	v_not_b32_e32 v2, v17
	v_add_co_u32_e32 v3, vcc, v5, v3
	v_addc_co_u32_e32 v2, vcc, v4, v2, vcc
	v_add_co_u32_e32 v66, vcc, v3, v0
	v_lshrrev_b32_e32 v0, 3, v66
	v_add_u32_e32 v0, 1, v0
	v_addc_co_u32_e32 v67, vcc, v2, v1, vcc
	v_and_b32_e32 v0, 3, v0
	v_pk_mov_b32 v[54:55], 0, 0
	v_cmp_ne_u32_e32 vcc, 0, v0
	s_mov_b64 s[10:11], 0
	v_pk_mov_b32 v[62:63], v[54:55], v[54:55] op_sel:[0,1]
	v_pk_mov_b32 v[52:53], v[54:55], v[54:55] op_sel:[0,1]
	;; [unrolled: 1-line block ×7, first 2 shown]
	s_and_saveexec_b64 s[8:9], vcc
	s_cbranch_execz .LBB36_33
; %bb.30:
	v_lshlrev_b64 v[2:3], 2, v[44:45]
	v_mov_b32_e32 v1, s13
	v_add_co_u32_e32 v70, vcc, s12, v2
	v_pk_mov_b32 v[56:57], 0, 0
	v_mov_b32_e32 v69, 0
	v_addc_co_u32_e32 v71, vcc, v1, v3, vcc
	v_lshlrev_b32_e32 v68, 2, v0
	s_movk_i32 s14, 0x800
	v_mov_b32_e32 v41, s5
	v_pk_mov_b32 v[64:65], v[56:57], v[56:57] op_sel:[0,1]
	v_pk_mov_b32 v[58:59], v[56:57], v[56:57] op_sel:[0,1]
	;; [unrolled: 1-line block ×7, first 2 shown]
.LBB36_31:                              ; =>This Inner Loop Header: Depth=1
	global_load_dword v43, v[70:71], off
	global_load_dwordx4 v[0:3], v[48:49], off offset:48
	global_load_dwordx4 v[4:7], v[48:49], off offset:32
	;; [unrolled: 1-line block ×3, first 2 shown]
	global_load_dwordx4 v[12:15], v[48:49], off
	global_load_dwordx4 v[16:19], v[48:49], off offset:112
	global_load_dwordx4 v[20:23], v[48:49], off offset:96
	global_load_dwordx4 v[24:27], v[48:49], off offset:80
	global_load_dwordx4 v[28:31], v[48:49], off offset:64
	global_load_dwordx4 v[72:75], v[48:49], off offset:176
	global_load_dwordx4 v[76:79], v[48:49], off offset:160
	global_load_dwordx4 v[80:83], v[48:49], off offset:144
	global_load_dwordx4 v[84:87], v[48:49], off offset:128
	global_load_dwordx4 v[88:91], v[48:49], off offset:208
	global_load_dwordx4 v[92:95], v[48:49], off offset:192
	global_load_dwordx4 v[96:99], v[48:49], off offset:224
	global_load_dwordx4 v[100:103], v[48:49], off offset:240
	v_add_co_u32_e32 v48, vcc, s14, v48
	v_addc_co_u32_e32 v49, vcc, 0, v49, vcc
	s_waitcnt vmcnt(16)
	v_subrev_u32_e32 v43, s20, v43
	v_lshlrev_b32_e32 v104, 2, v43
	v_ashrrev_i32_e32 v105, 31, v104
	v_lshlrev_b64 v[104:105], 4, v[104:105]
	v_add_co_u32_e64 v120, s[0:1], s4, v104
	v_addc_co_u32_e64 v121, s[0:1], v41, v105, s[0:1]
	global_load_dwordx4 v[104:107], v[120:121], off
	global_load_dwordx4 v[108:111], v[120:121], off offset:16
	global_load_dwordx4 v[112:115], v[120:121], off offset:32
	;; [unrolled: 1-line block ×3, first 2 shown]
	v_add_co_u32_e64 v44, s[0:1], 8, v44
	v_addc_co_u32_e64 v45, s[0:1], 0, v45, s[0:1]
	v_add_co_u32_e64 v70, s[0:1], 32, v70
	v_addc_co_u32_e64 v71, s[0:1], 0, v71, s[0:1]
	v_add_co_u32_e64 v68, s[0:1], -4, v68
	v_addc_co_u32_e64 v69, s[0:1], -1, v69, s[0:1]
	v_cmp_eq_u64_e32 vcc, 0, v[68:69]
	s_or_b64 s[10:11], vcc, s[10:11]
	s_waitcnt vmcnt(3)
	v_fmac_f64_e32 v[64:65], v[12:13], v[104:105]
	v_fmac_f64_e32 v[56:57], v[14:15], v[104:105]
	v_fmac_f64_e32 v[62:63], v[8:9], v[104:105]
	v_fmac_f64_e32 v[54:55], v[10:11], v[104:105]
	v_fmac_f64_e32 v[60:61], v[4:5], v[104:105]
	v_fmac_f64_e32 v[52:53], v[6:7], v[104:105]
	v_fmac_f64_e32 v[58:59], v[0:1], v[104:105]
	v_fmac_f64_e32 v[50:51], v[2:3], v[104:105]
	v_fma_f64 v[14:15], -v[14:15], v[106:107], v[64:65]
	v_fmac_f64_e32 v[56:57], v[12:13], v[106:107]
	v_fma_f64 v[10:11], -v[10:11], v[106:107], v[62:63]
	v_fmac_f64_e32 v[54:55], v[8:9], v[106:107]
	v_fma_f64 v[6:7], -v[6:7], v[106:107], v[60:61]
	v_fmac_f64_e32 v[52:53], v[4:5], v[106:107]
	v_fma_f64 v[2:3], -v[2:3], v[106:107], v[58:59]
	v_fmac_f64_e32 v[50:51], v[0:1], v[106:107]
	s_waitcnt vmcnt(2)
	v_fmac_f64_e32 v[14:15], v[28:29], v[108:109]
	v_fmac_f64_e32 v[56:57], v[30:31], v[108:109]
	v_fmac_f64_e32 v[10:11], v[24:25], v[108:109]
	v_fmac_f64_e32 v[54:55], v[26:27], v[108:109]
	v_fmac_f64_e32 v[6:7], v[20:21], v[108:109]
	v_fmac_f64_e32 v[52:53], v[22:23], v[108:109]
	v_fmac_f64_e32 v[2:3], v[16:17], v[108:109]
	v_fmac_f64_e32 v[50:51], v[18:19], v[108:109]
	v_fma_f64 v[0:1], -v[30:31], v[110:111], v[14:15]
	v_fmac_f64_e32 v[56:57], v[28:29], v[110:111]
	v_fma_f64 v[4:5], -v[26:27], v[110:111], v[10:11]
	v_fmac_f64_e32 v[54:55], v[24:25], v[110:111]
	v_fma_f64 v[6:7], -v[22:23], v[110:111], v[6:7]
	v_fmac_f64_e32 v[52:53], v[20:21], v[110:111]
	v_fma_f64 v[2:3], -v[18:19], v[110:111], v[2:3]
	v_fmac_f64_e32 v[50:51], v[16:17], v[110:111]
	;; [unrolled: 17-line block ×4, first 2 shown]
	s_andn2_b64 exec, exec, s[10:11]
	s_cbranch_execnz .LBB36_31
; %bb.32:
	s_or_b64 exec, exec, s[10:11]
.LBB36_33:
	s_or_b64 exec, exec, s[8:9]
	v_cmp_lt_u64_e32 vcc, 23, v[66:67]
	s_and_saveexec_b64 s[8:9], vcc
	s_cbranch_execz .LBB36_37
; %bb.34:
	v_lshlrev_b64 v[0:1], 2, v[44:45]
	v_mov_b32_e32 v2, s13
	v_add_co_u32_e32 v0, vcc, s12, v0
	v_addc_co_u32_e32 v1, vcc, v1, v2, vcc
	v_add_co_u32_e32 v8, vcc, 64, v0
	v_addc_co_u32_e32 v9, vcc, 0, v1, vcc
	s_mov_b64 s[10:11], 0
	v_mov_b32_e32 v12, s5
	s_movk_i32 s5, 0x1000
.LBB36_35:                              ; =>This Inner Loop Header: Depth=1
	global_load_dword v0, v[8:9], off offset:-64
	global_load_dwordx4 v[14:17], v[48:49], off offset:48
	global_load_dwordx4 v[18:21], v[48:49], off offset:32
	;; [unrolled: 1-line block ×3, first 2 shown]
	global_load_dwordx4 v[26:29], v[48:49], off
	s_waitcnt vmcnt(4)
	v_subrev_u32_e32 v0, s20, v0
	v_lshlrev_b32_e32 v0, 2, v0
	v_ashrrev_i32_e32 v1, 31, v0
	v_lshlrev_b64 v[0:1], 4, v[0:1]
	v_add_co_u32_e32 v10, vcc, s4, v0
	v_addc_co_u32_e32 v11, vcc, v12, v1, vcc
	global_load_dwordx4 v[0:3], v[10:11], off offset:48
	global_load_dwordx4 v[4:7], v[10:11], off offset:32
	;; [unrolled: 1-line block ×3, first 2 shown]
	global_load_dwordx4 v[70:73], v[10:11], off
	s_waitcnt vmcnt(0)
	v_fmac_f64_e32 v[64:65], v[26:27], v[70:71]
	v_fmac_f64_e32 v[56:57], v[28:29], v[70:71]
	;; [unrolled: 1-line block ×8, first 2 shown]
	v_fma_f64 v[10:11], -v[28:29], v[72:73], v[64:65]
	v_fmac_f64_e32 v[56:57], v[26:27], v[72:73]
	v_fma_f64 v[30:31], -v[24:25], v[72:73], v[62:63]
	v_fmac_f64_e32 v[54:55], v[22:23], v[72:73]
	v_fma_f64 v[60:61], -v[20:21], v[72:73], v[60:61]
	v_fmac_f64_e32 v[52:53], v[18:19], v[72:73]
	v_fma_f64 v[58:59], -v[16:17], v[72:73], v[58:59]
	v_fmac_f64_e32 v[50:51], v[14:15], v[72:73]
	global_load_dwordx4 v[14:17], v[48:49], off offset:112
	global_load_dwordx4 v[18:21], v[48:49], off offset:96
	global_load_dwordx4 v[22:25], v[48:49], off offset:80
	global_load_dwordx4 v[26:29], v[48:49], off offset:64
	s_waitcnt vmcnt(3)
	v_fmac_f64_e32 v[58:59], v[14:15], v[66:67]
	s_waitcnt vmcnt(2)
	v_fmac_f64_e32 v[60:61], v[18:19], v[66:67]
	s_waitcnt vmcnt(1)
	v_fmac_f64_e32 v[30:31], v[22:23], v[66:67]
	s_waitcnt vmcnt(0)
	v_fmac_f64_e32 v[10:11], v[26:27], v[66:67]
	v_fmac_f64_e32 v[56:57], v[28:29], v[66:67]
	v_fmac_f64_e32 v[54:55], v[24:25], v[66:67]
	v_fmac_f64_e32 v[52:53], v[20:21], v[66:67]
	v_fmac_f64_e32 v[50:51], v[16:17], v[66:67]
	v_fma_f64 v[10:11], -v[28:29], v[68:69], v[10:11]
	v_fmac_f64_e32 v[56:57], v[26:27], v[68:69]
	v_fma_f64 v[30:31], -v[24:25], v[68:69], v[30:31]
	v_fmac_f64_e32 v[54:55], v[22:23], v[68:69]
	v_fma_f64 v[60:61], -v[20:21], v[68:69], v[60:61]
	v_fmac_f64_e32 v[52:53], v[18:19], v[68:69]
	v_fma_f64 v[58:59], -v[16:17], v[68:69], v[58:59]
	v_fmac_f64_e32 v[50:51], v[14:15], v[68:69]
	global_load_dwordx4 v[14:17], v[48:49], off offset:176
	global_load_dwordx4 v[18:21], v[48:49], off offset:160
	global_load_dwordx4 v[22:25], v[48:49], off offset:144
	global_load_dwordx4 v[26:29], v[48:49], off offset:128
	s_waitcnt vmcnt(3)
	v_fmac_f64_e32 v[58:59], v[14:15], v[4:5]
	s_waitcnt vmcnt(2)
	v_fmac_f64_e32 v[60:61], v[18:19], v[4:5]
	s_waitcnt vmcnt(1)
	v_fmac_f64_e32 v[30:31], v[22:23], v[4:5]
	s_waitcnt vmcnt(0)
	v_fmac_f64_e32 v[10:11], v[26:27], v[4:5]
	v_fmac_f64_e32 v[56:57], v[28:29], v[4:5]
	v_fmac_f64_e32 v[54:55], v[24:25], v[4:5]
	v_fmac_f64_e32 v[52:53], v[20:21], v[4:5]
	v_fmac_f64_e32 v[50:51], v[16:17], v[4:5]
	;; [unrolled: 24-line block ×3, first 2 shown]
	global_load_dword v0, v[8:9], off offset:-32
	v_fmac_f64_e32 v[56:57], v[22:23], v[2:3]
	v_fma_f64 v[10:11], -v[24:25], v[2:3], v[10:11]
	v_fma_f64 v[66:67], -v[20:21], v[2:3], v[26:27]
	v_fmac_f64_e32 v[54:55], v[18:19], v[2:3]
	v_fma_f64 v[68:69], -v[16:17], v[2:3], v[28:29]
	v_fmac_f64_e32 v[52:53], v[14:15], v[2:3]
	;; [unrolled: 2-line block ×3, first 2 shown]
	s_waitcnt vmcnt(0)
	v_subrev_u32_e32 v0, s20, v0
	v_lshlrev_b32_e32 v22, 2, v0
	v_ashrrev_i32_e32 v23, 31, v22
	v_lshlrev_b64 v[22:23], 4, v[22:23]
	v_add_co_u32_e32 v70, vcc, s4, v22
	v_addc_co_u32_e32 v71, vcc, v12, v23, vcc
	global_load_dwordx4 v[0:3], v[48:49], off offset:2096
	global_load_dwordx4 v[4:7], v[48:49], off offset:2080
	;; [unrolled: 1-line block ×7, first 2 shown]
	global_load_dwordx4 v[62:65], v[70:71], off
	s_waitcnt vmcnt(0)
	v_fmac_f64_e32 v[10:11], v[18:19], v[62:63]
	v_fmac_f64_e32 v[56:57], v[20:21], v[62:63]
	v_fmac_f64_e32 v[66:67], v[14:15], v[62:63]
	v_fmac_f64_e32 v[54:55], v[16:17], v[62:63]
	v_fmac_f64_e32 v[68:69], v[4:5], v[62:63]
	v_fmac_f64_e32 v[52:53], v[6:7], v[62:63]
	v_fmac_f64_e32 v[30:31], v[0:1], v[62:63]
	v_fmac_f64_e32 v[50:51], v[2:3], v[62:63]
	v_fma_f64 v[10:11], -v[20:21], v[64:65], v[10:11]
	v_fmac_f64_e32 v[56:57], v[18:19], v[64:65]
	v_fma_f64 v[66:67], -v[16:17], v[64:65], v[66:67]
	v_fmac_f64_e32 v[54:55], v[14:15], v[64:65]
	;; [unrolled: 2-line block ×4, first 2 shown]
	global_load_dwordx4 v[0:3], v[48:49], off offset:2160
	global_load_dwordx4 v[4:7], v[48:49], off offset:2144
	;; [unrolled: 1-line block ×4, first 2 shown]
	s_waitcnt vmcnt(3)
	v_fmac_f64_e32 v[30:31], v[0:1], v[58:59]
	s_waitcnt vmcnt(2)
	v_fmac_f64_e32 v[68:69], v[4:5], v[58:59]
	;; [unrolled: 2-line block ×4, first 2 shown]
	v_fmac_f64_e32 v[56:57], v[20:21], v[58:59]
	v_fmac_f64_e32 v[54:55], v[16:17], v[58:59]
	;; [unrolled: 1-line block ×4, first 2 shown]
	v_fma_f64 v[10:11], -v[20:21], v[60:61], v[10:11]
	v_fmac_f64_e32 v[56:57], v[18:19], v[60:61]
	v_fma_f64 v[62:63], -v[16:17], v[60:61], v[66:67]
	v_fmac_f64_e32 v[54:55], v[14:15], v[60:61]
	v_fma_f64 v[64:65], -v[6:7], v[60:61], v[68:69]
	v_fmac_f64_e32 v[52:53], v[4:5], v[60:61]
	v_fma_f64 v[30:31], -v[2:3], v[60:61], v[30:31]
	v_fmac_f64_e32 v[50:51], v[0:1], v[60:61]
	global_load_dwordx4 v[0:3], v[48:49], off offset:2224
	global_load_dwordx4 v[4:7], v[48:49], off offset:2208
	;; [unrolled: 1-line block ×4, first 2 shown]
	s_waitcnt vmcnt(3)
	v_fmac_f64_e32 v[30:31], v[0:1], v[26:27]
	s_waitcnt vmcnt(2)
	v_fmac_f64_e32 v[64:65], v[4:5], v[26:27]
	;; [unrolled: 2-line block ×4, first 2 shown]
	v_fmac_f64_e32 v[56:57], v[20:21], v[26:27]
	v_fmac_f64_e32 v[54:55], v[16:17], v[26:27]
	;; [unrolled: 1-line block ×4, first 2 shown]
	v_fma_f64 v[10:11], -v[20:21], v[28:29], v[10:11]
	v_fmac_f64_e32 v[56:57], v[18:19], v[28:29]
	v_fma_f64 v[58:59], -v[16:17], v[28:29], v[62:63]
	v_fmac_f64_e32 v[54:55], v[14:15], v[28:29]
	v_fma_f64 v[60:61], -v[6:7], v[28:29], v[64:65]
	v_fmac_f64_e32 v[52:53], v[4:5], v[28:29]
	v_fma_f64 v[30:31], -v[2:3], v[28:29], v[30:31]
	v_fmac_f64_e32 v[50:51], v[0:1], v[28:29]
	global_load_dwordx4 v[14:17], v[48:49], off offset:2288
	global_load_dwordx4 v[18:21], v[48:49], off offset:2272
	;; [unrolled: 1-line block ×4, first 2 shown]
	global_load_dword v13, v[8:9], off
	v_add_co_u32_e32 v0, vcc, s5, v48
	v_addc_co_u32_e32 v1, vcc, 0, v49, vcc
	s_waitcnt vmcnt(4)
	v_fmac_f64_e32 v[30:31], v[14:15], v[22:23]
	s_waitcnt vmcnt(3)
	v_fmac_f64_e32 v[60:61], v[18:19], v[22:23]
	;; [unrolled: 2-line block ×4, first 2 shown]
	s_waitcnt vmcnt(0)
	v_subrev_u32_e32 v13, s20, v13
	v_fma_f64 v[2:3], -v[6:7], v[24:25], v[10:11]
	v_fma_f64 v[10:11], -v[16:17], v[24:25], v[30:31]
	v_lshlrev_b32_e32 v30, 2, v13
	v_ashrrev_i32_e32 v31, 31, v30
	v_lshlrev_b64 v[30:31], 4, v[30:31]
	v_add_co_u32_e32 v30, vcc, s4, v30
	v_fmac_f64_e32 v[56:57], v[6:7], v[22:23]
	v_fmac_f64_e32 v[54:55], v[28:29], v[22:23]
	;; [unrolled: 1-line block ×4, first 2 shown]
	v_addc_co_u32_e32 v31, vcc, v12, v31, vcc
	v_fmac_f64_e32 v[56:57], v[4:5], v[24:25]
	v_fma_f64 v[4:5], -v[28:29], v[24:25], v[58:59]
	v_fmac_f64_e32 v[54:55], v[26:27], v[24:25]
	v_fma_f64 v[6:7], -v[20:21], v[24:25], v[60:61]
	v_fmac_f64_e32 v[52:53], v[18:19], v[24:25]
	v_fmac_f64_e32 v[50:51], v[14:15], v[24:25]
	global_load_dwordx4 v[14:17], v[0:1], off
	global_load_dwordx4 v[18:21], v[0:1], off offset:48
	global_load_dwordx4 v[22:25], v[0:1], off offset:32
	;; [unrolled: 1-line block ×6, first 2 shown]
	global_load_dwordx4 v[70:73], v[30:31], off
	s_waitcnt vmcnt(0)
	v_fmac_f64_e32 v[2:3], v[14:15], v[70:71]
	v_fmac_f64_e32 v[56:57], v[16:17], v[70:71]
	;; [unrolled: 1-line block ×7, first 2 shown]
	v_fma_f64 v[30:31], -v[16:17], v[72:73], v[2:3]
	v_fmac_f64_e32 v[56:57], v[14:15], v[72:73]
	v_fma_f64 v[74:75], -v[28:29], v[72:73], v[4:5]
	v_fma_f64 v[6:7], -v[24:25], v[72:73], v[6:7]
	v_fmac_f64_e32 v[52:53], v[22:23], v[72:73]
	v_fma_f64 v[10:11], -v[20:21], v[72:73], v[10:11]
	v_fmac_f64_e32 v[50:51], v[18:19], v[72:73]
	global_load_dwordx4 v[2:5], v[0:1], off offset:112
	global_load_dwordx4 v[14:17], v[0:1], off offset:96
	;; [unrolled: 1-line block ×4, first 2 shown]
	v_fmac_f64_e32 v[54:55], v[28:29], v[70:71]
	v_fmac_f64_e32 v[54:55], v[26:27], v[72:73]
	s_waitcnt vmcnt(3)
	v_fmac_f64_e32 v[10:11], v[2:3], v[66:67]
	s_waitcnt vmcnt(2)
	;; [unrolled: 2-line block ×4, first 2 shown]
	v_fmac_f64_e32 v[30:31], v[22:23], v[66:67]
	v_fmac_f64_e32 v[56:57], v[24:25], v[66:67]
	;; [unrolled: 1-line block ×5, first 2 shown]
	v_fma_f64 v[26:27], -v[24:25], v[68:69], v[30:31]
	v_fmac_f64_e32 v[56:57], v[22:23], v[68:69]
	v_fma_f64 v[28:29], -v[20:21], v[68:69], v[74:75]
	v_fmac_f64_e32 v[54:55], v[18:19], v[68:69]
	;; [unrolled: 2-line block ×4, first 2 shown]
	global_load_dwordx4 v[2:5], v[0:1], off offset:176
	global_load_dwordx4 v[14:17], v[0:1], off offset:160
	;; [unrolled: 1-line block ×4, first 2 shown]
	s_waitcnt vmcnt(3)
	v_fmac_f64_e32 v[10:11], v[2:3], v[62:63]
	s_waitcnt vmcnt(2)
	v_fmac_f64_e32 v[6:7], v[14:15], v[62:63]
	s_waitcnt vmcnt(1)
	v_fmac_f64_e32 v[28:29], v[18:19], v[62:63]
	s_waitcnt vmcnt(0)
	v_fmac_f64_e32 v[26:27], v[22:23], v[62:63]
	v_fmac_f64_e32 v[56:57], v[24:25], v[62:63]
	v_fmac_f64_e32 v[54:55], v[20:21], v[62:63]
	;; [unrolled: 1-line block ×3, first 2 shown]
	v_fma_f64 v[26:27], -v[24:25], v[64:65], v[26:27]
	v_fmac_f64_e32 v[56:57], v[22:23], v[64:65]
	v_fma_f64 v[28:29], -v[20:21], v[64:65], v[28:29]
	v_fmac_f64_e32 v[54:55], v[18:19], v[64:65]
	;; [unrolled: 2-line block ×4, first 2 shown]
	global_load_dwordx4 v[14:17], v[0:1], off offset:240
	global_load_dwordx4 v[18:21], v[0:1], off offset:224
	global_load_dwordx4 v[22:25], v[0:1], off offset:208
	global_load_dwordx4 v[4:7], v[0:1], off offset:192
	global_load_dword v13, v[8:9], off offset:32
	v_fmac_f64_e32 v[50:51], v[2:3], v[64:65]
	s_waitcnt vmcnt(4)
	v_fmac_f64_e32 v[10:11], v[14:15], v[58:59]
	s_waitcnt vmcnt(3)
	;; [unrolled: 2-line block ×5, first 2 shown]
	v_subrev_u32_e32 v13, s20, v13
	v_fma_f64 v[2:3], -v[6:7], v[60:61], v[26:27]
	v_fmac_f64_e32 v[56:57], v[6:7], v[58:59]
	v_fma_f64 v[6:7], -v[20:21], v[60:61], v[30:31]
	v_lshlrev_b32_e32 v30, 2, v13
	v_ashrrev_i32_e32 v31, 31, v30
	v_lshlrev_b64 v[30:31], 4, v[30:31]
	v_add_co_u32_e32 v30, vcc, s4, v30
	v_fmac_f64_e32 v[54:55], v[24:25], v[58:59]
	v_fmac_f64_e32 v[52:53], v[20:21], v[58:59]
	v_fmac_f64_e32 v[50:51], v[16:17], v[58:59]
	v_addc_co_u32_e32 v31, vcc, v12, v31, vcc
	v_fmac_f64_e32 v[56:57], v[4:5], v[60:61]
	v_fma_f64 v[4:5], -v[24:25], v[60:61], v[28:29]
	v_fmac_f64_e32 v[54:55], v[22:23], v[60:61]
	v_fmac_f64_e32 v[52:53], v[18:19], v[60:61]
	v_fma_f64 v[10:11], -v[16:17], v[60:61], v[10:11]
	v_fmac_f64_e32 v[50:51], v[14:15], v[60:61]
	global_load_dwordx4 v[14:17], v[0:1], off offset:2096
	global_load_dwordx4 v[18:21], v[0:1], off offset:2080
	;; [unrolled: 1-line block ×7, first 2 shown]
	global_load_dwordx4 v[70:73], v[30:31], off
	v_add_co_u32_e32 v44, vcc, 32, v44
	v_addc_co_u32_e32 v45, vcc, 0, v45, vcc
	v_add_co_u32_e32 v8, vcc, 0x80, v8
	v_addc_co_u32_e32 v9, vcc, 0, v9, vcc
	v_cmp_ge_i64_e64 s[0:1], v[44:45], v[46:47]
	v_add_co_u32_e32 v48, vcc, 0x2000, v48
	v_addc_co_u32_e32 v49, vcc, 0, v49, vcc
	s_or_b64 s[10:11], s[0:1], s[10:11]
	s_waitcnt vmcnt(0)
	v_fmac_f64_e32 v[2:3], v[26:27], v[70:71]
	v_fmac_f64_e32 v[56:57], v[28:29], v[70:71]
	;; [unrolled: 1-line block ×8, first 2 shown]
	v_fma_f64 v[30:31], -v[28:29], v[72:73], v[2:3]
	v_fmac_f64_e32 v[56:57], v[26:27], v[72:73]
	v_fma_f64 v[26:27], -v[24:25], v[72:73], v[4:5]
	v_fmac_f64_e32 v[54:55], v[22:23], v[72:73]
	v_fma_f64 v[6:7], -v[20:21], v[72:73], v[6:7]
	v_fmac_f64_e32 v[52:53], v[18:19], v[72:73]
	v_fma_f64 v[10:11], -v[16:17], v[72:73], v[10:11]
	v_fmac_f64_e32 v[50:51], v[14:15], v[72:73]
	global_load_dwordx4 v[2:5], v[0:1], off offset:2160
	global_load_dwordx4 v[14:17], v[0:1], off offset:2144
	global_load_dwordx4 v[18:21], v[0:1], off offset:2128
	global_load_dwordx4 v[22:25], v[0:1], off offset:2112
	s_waitcnt vmcnt(3)
	v_fmac_f64_e32 v[10:11], v[2:3], v[62:63]
	s_waitcnt vmcnt(2)
	v_fmac_f64_e32 v[6:7], v[14:15], v[62:63]
	s_waitcnt vmcnt(1)
	v_fmac_f64_e32 v[26:27], v[18:19], v[62:63]
	s_waitcnt vmcnt(0)
	v_fmac_f64_e32 v[30:31], v[22:23], v[62:63]
	v_fmac_f64_e32 v[56:57], v[24:25], v[62:63]
	v_fmac_f64_e32 v[54:55], v[20:21], v[62:63]
	v_fmac_f64_e32 v[52:53], v[16:17], v[62:63]
	v_fmac_f64_e32 v[50:51], v[4:5], v[62:63]
	v_fma_f64 v[28:29], -v[24:25], v[64:65], v[30:31]
	v_fmac_f64_e32 v[56:57], v[22:23], v[64:65]
	v_fma_f64 v[26:27], -v[20:21], v[64:65], v[26:27]
	v_fmac_f64_e32 v[54:55], v[18:19], v[64:65]
	v_fma_f64 v[6:7], -v[16:17], v[64:65], v[6:7]
	v_fmac_f64_e32 v[52:53], v[14:15], v[64:65]
	v_fma_f64 v[10:11], -v[4:5], v[64:65], v[10:11]
	v_fmac_f64_e32 v[50:51], v[2:3], v[64:65]
	global_load_dwordx4 v[2:5], v[0:1], off offset:2224
	global_load_dwordx4 v[14:17], v[0:1], off offset:2208
	global_load_dwordx4 v[18:21], v[0:1], off offset:2192
	global_load_dwordx4 v[22:25], v[0:1], off offset:2176
	s_waitcnt vmcnt(3)
	v_fmac_f64_e32 v[10:11], v[2:3], v[58:59]
	s_waitcnt vmcnt(2)
	v_fmac_f64_e32 v[6:7], v[14:15], v[58:59]
	s_waitcnt vmcnt(1)
	v_fmac_f64_e32 v[26:27], v[18:19], v[58:59]
	s_waitcnt vmcnt(0)
	v_fmac_f64_e32 v[28:29], v[22:23], v[58:59]
	v_fmac_f64_e32 v[56:57], v[24:25], v[58:59]
	v_fmac_f64_e32 v[54:55], v[20:21], v[58:59]
	v_fmac_f64_e32 v[52:53], v[16:17], v[58:59]
	v_fmac_f64_e32 v[50:51], v[4:5], v[58:59]
	;; [unrolled: 24-line block ×3, first 2 shown]
	v_fma_f64 v[64:65], -v[24:25], v[68:69], v[28:29]
	v_fmac_f64_e32 v[56:57], v[22:23], v[68:69]
	v_fma_f64 v[62:63], -v[20:21], v[68:69], v[26:27]
	v_fmac_f64_e32 v[54:55], v[18:19], v[68:69]
	;; [unrolled: 2-line block ×4, first 2 shown]
	s_andn2_b64 exec, exec, s[10:11]
	s_cbranch_execnz .LBB36_35
; %bb.36:
	s_or_b64 exec, exec, s[10:11]
.LBB36_37:
	s_or_b64 exec, exec, s[8:9]
.LBB36_38:
	s_or_b64 exec, exec, s[2:3]
.LBB36_39:
	v_mov_b32_dpp v0, v64 row_shr:1 row_mask:0xf bank_mask:0xf
	v_mov_b32_dpp v1, v65 row_shr:1 row_mask:0xf bank_mask:0xf
	;; [unrolled: 1-line block ×16, first 2 shown]
	v_add_f64 v[0:1], v[64:65], v[0:1]
	v_add_f64 v[4:5], v[56:57], v[4:5]
	;; [unrolled: 1-line block ×8, first 2 shown]
	v_mov_b32_dpp v2, v0 row_shr:2 row_mask:0xf bank_mask:0xf
	v_mov_b32_dpp v3, v1 row_shr:2 row_mask:0xf bank_mask:0xf
	;; [unrolled: 1-line block ×16, first 2 shown]
	v_add_f64 v[0:1], v[0:1], v[2:3]
	v_add_f64 v[4:5], v[4:5], v[6:7]
	;; [unrolled: 1-line block ×8, first 2 shown]
	v_mov_b32_dpp v2, v0 row_shr:4 row_mask:0xf bank_mask:0xe
	v_mov_b32_dpp v3, v1 row_shr:4 row_mask:0xf bank_mask:0xe
	;; [unrolled: 1-line block ×16, first 2 shown]
	v_cmp_eq_u32_e32 vcc, 7, v42
	s_and_b64 exec, exec, vcc
	s_cbranch_execz .LBB36_12
; %bb.40:
	s_load_dwordx2 s[2:3], s[6:7], 0x60
	v_add_f64 v[42:43], v[0:1], v[2:3]
	v_add_f64 v[0:1], v[4:5], v[6:7]
	;; [unrolled: 1-line block ×8, first 2 shown]
	v_cmp_eq_f64_e32 vcc, 0, v[32:33]
	v_cmp_eq_f64_e64 s[0:1], 0, v[34:35]
	v_mul_f64 v[12:13], v[0:1], -v[38:39]
	v_mul_f64 v[14:15], v[36:37], v[0:1]
	v_mul_f64 v[8:9], v[2:3], -v[38:39]
	v_mul_f64 v[10:11], v[36:37], v[2:3]
	;; [unrolled: 2-line block ×4, first 2 shown]
	s_and_b64 s[0:1], vcc, s[0:1]
	v_fmac_f64_e32 v[12:13], v[36:37], v[42:43]
	v_fmac_f64_e32 v[14:15], v[38:39], v[42:43]
	v_lshlrev_b32_e32 v16, 2, v40
	v_fmac_f64_e32 v[8:9], v[36:37], v[44:45]
	v_fmac_f64_e32 v[10:11], v[38:39], v[44:45]
	;; [unrolled: 1-line block ×6, first 2 shown]
	s_and_saveexec_b64 s[4:5], s[0:1]
	s_xor_b64 s[0:1], exec, s[4:5]
	s_cbranch_execz .LBB36_42
; %bb.41:
	v_ashrrev_i32_e32 v17, 31, v16
	v_lshlrev_b64 v[16:17], 4, v[16:17]
	s_waitcnt lgkmcnt(0)
	v_mov_b32_e32 v18, s3
	v_add_co_u32_e32 v16, vcc, s2, v16
	v_addc_co_u32_e32 v17, vcc, v18, v17, vcc
	global_store_dwordx4 v[16:17], v[12:15], off
	global_store_dwordx4 v[16:17], v[8:11], off offset:16
	global_store_dwordx4 v[16:17], v[4:7], off offset:32
	;; [unrolled: 1-line block ×3, first 2 shown]
                                        ; implicit-def: $vgpr32_vgpr33
                                        ; implicit-def: $vgpr34_vgpr35
                                        ; implicit-def: $vgpr12_vgpr13
                                        ; implicit-def: $vgpr16
                                        ; implicit-def: $vgpr8_vgpr9
                                        ; implicit-def: $vgpr4_vgpr5
                                        ; implicit-def: $vgpr0_vgpr1
.LBB36_42:
	s_andn2_saveexec_b64 s[0:1], s[0:1]
	s_cbranch_execz .LBB36_12
; %bb.43:
	v_ashrrev_i32_e32 v17, 31, v16
	v_lshlrev_b64 v[16:17], 4, v[16:17]
	s_waitcnt lgkmcnt(0)
	v_mov_b32_e32 v18, s3
	v_add_co_u32_e32 v36, vcc, s2, v16
	v_addc_co_u32_e32 v37, vcc, v18, v17, vcc
	global_load_dwordx4 v[16:19], v[36:37], off
	global_load_dwordx4 v[20:23], v[36:37], off offset:16
	global_load_dwordx4 v[24:27], v[36:37], off offset:32
	global_load_dwordx4 v[28:31], v[36:37], off offset:48
	s_waitcnt vmcnt(3)
	v_fmac_f64_e32 v[12:13], v[32:33], v[16:17]
	v_fmac_f64_e32 v[14:15], v[34:35], v[16:17]
	s_waitcnt vmcnt(2)
	v_fmac_f64_e32 v[8:9], v[32:33], v[20:21]
	v_fmac_f64_e32 v[10:11], v[34:35], v[20:21]
	;; [unrolled: 3-line block ×4, first 2 shown]
	v_fma_f64 v[12:13], -v[34:35], v[18:19], v[12:13]
	v_fmac_f64_e32 v[14:15], v[32:33], v[18:19]
	v_fma_f64 v[8:9], -v[34:35], v[22:23], v[8:9]
	v_fmac_f64_e32 v[10:11], v[32:33], v[22:23]
	;; [unrolled: 2-line block ×4, first 2 shown]
	global_store_dwordx4 v[36:37], v[12:15], off
	global_store_dwordx4 v[36:37], v[8:11], off offset:16
	global_store_dwordx4 v[36:37], v[4:7], off offset:32
	;; [unrolled: 1-line block ×3, first 2 shown]
	s_endpgm
	.section	.rodata,"a",@progbits
	.p2align	6, 0x0
	.amdhsa_kernel _ZN9rocsparseL18bsrxmvn_4x4_kernelILj128ELj8E21rocsparse_complex_numIdEliS2_S2_S2_EEvT3_20rocsparse_direction_NS_24const_host_device_scalarIT1_EES3_PKS3_PKT2_SC_S9_PKT4_PKT5_S7_PT6_21rocsparse_index_base_b
		.amdhsa_group_segment_fixed_size 2048
		.amdhsa_private_segment_fixed_size 0
		.amdhsa_kernarg_size 112
		.amdhsa_user_sgpr_count 8
		.amdhsa_user_sgpr_private_segment_buffer 1
		.amdhsa_user_sgpr_dispatch_ptr 1
		.amdhsa_user_sgpr_queue_ptr 0
		.amdhsa_user_sgpr_kernarg_segment_ptr 1
		.amdhsa_user_sgpr_dispatch_id 0
		.amdhsa_user_sgpr_flat_scratch_init 0
		.amdhsa_user_sgpr_kernarg_preload_length 0
		.amdhsa_user_sgpr_kernarg_preload_offset 0
		.amdhsa_user_sgpr_private_segment_size 0
		.amdhsa_uses_dynamic_stack 0
		.amdhsa_system_sgpr_private_segment_wavefront_offset 0
		.amdhsa_system_sgpr_workgroup_id_x 1
		.amdhsa_system_sgpr_workgroup_id_y 0
		.amdhsa_system_sgpr_workgroup_id_z 0
		.amdhsa_system_sgpr_workgroup_info 0
		.amdhsa_system_vgpr_workitem_id 2
		.amdhsa_next_free_vgpr 130
		.amdhsa_next_free_sgpr 22
		.amdhsa_accum_offset 132
		.amdhsa_reserve_vcc 1
		.amdhsa_reserve_flat_scratch 0
		.amdhsa_float_round_mode_32 0
		.amdhsa_float_round_mode_16_64 0
		.amdhsa_float_denorm_mode_32 3
		.amdhsa_float_denorm_mode_16_64 3
		.amdhsa_dx10_clamp 1
		.amdhsa_ieee_mode 1
		.amdhsa_fp16_overflow 0
		.amdhsa_tg_split 0
		.amdhsa_exception_fp_ieee_invalid_op 0
		.amdhsa_exception_fp_denorm_src 0
		.amdhsa_exception_fp_ieee_div_zero 0
		.amdhsa_exception_fp_ieee_overflow 0
		.amdhsa_exception_fp_ieee_underflow 0
		.amdhsa_exception_fp_ieee_inexact 0
		.amdhsa_exception_int_div_zero 0
	.end_amdhsa_kernel
	.section	.text._ZN9rocsparseL18bsrxmvn_4x4_kernelILj128ELj8E21rocsparse_complex_numIdEliS2_S2_S2_EEvT3_20rocsparse_direction_NS_24const_host_device_scalarIT1_EES3_PKS3_PKT2_SC_S9_PKT4_PKT5_S7_PT6_21rocsparse_index_base_b,"axG",@progbits,_ZN9rocsparseL18bsrxmvn_4x4_kernelILj128ELj8E21rocsparse_complex_numIdEliS2_S2_S2_EEvT3_20rocsparse_direction_NS_24const_host_device_scalarIT1_EES3_PKS3_PKT2_SC_S9_PKT4_PKT5_S7_PT6_21rocsparse_index_base_b,comdat
.Lfunc_end36:
	.size	_ZN9rocsparseL18bsrxmvn_4x4_kernelILj128ELj8E21rocsparse_complex_numIdEliS2_S2_S2_EEvT3_20rocsparse_direction_NS_24const_host_device_scalarIT1_EES3_PKS3_PKT2_SC_S9_PKT4_PKT5_S7_PT6_21rocsparse_index_base_b, .Lfunc_end36-_ZN9rocsparseL18bsrxmvn_4x4_kernelILj128ELj8E21rocsparse_complex_numIdEliS2_S2_S2_EEvT3_20rocsparse_direction_NS_24const_host_device_scalarIT1_EES3_PKS3_PKT2_SC_S9_PKT4_PKT5_S7_PT6_21rocsparse_index_base_b
                                        ; -- End function
	.section	.AMDGPU.csdata,"",@progbits
; Kernel info:
; codeLenInByte = 8292
; NumSgprs: 26
; NumVgprs: 130
; NumAgprs: 0
; TotalNumVgprs: 130
; ScratchSize: 0
; MemoryBound: 1
; FloatMode: 240
; IeeeMode: 1
; LDSByteSize: 2048 bytes/workgroup (compile time only)
; SGPRBlocks: 3
; VGPRBlocks: 16
; NumSGPRsForWavesPerEU: 26
; NumVGPRsForWavesPerEU: 130
; AccumOffset: 132
; Occupancy: 3
; WaveLimiterHint : 1
; COMPUTE_PGM_RSRC2:SCRATCH_EN: 0
; COMPUTE_PGM_RSRC2:USER_SGPR: 8
; COMPUTE_PGM_RSRC2:TRAP_HANDLER: 0
; COMPUTE_PGM_RSRC2:TGID_X_EN: 1
; COMPUTE_PGM_RSRC2:TGID_Y_EN: 0
; COMPUTE_PGM_RSRC2:TGID_Z_EN: 0
; COMPUTE_PGM_RSRC2:TIDIG_COMP_CNT: 2
; COMPUTE_PGM_RSRC3_GFX90A:ACCUM_OFFSET: 32
; COMPUTE_PGM_RSRC3_GFX90A:TG_SPLIT: 0
	.section	.text._ZN9rocsparseL18bsrxmvn_4x4_kernelILj128ELj16E21rocsparse_complex_numIdEliS2_S2_S2_EEvT3_20rocsparse_direction_NS_24const_host_device_scalarIT1_EES3_PKS3_PKT2_SC_S9_PKT4_PKT5_S7_PT6_21rocsparse_index_base_b,"axG",@progbits,_ZN9rocsparseL18bsrxmvn_4x4_kernelILj128ELj16E21rocsparse_complex_numIdEliS2_S2_S2_EEvT3_20rocsparse_direction_NS_24const_host_device_scalarIT1_EES3_PKS3_PKT2_SC_S9_PKT4_PKT5_S7_PT6_21rocsparse_index_base_b,comdat
	.globl	_ZN9rocsparseL18bsrxmvn_4x4_kernelILj128ELj16E21rocsparse_complex_numIdEliS2_S2_S2_EEvT3_20rocsparse_direction_NS_24const_host_device_scalarIT1_EES3_PKS3_PKT2_SC_S9_PKT4_PKT5_S7_PT6_21rocsparse_index_base_b ; -- Begin function _ZN9rocsparseL18bsrxmvn_4x4_kernelILj128ELj16E21rocsparse_complex_numIdEliS2_S2_S2_EEvT3_20rocsparse_direction_NS_24const_host_device_scalarIT1_EES3_PKS3_PKT2_SC_S9_PKT4_PKT5_S7_PT6_21rocsparse_index_base_b
	.p2align	8
	.type	_ZN9rocsparseL18bsrxmvn_4x4_kernelILj128ELj16E21rocsparse_complex_numIdEliS2_S2_S2_EEvT3_20rocsparse_direction_NS_24const_host_device_scalarIT1_EES3_PKS3_PKT2_SC_S9_PKT4_PKT5_S7_PT6_21rocsparse_index_base_b,@function
_ZN9rocsparseL18bsrxmvn_4x4_kernelILj128ELj16E21rocsparse_complex_numIdEliS2_S2_S2_EEvT3_20rocsparse_direction_NS_24const_host_device_scalarIT1_EES3_PKS3_PKT2_SC_S9_PKT4_PKT5_S7_PT6_21rocsparse_index_base_b: ; @_ZN9rocsparseL18bsrxmvn_4x4_kernelILj128ELj16E21rocsparse_complex_numIdEliS2_S2_S2_EEvT3_20rocsparse_direction_NS_24const_host_device_scalarIT1_EES3_PKS3_PKT2_SC_S9_PKT4_PKT5_S7_PT6_21rocsparse_index_base_b
; %bb.0:
	s_load_dwordx2 s[20:21], s[6:7], 0x68
	s_load_dwordx4 s[12:15], s[6:7], 0x8
	s_load_dwordx2 s[10:11], s[4:5], 0x4
	s_load_dwordx4 s[16:19], s[6:7], 0x50
	s_mov_b64 s[2:3], src_shared_base
	v_bfe_u32 v2, v0, 10, 10
	s_waitcnt lgkmcnt(0)
	s_bitcmp1_b32 s21, 0
	s_cselect_b64 s[0:1], -1, 0
	s_and_b64 vcc, s[0:1], exec
	s_cselect_b32 s2, s3, s13
	s_lshr_b32 s4, s10, 16
	v_and_b32_e32 v1, 0x3ff, v0
	s_mul_i32 s4, s4, s11
	v_mul_u32_u24_e32 v2, s11, v2
	v_mad_u32_u24 v2, s4, v1, v2
	v_bfe_u32 v0, v0, 20, 10
	v_add_lshl_u32 v0, v2, v0, 3
	v_mov_b32_e32 v6, s12
	v_add_u32_e32 v7, 0x400, v0
	v_pk_mov_b32 v[2:3], s[12:13], s[12:13] op_sel:[0,1]
	v_pk_mov_b32 v[4:5], s[16:17], s[16:17] op_sel:[0,1]
	ds_write2st64_b64 v0, v[4:5], v[2:3] offset1:2
	v_cndmask_b32_e64 v2, v6, v7, s[0:1]
	v_mov_b32_e32 v3, s2
	flat_load_dwordx2 v[36:37], v[2:3]
	s_xor_b64 s[4:5], s[0:1], -1
	v_pk_mov_b32 v[38:39], s[14:15], s[14:15] op_sel:[0,1]
	s_cbranch_vccnz .LBB37_2
; %bb.1:
	v_pk_mov_b32 v[2:3], s[12:13], s[12:13] op_sel:[0,1]
	flat_load_dwordx2 v[38:39], v[2:3] offset:8
.LBB37_2:
	s_and_b64 s[10:11], s[0:1], exec
	s_cselect_b32 s2, s3, s17
	v_mov_b32_e32 v2, s16
	v_cndmask_b32_e64 v2, v2, v0, s[0:1]
	v_mov_b32_e32 v3, s2
	flat_load_dwordx2 v[32:33], v[2:3]
	s_andn2_b64 vcc, exec, s[4:5]
	v_pk_mov_b32 v[34:35], s[18:19], s[18:19] op_sel:[0,1]
	s_cbranch_vccnz .LBB37_4
; %bb.3:
	v_pk_mov_b32 v[2:3], s[16:17], s[16:17] op_sel:[0,1]
	flat_load_dwordx2 v[34:35], v[2:3] offset:8
.LBB37_4:
	s_waitcnt vmcnt(0) lgkmcnt(0)
	v_cmp_eq_f64_e32 vcc, 0, v[36:37]
	v_cmp_eq_f64_e64 s[0:1], 0, v[38:39]
	s_and_b64 s[4:5], vcc, s[0:1]
	s_mov_b64 s[0:1], -1
	s_and_saveexec_b64 s[2:3], s[4:5]
; %bb.5:
	v_cmp_neq_f64_e32 vcc, 1.0, v[32:33]
	v_cmp_neq_f64_e64 s[0:1], 0, v[34:35]
	s_or_b64 s[0:1], vcc, s[0:1]
	s_orn2_b64 s[0:1], s[0:1], exec
; %bb.6:
	s_or_b64 exec, exec, s[2:3]
	s_and_saveexec_b64 s[2:3], s[0:1]
	s_cbranch_execz .LBB37_12
; %bb.7:
	s_load_dwordx2 s[4:5], s[6:7], 0x20
	s_load_dwordx2 s[0:1], s[6:7], 0x0
	v_lshrrev_b32_e32 v0, 4, v1
	v_lshl_or_b32 v40, s8, 3, v0
	s_mov_b64 s[2:3], 0
	s_waitcnt lgkmcnt(0)
	s_cmp_lg_u64 s[4:5], 0
	s_cbranch_scc0 .LBB37_13
; %bb.8:
	s_load_dword s8, s[6:7], 0x18
                                        ; implicit-def: $vgpr0
	s_waitcnt lgkmcnt(0)
	v_cmp_gt_i32_e32 vcc, s8, v40
	s_and_saveexec_b64 s[8:9], vcc
	s_xor_b64 s[8:9], exec, s[8:9]
	s_cbranch_execz .LBB37_10
; %bb.9:
	v_ashrrev_i32_e32 v41, 31, v40
	v_lshlrev_b64 v[2:3], 2, v[40:41]
	v_mov_b32_e32 v0, s5
	v_add_co_u32_e32 v2, vcc, s4, v2
	v_addc_co_u32_e32 v3, vcc, v0, v3, vcc
	global_load_dword v0, v[2:3], off
	s_mov_b64 s[2:3], exec
	s_waitcnt vmcnt(0)
	v_subrev_u32_e32 v0, s20, v0
.LBB37_10:
	s_or_b64 exec, exec, s[8:9]
	s_branch .LBB37_14
.LBB37_11:
	v_cmp_gt_i32_e32 vcc, s0, v40
	s_andn2_b64 s[2:3], s[2:3], exec
	s_and_b64 s[4:5], vcc, exec
	s_or_b64 s[2:3], s[2:3], s[4:5]
	s_and_b64 exec, exec, s[2:3]
	s_cbranch_execnz .LBB37_15
.LBB37_12:
	s_endpgm
.LBB37_13:
                                        ; implicit-def: $vgpr0
	s_cbranch_execnz .LBB37_11
.LBB37_14:
	v_mov_b32_e32 v40, v0
	s_and_b64 exec, exec, s[2:3]
	s_cbranch_execz .LBB37_12
.LBB37_15:
	s_load_dwordx8 s[8:15], s[6:7], 0x28
	v_ashrrev_i32_e32 v41, 31, v40
	v_lshlrev_b64 v[2:3], 3, v[40:41]
	v_and_b32_e32 v42, 15, v1
	s_load_dwordx2 s[4:5], s[6:7], 0x48
	s_waitcnt lgkmcnt(0)
	v_mov_b32_e32 v0, s9
	v_add_co_u32_e32 v4, vcc, s8, v2
	v_addc_co_u32_e32 v5, vcc, v0, v3, vcc
	v_add_co_u32_e32 v0, vcc, 8, v4
	global_load_dwordx2 v[16:17], v[4:5], off
	v_addc_co_u32_e32 v4, vcc, 0, v5, vcc
	v_mov_b32_e32 v5, s11
	v_add_co_u32_e32 v2, vcc, s10, v2
	s_cmp_eq_u64 s[10:11], 0
	v_addc_co_u32_e32 v3, vcc, v5, v3, vcc
	s_cselect_b64 vcc, -1, 0
	v_cndmask_b32_e32 v3, v3, v4, vcc
	v_cndmask_b32_e32 v2, v2, v0, vcc
	global_load_dwordx2 v[2:3], v[2:3], off
	v_mov_b32_e32 v4, s15
	s_mov_b32 s18, 0
	s_cmp_eq_u32 s1, 1
	s_waitcnt vmcnt(1)
	v_subrev_co_u32_e32 v0, vcc, s20, v16
	v_subbrev_co_u32_e32 v1, vcc, 0, v17, vcc
	v_add_co_u32_e32 v46, vcc, v0, v42
	v_addc_co_u32_e32 v47, vcc, 0, v1, vcc
	v_lshlrev_b64 v[0:1], 8, v[46:47]
	s_waitcnt vmcnt(0)
	v_subrev_co_u32_e32 v48, vcc, s20, v2
	v_subbrev_co_u32_e32 v49, vcc, 0, v3, vcc
	v_add_co_u32_e32 v50, vcc, s14, v0
	v_addc_co_u32_e32 v51, vcc, v4, v1, vcc
	v_cmp_lt_i64_e64 s[0:1], v[46:47], v[48:49]
	s_cbranch_scc1 .LBB37_27
; %bb.16:
	v_pk_mov_b32 v[56:57], 0, 0
	s_mov_b64 s[8:9], 0
	v_pk_mov_b32 v[64:65], v[56:57], v[56:57] op_sel:[0,1]
	v_pk_mov_b32 v[58:59], v[56:57], v[56:57] op_sel:[0,1]
	;; [unrolled: 1-line block ×7, first 2 shown]
	s_and_saveexec_b64 s[10:11], s[0:1]
	s_cbranch_execz .LBB37_26
; %bb.17:
	v_or_b32_e32 v0, 16, v42
	v_mov_b32_e32 v1, s18
	v_subrev_co_u32_e32 v0, vcc, s20, v0
	v_subb_co_u32_e32 v1, vcc, 0, v1, vcc
	v_add_co_u32_e32 v0, vcc, v0, v16
	v_addc_co_u32_e32 v1, vcc, v1, v17, vcc
	v_cmp_gt_i64_e32 vcc, v[0:1], v[48:49]
	v_cndmask_b32_e32 v1, v49, v1, vcc
	v_cndmask_b32_e32 v0, v48, v0, vcc
	v_mov_b32_e32 v4, s18
	v_sub_co_u32_e32 v5, vcc, s20, v42
	v_not_b32_e32 v3, v16
	v_subbrev_co_u32_e32 v4, vcc, 0, v4, vcc
	v_not_b32_e32 v2, v17
	v_add_co_u32_e32 v3, vcc, v5, v3
	v_addc_co_u32_e32 v2, vcc, v4, v2, vcc
	v_add_co_u32_e32 v22, vcc, v3, v0
	v_lshrrev_b32_e32 v0, 4, v22
	v_add_u32_e32 v0, 1, v0
	v_addc_co_u32_e32 v23, vcc, v2, v1, vcc
	v_and_b32_e32 v0, 3, v0
	v_pk_mov_b32 v[54:55], 0, 0
	v_cmp_ne_u32_e32 vcc, 0, v0
	s_mov_b64 s[16:17], 0
	v_pk_mov_b32 v[62:63], v[54:55], v[54:55] op_sel:[0,1]
	v_pk_mov_b32 v[52:53], v[54:55], v[54:55] op_sel:[0,1]
	;; [unrolled: 1-line block ×9, first 2 shown]
	s_and_saveexec_b64 s[14:15], vcc
	s_cbranch_execz .LBB37_21
; %bb.18:
	v_lshlrev_b64 v[2:3], 2, v[46:47]
	v_mov_b32_e32 v1, s13
	v_add_co_u32_e32 v26, vcc, s12, v2
	v_pk_mov_b32 v[56:57], 0, 0
	v_mov_b32_e32 v25, 0
	v_addc_co_u32_e32 v27, vcc, v1, v3, vcc
	v_lshlrev_b32_e32 v24, 2, v0
	s_movk_i32 s19, 0x1000
	v_mov_b32_e32 v28, s5
	v_pk_mov_b32 v[20:21], v[46:47], v[46:47] op_sel:[0,1]
	v_pk_mov_b32 v[18:19], v[50:51], v[50:51] op_sel:[0,1]
	;; [unrolled: 1-line block ×9, first 2 shown]
.LBB37_19:                              ; =>This Inner Loop Header: Depth=1
	global_load_dword v29, v[26:27], off
	global_load_dwordx4 v[0:3], v[18:19], off offset:16
	global_load_dwordx4 v[4:7], v[18:19], off
	global_load_dwordx4 v[8:11], v[18:19], off offset:80
	global_load_dwordx4 v[12:15], v[18:19], off offset:64
	;; [unrolled: 1-line block ×14, first 2 shown]
	v_add_co_u32_e32 v18, vcc, s19, v18
	v_addc_co_u32_e32 v19, vcc, 0, v19, vcc
	s_waitcnt vmcnt(16)
	v_subrev_u32_e32 v29, s20, v29
	v_lshlrev_b32_e32 v30, 2, v29
	v_ashrrev_i32_e32 v31, 31, v30
	v_lshlrev_b64 v[30:31], 4, v[30:31]
	v_add_co_u32_e64 v30, s[2:3], s4, v30
	v_addc_co_u32_e64 v31, s[2:3], v28, v31, s[2:3]
	global_load_dwordx4 v[114:117], v[30:31], off
	global_load_dwordx4 v[118:121], v[30:31], off offset:16
	global_load_dwordx4 v[122:125], v[30:31], off offset:32
	;; [unrolled: 1-line block ×3, first 2 shown]
	v_add_co_u32_e64 v20, s[2:3], 16, v20
	v_addc_co_u32_e64 v21, s[2:3], 0, v21, s[2:3]
	v_add_co_u32_e64 v26, s[2:3], 64, v26
	v_addc_co_u32_e64 v27, s[2:3], 0, v27, s[2:3]
	v_add_co_u32_e64 v24, s[2:3], -4, v24
	v_addc_co_u32_e64 v25, s[2:3], -1, v25, s[2:3]
	v_cmp_eq_u64_e32 vcc, 0, v[24:25]
	s_or_b64 s[16:17], vcc, s[16:17]
	s_waitcnt vmcnt(3)
	v_fmac_f64_e32 v[64:65], v[4:5], v[114:115]
	v_fmac_f64_e32 v[56:57], v[6:7], v[114:115]
	v_fmac_f64_e32 v[62:63], v[12:13], v[114:115]
	v_fmac_f64_e32 v[54:55], v[14:15], v[114:115]
	v_fmac_f64_e32 v[60:61], v[70:71], v[114:115]
	v_fmac_f64_e32 v[52:53], v[72:73], v[114:115]
	v_fmac_f64_e32 v[58:59], v[74:75], v[114:115]
	v_fmac_f64_e32 v[44:45], v[76:77], v[114:115]
	v_fma_f64 v[6:7], -v[6:7], v[116:117], v[64:65]
	v_fmac_f64_e32 v[56:57], v[4:5], v[116:117]
	v_fma_f64 v[4:5], -v[14:15], v[116:117], v[62:63]
	v_fmac_f64_e32 v[54:55], v[12:13], v[116:117]
	v_fma_f64 v[12:13], -v[72:73], v[116:117], v[60:61]
	v_fmac_f64_e32 v[52:53], v[70:71], v[116:117]
	v_fma_f64 v[14:15], -v[76:77], v[116:117], v[58:59]
	v_fmac_f64_e32 v[44:45], v[74:75], v[116:117]
	s_waitcnt vmcnt(2)
	v_fmac_f64_e32 v[6:7], v[0:1], v[118:119]
	v_fmac_f64_e32 v[56:57], v[2:3], v[118:119]
	v_fmac_f64_e32 v[4:5], v[8:9], v[118:119]
	v_fmac_f64_e32 v[54:55], v[10:11], v[118:119]
	v_fmac_f64_e32 v[12:13], v[66:67], v[118:119]
	v_fmac_f64_e32 v[52:53], v[68:69], v[118:119]
	v_fmac_f64_e32 v[14:15], v[78:79], v[118:119]
	v_fmac_f64_e32 v[44:45], v[80:81], v[118:119]
	v_fma_f64 v[2:3], -v[2:3], v[120:121], v[6:7]
	v_fmac_f64_e32 v[56:57], v[0:1], v[120:121]
	v_fma_f64 v[0:1], -v[10:11], v[120:121], v[4:5]
	v_fmac_f64_e32 v[54:55], v[8:9], v[120:121]
	v_fma_f64 v[4:5], -v[68:69], v[120:121], v[12:13]
	v_fmac_f64_e32 v[52:53], v[66:67], v[120:121]
	v_fma_f64 v[6:7], -v[80:81], v[120:121], v[14:15]
	v_fmac_f64_e32 v[44:45], v[78:79], v[120:121]
	;; [unrolled: 17-line block ×4, first 2 shown]
	s_andn2_b64 exec, exec, s[16:17]
	s_cbranch_execnz .LBB37_19
; %bb.20:
	s_or_b64 exec, exec, s[16:17]
.LBB37_21:
	s_or_b64 exec, exec, s[14:15]
	v_cmp_lt_u64_e32 vcc, 47, v[22:23]
	s_and_saveexec_b64 s[14:15], vcc
	s_cbranch_execz .LBB37_25
; %bb.22:
	v_lshlrev_b64 v[0:1], 2, v[20:21]
	v_mov_b32_e32 v2, s13
	v_add_co_u32_e32 v0, vcc, s12, v0
	v_addc_co_u32_e32 v1, vcc, v1, v2, vcc
	v_add_co_u32_e32 v22, vcc, 0x80, v0
	v_addc_co_u32_e32 v23, vcc, 0, v1, vcc
	s_mov_b64 s[16:17], 0
	v_mov_b32_e32 v28, s5
	s_movk_i32 s19, 0x1000
	s_movk_i32 s21, 0x2000
	;; [unrolled: 1-line block ×3, first 2 shown]
.LBB37_23:                              ; =>This Inner Loop Header: Depth=1
	global_load_dword v0, v[22:23], off offset:-128
	global_load_dwordx4 v[66:69], v[18:19], off offset:48
	global_load_dwordx4 v[24:27], v[18:19], off offset:32
	;; [unrolled: 1-line block ×3, first 2 shown]
	global_load_dwordx4 v[74:77], v[18:19], off
	s_waitcnt vmcnt(4)
	v_subrev_u32_e32 v0, s20, v0
	v_lshlrev_b32_e32 v0, 2, v0
	v_ashrrev_i32_e32 v1, 31, v0
	v_lshlrev_b64 v[0:1], 4, v[0:1]
	v_add_co_u32_e32 v30, vcc, s4, v0
	v_addc_co_u32_e32 v31, vcc, v28, v1, vcc
	global_load_dwordx4 v[0:3], v[30:31], off offset:48
	global_load_dwordx4 v[4:7], v[30:31], off offset:32
	;; [unrolled: 1-line block ×3, first 2 shown]
	global_load_dwordx4 v[12:15], v[30:31], off
	v_add_co_u32_e32 v84, vcc, s19, v18
	v_addc_co_u32_e32 v85, vcc, 0, v19, vcc
	s_waitcnt vmcnt(0)
	v_fmac_f64_e32 v[64:65], v[74:75], v[12:13]
	v_fmac_f64_e32 v[56:57], v[76:77], v[12:13]
	v_fma_f64 v[30:31], -v[76:77], v[14:15], v[64:65]
	v_fmac_f64_e32 v[56:57], v[74:75], v[14:15]
	v_fmac_f64_e32 v[30:31], v[70:71], v[8:9]
	v_fmac_f64_e32 v[56:57], v[72:73], v[8:9]
	v_fma_f64 v[30:31], -v[72:73], v[10:11], v[30:31]
	v_fmac_f64_e32 v[56:57], v[70:71], v[10:11]
	v_fmac_f64_e32 v[30:31], v[24:25], v[4:5]
	v_fmac_f64_e32 v[56:57], v[26:27], v[4:5]
	v_fma_f64 v[30:31], -v[26:27], v[6:7], v[30:31]
	v_fmac_f64_e32 v[56:57], v[24:25], v[6:7]
	v_fmac_f64_e32 v[30:31], v[66:67], v[0:1]
	v_fmac_f64_e32 v[56:57], v[68:69], v[0:1]
	v_fma_f64 v[24:25], -v[68:69], v[2:3], v[30:31]
	v_fmac_f64_e32 v[56:57], v[66:67], v[2:3]
	global_load_dwordx4 v[64:67], v[18:19], off offset:112
	global_load_dwordx4 v[68:71], v[18:19], off offset:96
	global_load_dwordx4 v[72:75], v[18:19], off offset:80
	global_load_dwordx4 v[76:79], v[18:19], off offset:64
	s_waitcnt vmcnt(0)
	v_fmac_f64_e32 v[62:63], v[76:77], v[12:13]
	v_fmac_f64_e32 v[54:55], v[78:79], v[12:13]
	v_fma_f64 v[26:27], -v[78:79], v[14:15], v[62:63]
	v_fmac_f64_e32 v[54:55], v[76:77], v[14:15]
	v_fmac_f64_e32 v[26:27], v[72:73], v[8:9]
	v_fmac_f64_e32 v[54:55], v[74:75], v[8:9]
	v_fma_f64 v[26:27], -v[74:75], v[10:11], v[26:27]
	v_fmac_f64_e32 v[54:55], v[72:73], v[10:11]
	v_fmac_f64_e32 v[26:27], v[68:69], v[4:5]
	v_fmac_f64_e32 v[54:55], v[70:71], v[4:5]
	v_fma_f64 v[26:27], -v[70:71], v[6:7], v[26:27]
	v_fmac_f64_e32 v[54:55], v[68:69], v[6:7]
	v_fmac_f64_e32 v[26:27], v[64:65], v[0:1]
	v_fmac_f64_e32 v[54:55], v[66:67], v[0:1]
	v_fma_f64 v[26:27], -v[66:67], v[2:3], v[26:27]
	v_fmac_f64_e32 v[54:55], v[64:65], v[2:3]
	global_load_dwordx4 v[62:65], v[18:19], off offset:176
	global_load_dwordx4 v[66:69], v[18:19], off offset:160
	global_load_dwordx4 v[70:73], v[18:19], off offset:144
	global_load_dwordx4 v[74:77], v[18:19], off offset:128
	;; [unrolled: 21-line block ×3, first 2 shown]
	s_waitcnt vmcnt(0)
	v_fmac_f64_e32 v[58:59], v[72:73], v[12:13]
	v_fmac_f64_e32 v[44:45], v[74:75], v[12:13]
	v_fma_f64 v[58:59], -v[74:75], v[14:15], v[58:59]
	v_fmac_f64_e32 v[44:45], v[72:73], v[14:15]
	v_fmac_f64_e32 v[58:59], v[68:69], v[8:9]
	v_fmac_f64_e32 v[44:45], v[70:71], v[8:9]
	v_fma_f64 v[12:13], -v[70:71], v[10:11], v[58:59]
	v_fmac_f64_e32 v[44:45], v[68:69], v[10:11]
	;; [unrolled: 4-line block ×3, first 2 shown]
	v_fmac_f64_e32 v[8:9], v[60:61], v[0:1]
	v_fmac_f64_e32 v[44:45], v[62:63], v[0:1]
	global_load_dword v0, v[22:23], off offset:-64
	v_fma_f64 v[82:83], -v[62:63], v[2:3], v[8:9]
	v_fmac_f64_e32 v[44:45], v[60:61], v[2:3]
	s_waitcnt vmcnt(0)
	v_subrev_u32_e32 v0, s20, v0
	v_lshlrev_b32_e32 v14, 2, v0
	v_add_co_u32_e32 v0, vcc, s21, v18
	v_ashrrev_i32_e32 v15, 31, v14
	v_addc_co_u32_e32 v1, vcc, 0, v19, vcc
	v_lshlrev_b64 v[14:15], 4, v[14:15]
	v_add_co_u32_e32 v14, vcc, s4, v14
	v_addc_co_u32_e32 v15, vcc, v28, v15, vcc
	global_load_dwordx4 v[2:5], v[0:1], off offset:-4096
	global_load_dwordx4 v[6:9], v[84:85], off offset:48
	global_load_dwordx4 v[10:13], v[84:85], off offset:32
	global_load_dwordx4 v[58:61], v[84:85], off offset:16
	global_load_dwordx4 v[62:65], v[14:15], off offset:48
	global_load_dwordx4 v[66:69], v[14:15], off offset:32
	global_load_dwordx4 v[70:73], v[14:15], off offset:16
	global_load_dwordx4 v[74:77], v[14:15], off
	s_waitcnt vmcnt(0)
	v_fmac_f64_e32 v[24:25], v[2:3], v[74:75]
	v_fmac_f64_e32 v[56:57], v[4:5], v[74:75]
	v_fma_f64 v[14:15], -v[4:5], v[76:77], v[24:25]
	v_fmac_f64_e32 v[56:57], v[2:3], v[76:77]
	v_fmac_f64_e32 v[14:15], v[58:59], v[70:71]
	v_fmac_f64_e32 v[56:57], v[60:61], v[70:71]
	v_fma_f64 v[2:3], -v[60:61], v[72:73], v[14:15]
	v_fmac_f64_e32 v[56:57], v[58:59], v[72:73]
	;; [unrolled: 4-line block ×4, first 2 shown]
	global_load_dwordx4 v[6:9], v[84:85], off offset:112
	global_load_dwordx4 v[10:13], v[84:85], off offset:96
	;; [unrolled: 1-line block ×4, first 2 shown]
	s_waitcnt vmcnt(0)
	v_fmac_f64_e32 v[26:27], v[78:79], v[74:75]
	v_fma_f64 v[4:5], -v[80:81], v[76:77], v[26:27]
	v_fmac_f64_e32 v[54:55], v[80:81], v[74:75]
	v_fmac_f64_e32 v[54:55], v[78:79], v[76:77]
	v_fmac_f64_e32 v[4:5], v[58:59], v[70:71]
	v_fma_f64 v[4:5], -v[60:61], v[72:73], v[4:5]
	v_fmac_f64_e32 v[54:55], v[60:61], v[70:71]
	v_fmac_f64_e32 v[54:55], v[58:59], v[72:73]
	;; [unrolled: 4-line block ×3, first 2 shown]
	v_fmac_f64_e32 v[4:5], v[6:7], v[62:63]
	v_fma_f64 v[4:5], -v[8:9], v[64:65], v[4:5]
	v_fmac_f64_e32 v[54:55], v[8:9], v[62:63]
	global_load_dwordx4 v[8:11], v[84:85], off offset:176
	global_load_dwordx4 v[12:15], v[84:85], off offset:160
	;; [unrolled: 1-line block ×4, first 2 shown]
	v_fmac_f64_e32 v[54:55], v[6:7], v[64:65]
	s_waitcnt vmcnt(0)
	v_fmac_f64_e32 v[30:31], v[58:59], v[74:75]
	v_fma_f64 v[6:7], -v[60:61], v[76:77], v[30:31]
	v_fmac_f64_e32 v[52:53], v[60:61], v[74:75]
	v_fmac_f64_e32 v[52:53], v[58:59], v[76:77]
	v_fmac_f64_e32 v[6:7], v[24:25], v[70:71]
	v_fma_f64 v[6:7], -v[26:27], v[72:73], v[6:7]
	v_fmac_f64_e32 v[52:53], v[26:27], v[70:71]
	v_fmac_f64_e32 v[52:53], v[24:25], v[72:73]
	;; [unrolled: 4-line block ×3, first 2 shown]
	v_fmac_f64_e32 v[6:7], v[8:9], v[62:63]
	v_fma_f64 v[6:7], -v[10:11], v[64:65], v[6:7]
	v_fmac_f64_e32 v[52:53], v[10:11], v[62:63]
	global_load_dwordx4 v[10:13], v[84:85], off offset:240
	global_load_dwordx4 v[24:27], v[84:85], off offset:224
	;; [unrolled: 1-line block ×4, first 2 shown]
	v_fmac_f64_e32 v[52:53], v[8:9], v[64:65]
	s_waitcnt vmcnt(0)
	v_fmac_f64_e32 v[44:45], v[80:81], v[74:75]
	v_fmac_f64_e32 v[82:83], v[78:79], v[74:75]
	v_fmac_f64_e32 v[44:45], v[78:79], v[76:77]
	v_fma_f64 v[8:9], -v[80:81], v[76:77], v[82:83]
	v_fmac_f64_e32 v[44:45], v[60:61], v[70:71]
	v_fmac_f64_e32 v[8:9], v[58:59], v[70:71]
	v_fmac_f64_e32 v[44:45], v[58:59], v[72:73]
	v_fma_f64 v[8:9], -v[60:61], v[72:73], v[8:9]
	;; [unrolled: 4-line block ×3, first 2 shown]
	v_fmac_f64_e32 v[44:45], v[12:13], v[62:63]
	v_fmac_f64_e32 v[8:9], v[10:11], v[62:63]
	;; [unrolled: 1-line block ×3, first 2 shown]
	global_load_dword v10, v[22:23], off
	v_fma_f64 v[8:9], -v[12:13], v[64:65], v[8:9]
	s_waitcnt vmcnt(0)
	v_subrev_u32_e32 v10, s20, v10
	v_lshlrev_b32_e32 v14, 2, v10
	v_ashrrev_i32_e32 v15, 31, v14
	v_lshlrev_b64 v[14:15], 4, v[14:15]
	v_add_co_u32_e32 v14, vcc, s4, v14
	v_addc_co_u32_e32 v15, vcc, v28, v15, vcc
	global_load_dwordx4 v[10:13], v[0:1], off
	global_load_dwordx4 v[24:27], v[0:1], off offset:48
	global_load_dwordx4 v[58:61], v[0:1], off offset:32
	;; [unrolled: 1-line block ×6, first 2 shown]
	global_load_dwordx4 v[78:81], v[14:15], off
	v_add_co_u32_e32 v82, vcc, s22, v18
	v_addc_co_u32_e32 v83, vcc, 0, v19, vcc
	s_waitcnt vmcnt(0)
	v_fmac_f64_e32 v[2:3], v[10:11], v[78:79]
	v_fmac_f64_e32 v[56:57], v[12:13], v[78:79]
	v_fma_f64 v[2:3], -v[12:13], v[80:81], v[2:3]
	v_fmac_f64_e32 v[56:57], v[10:11], v[80:81]
	v_fmac_f64_e32 v[2:3], v[62:63], v[74:75]
	v_fmac_f64_e32 v[56:57], v[64:65], v[74:75]
	v_fma_f64 v[2:3], -v[64:65], v[76:77], v[2:3]
	v_fmac_f64_e32 v[56:57], v[62:63], v[76:77]
	v_fmac_f64_e32 v[2:3], v[58:59], v[70:71]
	v_fmac_f64_e32 v[56:57], v[60:61], v[70:71]
	v_fma_f64 v[2:3], -v[60:61], v[72:73], v[2:3]
	v_fmac_f64_e32 v[56:57], v[58:59], v[72:73]
	v_fmac_f64_e32 v[2:3], v[24:25], v[66:67]
	v_fmac_f64_e32 v[56:57], v[26:27], v[66:67]
	v_fma_f64 v[2:3], -v[26:27], v[68:69], v[2:3]
	v_fmac_f64_e32 v[56:57], v[24:25], v[68:69]
	global_load_dwordx4 v[10:13], v[0:1], off offset:112
	global_load_dwordx4 v[24:27], v[0:1], off offset:96
	global_load_dwordx4 v[58:61], v[0:1], off offset:80
	global_load_dwordx4 v[62:65], v[0:1], off offset:64
	s_waitcnt vmcnt(0)
	v_fmac_f64_e32 v[4:5], v[62:63], v[78:79]
	v_fmac_f64_e32 v[54:55], v[64:65], v[78:79]
	v_fma_f64 v[4:5], -v[64:65], v[80:81], v[4:5]
	v_fmac_f64_e32 v[54:55], v[62:63], v[80:81]
	v_fmac_f64_e32 v[4:5], v[58:59], v[74:75]
	v_fmac_f64_e32 v[54:55], v[60:61], v[74:75]
	v_fma_f64 v[4:5], -v[60:61], v[76:77], v[4:5]
	v_fmac_f64_e32 v[54:55], v[58:59], v[76:77]
	v_fmac_f64_e32 v[4:5], v[24:25], v[70:71]
	v_fmac_f64_e32 v[54:55], v[26:27], v[70:71]
	v_fma_f64 v[4:5], -v[26:27], v[72:73], v[4:5]
	v_fmac_f64_e32 v[54:55], v[24:25], v[72:73]
	v_fmac_f64_e32 v[4:5], v[10:11], v[66:67]
	v_fmac_f64_e32 v[54:55], v[12:13], v[66:67]
	v_fma_f64 v[4:5], -v[12:13], v[68:69], v[4:5]
	v_fmac_f64_e32 v[54:55], v[10:11], v[68:69]
	global_load_dwordx4 v[10:13], v[0:1], off offset:176
	global_load_dwordx4 v[24:27], v[0:1], off offset:160
	global_load_dwordx4 v[58:61], v[0:1], off offset:144
	global_load_dwordx4 v[62:65], v[0:1], off offset:128
	;; [unrolled: 21-line block ×3, first 2 shown]
	s_waitcnt vmcnt(0)
	v_fmac_f64_e32 v[8:9], v[62:63], v[78:79]
	v_fma_f64 v[0:1], -v[64:65], v[80:81], v[8:9]
	global_load_dword v8, v[22:23], off offset:64
	v_fmac_f64_e32 v[44:45], v[64:65], v[78:79]
	v_fmac_f64_e32 v[44:45], v[62:63], v[80:81]
	;; [unrolled: 1-line block ×4, first 2 shown]
	v_fma_f64 v[0:1], -v[60:61], v[76:77], v[0:1]
	v_fmac_f64_e32 v[44:45], v[58:59], v[76:77]
	v_fmac_f64_e32 v[0:1], v[24:25], v[70:71]
	;; [unrolled: 1-line block ×3, first 2 shown]
	v_fma_f64 v[0:1], -v[26:27], v[72:73], v[0:1]
	v_fmac_f64_e32 v[44:45], v[24:25], v[72:73]
	v_fmac_f64_e32 v[0:1], v[10:11], v[66:67]
	;; [unrolled: 1-line block ×3, first 2 shown]
	v_fma_f64 v[0:1], -v[12:13], v[68:69], v[0:1]
	v_fmac_f64_e32 v[44:45], v[10:11], v[68:69]
	s_waitcnt vmcnt(0)
	v_subrev_u32_e32 v8, s20, v8
	v_lshlrev_b32_e32 v30, 2, v8
	v_ashrrev_i32_e32 v31, 31, v30
	v_lshlrev_b64 v[30:31], 4, v[30:31]
	v_add_co_u32_e32 v30, vcc, s4, v30
	v_addc_co_u32_e32 v31, vcc, v28, v31, vcc
	global_load_dwordx4 v[8:11], v[82:83], off
	global_load_dwordx4 v[12:15], v[82:83], off offset:48
	global_load_dwordx4 v[24:27], v[82:83], off offset:32
	;; [unrolled: 1-line block ×6, first 2 shown]
	global_load_dwordx4 v[78:81], v[30:31], off
	v_add_co_u32_e32 v20, vcc, 64, v20
	v_addc_co_u32_e32 v21, vcc, 0, v21, vcc
	v_add_co_u32_e32 v22, vcc, 0x100, v22
	v_addc_co_u32_e32 v23, vcc, 0, v23, vcc
	v_cmp_ge_i64_e64 s[2:3], v[20:21], v[48:49]
	v_add_co_u32_e32 v18, vcc, 0x4000, v18
	v_addc_co_u32_e32 v19, vcc, 0, v19, vcc
	s_or_b64 s[16:17], s[2:3], s[16:17]
	s_waitcnt vmcnt(0)
	v_fmac_f64_e32 v[2:3], v[8:9], v[78:79]
	v_fmac_f64_e32 v[56:57], v[10:11], v[78:79]
	v_fma_f64 v[2:3], -v[10:11], v[80:81], v[2:3]
	v_fmac_f64_e32 v[56:57], v[8:9], v[80:81]
	v_fmac_f64_e32 v[2:3], v[58:59], v[74:75]
	v_fmac_f64_e32 v[56:57], v[60:61], v[74:75]
	v_fma_f64 v[2:3], -v[60:61], v[76:77], v[2:3]
	v_fmac_f64_e32 v[56:57], v[58:59], v[76:77]
	v_fmac_f64_e32 v[2:3], v[24:25], v[70:71]
	v_fmac_f64_e32 v[56:57], v[26:27], v[70:71]
	v_fma_f64 v[2:3], -v[26:27], v[72:73], v[2:3]
	v_fmac_f64_e32 v[56:57], v[24:25], v[72:73]
	v_fmac_f64_e32 v[2:3], v[12:13], v[66:67]
	v_fmac_f64_e32 v[56:57], v[14:15], v[66:67]
	v_fma_f64 v[64:65], -v[14:15], v[68:69], v[2:3]
	v_fmac_f64_e32 v[56:57], v[12:13], v[68:69]
	global_load_dwordx4 v[8:11], v[82:83], off offset:112
	global_load_dwordx4 v[12:15], v[82:83], off offset:96
	global_load_dwordx4 v[24:27], v[82:83], off offset:80
	global_load_dwordx4 v[58:61], v[82:83], off offset:64
	s_waitcnt vmcnt(0)
	v_fmac_f64_e32 v[4:5], v[58:59], v[78:79]
	v_fmac_f64_e32 v[54:55], v[60:61], v[78:79]
	v_fma_f64 v[2:3], -v[60:61], v[80:81], v[4:5]
	v_fmac_f64_e32 v[54:55], v[58:59], v[80:81]
	v_fmac_f64_e32 v[2:3], v[24:25], v[74:75]
	v_fmac_f64_e32 v[54:55], v[26:27], v[74:75]
	v_fma_f64 v[2:3], -v[26:27], v[76:77], v[2:3]
	v_fmac_f64_e32 v[54:55], v[24:25], v[76:77]
	v_fmac_f64_e32 v[2:3], v[12:13], v[70:71]
	v_fmac_f64_e32 v[54:55], v[14:15], v[70:71]
	v_fma_f64 v[2:3], -v[14:15], v[72:73], v[2:3]
	v_fmac_f64_e32 v[54:55], v[12:13], v[72:73]
	v_fmac_f64_e32 v[2:3], v[8:9], v[66:67]
	v_fmac_f64_e32 v[54:55], v[10:11], v[66:67]
	v_fma_f64 v[62:63], -v[10:11], v[68:69], v[2:3]
	v_fmac_f64_e32 v[54:55], v[8:9], v[68:69]
	global_load_dwordx4 v[2:5], v[82:83], off offset:176
	global_load_dwordx4 v[8:11], v[82:83], off offset:160
	global_load_dwordx4 v[12:15], v[82:83], off offset:144
	global_load_dwordx4 v[24:27], v[82:83], off offset:128
	s_waitcnt vmcnt(0)
	v_fmac_f64_e32 v[6:7], v[24:25], v[78:79]
	v_fmac_f64_e32 v[52:53], v[26:27], v[78:79]
	v_fma_f64 v[6:7], -v[26:27], v[80:81], v[6:7]
	v_fmac_f64_e32 v[52:53], v[24:25], v[80:81]
	v_fmac_f64_e32 v[6:7], v[12:13], v[74:75]
	v_fmac_f64_e32 v[52:53], v[14:15], v[74:75]
	v_fma_f64 v[6:7], -v[14:15], v[76:77], v[6:7]
	v_fmac_f64_e32 v[52:53], v[12:13], v[76:77]
	v_fmac_f64_e32 v[6:7], v[8:9], v[70:71]
	v_fmac_f64_e32 v[52:53], v[10:11], v[70:71]
	v_fma_f64 v[6:7], -v[10:11], v[72:73], v[6:7]
	v_fmac_f64_e32 v[52:53], v[8:9], v[72:73]
	v_fmac_f64_e32 v[6:7], v[2:3], v[66:67]
	v_fmac_f64_e32 v[52:53], v[4:5], v[66:67]
	v_fma_f64 v[60:61], -v[4:5], v[68:69], v[6:7]
	v_fmac_f64_e32 v[52:53], v[2:3], v[68:69]
	global_load_dwordx4 v[2:5], v[82:83], off offset:240
	global_load_dwordx4 v[6:9], v[82:83], off offset:224
	global_load_dwordx4 v[10:13], v[82:83], off offset:208
	global_load_dwordx4 v[24:27], v[82:83], off offset:192
	s_waitcnt vmcnt(0)
	v_fmac_f64_e32 v[0:1], v[24:25], v[78:79]
	v_fmac_f64_e32 v[44:45], v[26:27], v[78:79]
	v_fma_f64 v[0:1], -v[26:27], v[80:81], v[0:1]
	v_fmac_f64_e32 v[44:45], v[24:25], v[80:81]
	v_fmac_f64_e32 v[0:1], v[10:11], v[74:75]
	v_fmac_f64_e32 v[44:45], v[12:13], v[74:75]
	v_fma_f64 v[0:1], -v[12:13], v[76:77], v[0:1]
	v_fmac_f64_e32 v[44:45], v[10:11], v[76:77]
	;; [unrolled: 4-line block ×4, first 2 shown]
	s_andn2_b64 exec, exec, s[16:17]
	s_cbranch_execnz .LBB37_23
; %bb.24:
	s_or_b64 exec, exec, s[16:17]
.LBB37_25:
	s_or_b64 exec, exec, s[14:15]
.LBB37_26:
	s_or_b64 exec, exec, s[10:11]
	s_andn2_b64 vcc, exec, s[8:9]
	s_cbranch_vccz .LBB37_28
	s_branch .LBB37_39
.LBB37_27:
                                        ; implicit-def: $vgpr56_vgpr57
                                        ; implicit-def: $vgpr64_vgpr65
                                        ; implicit-def: $vgpr58_vgpr59
                                        ; implicit-def: $vgpr44_vgpr45
                                        ; implicit-def: $vgpr60_vgpr61
                                        ; implicit-def: $vgpr52_vgpr53
                                        ; implicit-def: $vgpr62_vgpr63
                                        ; implicit-def: $vgpr54_vgpr55
.LBB37_28:
	v_pk_mov_b32 v[56:57], 0, 0
	v_pk_mov_b32 v[64:65], v[56:57], v[56:57] op_sel:[0,1]
	v_pk_mov_b32 v[58:59], v[56:57], v[56:57] op_sel:[0,1]
	;; [unrolled: 1-line block ×7, first 2 shown]
	s_and_saveexec_b64 s[2:3], s[0:1]
	s_cbranch_execz .LBB37_38
; %bb.29:
	v_or_b32_e32 v0, 16, v42
	v_mov_b32_e32 v1, s18
	v_subrev_co_u32_e32 v0, vcc, s20, v0
	v_subb_co_u32_e32 v1, vcc, 0, v1, vcc
	v_add_co_u32_e32 v0, vcc, v0, v16
	v_addc_co_u32_e32 v1, vcc, v1, v17, vcc
	v_cmp_gt_i64_e32 vcc, v[0:1], v[48:49]
	v_cndmask_b32_e32 v1, v49, v1, vcc
	v_cndmask_b32_e32 v0, v48, v0, vcc
	v_mov_b32_e32 v4, s18
	v_sub_co_u32_e32 v5, vcc, s20, v42
	v_not_b32_e32 v3, v16
	v_subbrev_co_u32_e32 v4, vcc, 0, v4, vcc
	v_not_b32_e32 v2, v17
	v_add_co_u32_e32 v3, vcc, v5, v3
	v_addc_co_u32_e32 v2, vcc, v4, v2, vcc
	v_add_co_u32_e32 v66, vcc, v3, v0
	v_lshrrev_b32_e32 v0, 4, v66
	v_add_u32_e32 v0, 1, v0
	v_addc_co_u32_e32 v67, vcc, v2, v1, vcc
	v_and_b32_e32 v0, 3, v0
	v_pk_mov_b32 v[54:55], 0, 0
	v_cmp_ne_u32_e32 vcc, 0, v0
	s_mov_b64 s[10:11], 0
	v_pk_mov_b32 v[62:63], v[54:55], v[54:55] op_sel:[0,1]
	v_pk_mov_b32 v[52:53], v[54:55], v[54:55] op_sel:[0,1]
	;; [unrolled: 1-line block ×7, first 2 shown]
	s_and_saveexec_b64 s[8:9], vcc
	s_cbranch_execz .LBB37_33
; %bb.30:
	v_lshlrev_b64 v[2:3], 2, v[46:47]
	v_mov_b32_e32 v1, s13
	v_add_co_u32_e32 v70, vcc, s12, v2
	v_pk_mov_b32 v[56:57], 0, 0
	v_mov_b32_e32 v69, 0
	v_addc_co_u32_e32 v71, vcc, v1, v3, vcc
	v_lshlrev_b32_e32 v68, 2, v0
	s_movk_i32 s14, 0x1000
	v_mov_b32_e32 v41, s5
	v_pk_mov_b32 v[64:65], v[56:57], v[56:57] op_sel:[0,1]
	v_pk_mov_b32 v[58:59], v[56:57], v[56:57] op_sel:[0,1]
	;; [unrolled: 1-line block ×7, first 2 shown]
.LBB37_31:                              ; =>This Inner Loop Header: Depth=1
	global_load_dword v43, v[70:71], off
	global_load_dwordx4 v[0:3], v[50:51], off offset:48
	global_load_dwordx4 v[4:7], v[50:51], off offset:32
	;; [unrolled: 1-line block ×3, first 2 shown]
	global_load_dwordx4 v[12:15], v[50:51], off
	global_load_dwordx4 v[16:19], v[50:51], off offset:112
	global_load_dwordx4 v[20:23], v[50:51], off offset:96
	;; [unrolled: 1-line block ×12, first 2 shown]
	v_add_co_u32_e32 v50, vcc, s14, v50
	v_addc_co_u32_e32 v51, vcc, 0, v51, vcc
	s_waitcnt vmcnt(16)
	v_subrev_u32_e32 v43, s20, v43
	v_lshlrev_b32_e32 v104, 2, v43
	v_ashrrev_i32_e32 v105, 31, v104
	v_lshlrev_b64 v[104:105], 4, v[104:105]
	v_add_co_u32_e64 v120, s[0:1], s4, v104
	v_addc_co_u32_e64 v121, s[0:1], v41, v105, s[0:1]
	global_load_dwordx4 v[104:107], v[120:121], off
	global_load_dwordx4 v[108:111], v[120:121], off offset:16
	global_load_dwordx4 v[112:115], v[120:121], off offset:32
	;; [unrolled: 1-line block ×3, first 2 shown]
	v_add_co_u32_e64 v46, s[0:1], 16, v46
	v_addc_co_u32_e64 v47, s[0:1], 0, v47, s[0:1]
	v_add_co_u32_e64 v70, s[0:1], 64, v70
	v_addc_co_u32_e64 v71, s[0:1], 0, v71, s[0:1]
	v_add_co_u32_e64 v68, s[0:1], -4, v68
	v_addc_co_u32_e64 v69, s[0:1], -1, v69, s[0:1]
	v_cmp_eq_u64_e32 vcc, 0, v[68:69]
	s_or_b64 s[10:11], vcc, s[10:11]
	s_waitcnt vmcnt(3)
	v_fmac_f64_e32 v[64:65], v[12:13], v[104:105]
	v_fmac_f64_e32 v[56:57], v[14:15], v[104:105]
	v_fmac_f64_e32 v[62:63], v[8:9], v[104:105]
	v_fmac_f64_e32 v[54:55], v[10:11], v[104:105]
	v_fmac_f64_e32 v[60:61], v[4:5], v[104:105]
	v_fmac_f64_e32 v[52:53], v[6:7], v[104:105]
	v_fmac_f64_e32 v[58:59], v[0:1], v[104:105]
	v_fmac_f64_e32 v[44:45], v[2:3], v[104:105]
	v_fma_f64 v[14:15], -v[14:15], v[106:107], v[64:65]
	v_fmac_f64_e32 v[56:57], v[12:13], v[106:107]
	v_fma_f64 v[10:11], -v[10:11], v[106:107], v[62:63]
	v_fmac_f64_e32 v[54:55], v[8:9], v[106:107]
	v_fma_f64 v[6:7], -v[6:7], v[106:107], v[60:61]
	v_fmac_f64_e32 v[52:53], v[4:5], v[106:107]
	v_fma_f64 v[2:3], -v[2:3], v[106:107], v[58:59]
	v_fmac_f64_e32 v[44:45], v[0:1], v[106:107]
	s_waitcnt vmcnt(2)
	v_fmac_f64_e32 v[14:15], v[28:29], v[108:109]
	v_fmac_f64_e32 v[56:57], v[30:31], v[108:109]
	v_fmac_f64_e32 v[10:11], v[24:25], v[108:109]
	v_fmac_f64_e32 v[54:55], v[26:27], v[108:109]
	v_fmac_f64_e32 v[6:7], v[20:21], v[108:109]
	v_fmac_f64_e32 v[52:53], v[22:23], v[108:109]
	v_fmac_f64_e32 v[2:3], v[16:17], v[108:109]
	v_fmac_f64_e32 v[44:45], v[18:19], v[108:109]
	v_fma_f64 v[0:1], -v[30:31], v[110:111], v[14:15]
	v_fmac_f64_e32 v[56:57], v[28:29], v[110:111]
	v_fma_f64 v[4:5], -v[26:27], v[110:111], v[10:11]
	v_fmac_f64_e32 v[54:55], v[24:25], v[110:111]
	v_fma_f64 v[6:7], -v[22:23], v[110:111], v[6:7]
	v_fmac_f64_e32 v[52:53], v[20:21], v[110:111]
	v_fma_f64 v[2:3], -v[18:19], v[110:111], v[2:3]
	v_fmac_f64_e32 v[44:45], v[16:17], v[110:111]
	s_waitcnt vmcnt(1)
	v_fmac_f64_e32 v[0:1], v[84:85], v[112:113]
	v_fmac_f64_e32 v[56:57], v[86:87], v[112:113]
	v_fmac_f64_e32 v[4:5], v[80:81], v[112:113]
	v_fmac_f64_e32 v[54:55], v[82:83], v[112:113]
	v_fmac_f64_e32 v[6:7], v[76:77], v[112:113]
	v_fmac_f64_e32 v[52:53], v[78:79], v[112:113]
	v_fmac_f64_e32 v[2:3], v[72:73], v[112:113]
	v_fmac_f64_e32 v[44:45], v[74:75], v[112:113]
	v_fma_f64 v[0:1], -v[86:87], v[114:115], v[0:1]
	v_fmac_f64_e32 v[56:57], v[84:85], v[114:115]
	v_fma_f64 v[4:5], -v[82:83], v[114:115], v[4:5]
	v_fmac_f64_e32 v[54:55], v[80:81], v[114:115]
	v_fma_f64 v[6:7], -v[78:79], v[114:115], v[6:7]
	v_fmac_f64_e32 v[52:53], v[76:77], v[114:115]
	v_fma_f64 v[2:3], -v[74:75], v[114:115], v[2:3]
	v_fmac_f64_e32 v[44:45], v[72:73], v[114:115]
	s_waitcnt vmcnt(0)
	v_fmac_f64_e32 v[0:1], v[92:93], v[116:117]
	v_fmac_f64_e32 v[56:57], v[94:95], v[116:117]
	v_fmac_f64_e32 v[4:5], v[88:89], v[116:117]
	v_fmac_f64_e32 v[54:55], v[90:91], v[116:117]
	v_fmac_f64_e32 v[6:7], v[96:97], v[116:117]
	v_fmac_f64_e32 v[52:53], v[98:99], v[116:117]
	v_fmac_f64_e32 v[2:3], v[100:101], v[116:117]
	v_fmac_f64_e32 v[44:45], v[102:103], v[116:117]
	v_fma_f64 v[64:65], -v[94:95], v[118:119], v[0:1]
	v_fmac_f64_e32 v[56:57], v[92:93], v[118:119]
	v_fma_f64 v[62:63], -v[90:91], v[118:119], v[4:5]
	v_fmac_f64_e32 v[54:55], v[88:89], v[118:119]
	v_fma_f64 v[60:61], -v[98:99], v[118:119], v[6:7]
	v_fmac_f64_e32 v[52:53], v[96:97], v[118:119]
	v_fma_f64 v[58:59], -v[102:103], v[118:119], v[2:3]
	v_fmac_f64_e32 v[44:45], v[100:101], v[118:119]
	s_andn2_b64 exec, exec, s[10:11]
	s_cbranch_execnz .LBB37_31
; %bb.32:
	s_or_b64 exec, exec, s[10:11]
.LBB37_33:
	s_or_b64 exec, exec, s[8:9]
	v_cmp_lt_u64_e32 vcc, 47, v[66:67]
	s_and_saveexec_b64 s[8:9], vcc
	s_cbranch_execz .LBB37_37
; %bb.34:
	v_lshlrev_b64 v[0:1], 2, v[46:47]
	v_mov_b32_e32 v2, s13
	v_add_co_u32_e32 v0, vcc, s12, v0
	v_addc_co_u32_e32 v1, vcc, v1, v2, vcc
	v_add_co_u32_e32 v8, vcc, 0x80, v0
	v_addc_co_u32_e32 v9, vcc, 0, v1, vcc
	s_mov_b64 s[10:11], 0
	v_mov_b32_e32 v12, s5
	s_movk_i32 s5, 0x1000
	s_movk_i32 s12, 0x2000
	;; [unrolled: 1-line block ×3, first 2 shown]
.LBB37_35:                              ; =>This Inner Loop Header: Depth=1
	global_load_dword v0, v[8:9], off offset:-128
	global_load_dwordx4 v[14:17], v[50:51], off offset:48
	global_load_dwordx4 v[18:21], v[50:51], off offset:32
	;; [unrolled: 1-line block ×3, first 2 shown]
	global_load_dwordx4 v[26:29], v[50:51], off
	s_waitcnt vmcnt(4)
	v_subrev_u32_e32 v0, s20, v0
	v_lshlrev_b32_e32 v0, 2, v0
	v_ashrrev_i32_e32 v1, 31, v0
	v_lshlrev_b64 v[0:1], 4, v[0:1]
	v_add_co_u32_e32 v10, vcc, s4, v0
	v_addc_co_u32_e32 v11, vcc, v12, v1, vcc
	global_load_dwordx4 v[0:3], v[10:11], off offset:48
	global_load_dwordx4 v[4:7], v[10:11], off offset:32
	;; [unrolled: 1-line block ×3, first 2 shown]
	global_load_dwordx4 v[70:73], v[10:11], off
	v_add_co_u32_e32 v74, vcc, s5, v50
	v_addc_co_u32_e32 v75, vcc, 0, v51, vcc
	s_waitcnt vmcnt(0)
	v_fmac_f64_e32 v[64:65], v[26:27], v[70:71]
	v_fmac_f64_e32 v[56:57], v[28:29], v[70:71]
	;; [unrolled: 1-line block ×8, first 2 shown]
	v_fma_f64 v[10:11], -v[28:29], v[72:73], v[64:65]
	v_fmac_f64_e32 v[56:57], v[26:27], v[72:73]
	v_fma_f64 v[30:31], -v[24:25], v[72:73], v[62:63]
	v_fmac_f64_e32 v[54:55], v[22:23], v[72:73]
	v_fma_f64 v[60:61], -v[20:21], v[72:73], v[60:61]
	v_fmac_f64_e32 v[52:53], v[18:19], v[72:73]
	v_fma_f64 v[58:59], -v[16:17], v[72:73], v[58:59]
	v_fmac_f64_e32 v[44:45], v[14:15], v[72:73]
	global_load_dwordx4 v[14:17], v[50:51], off offset:112
	global_load_dwordx4 v[18:21], v[50:51], off offset:96
	global_load_dwordx4 v[22:25], v[50:51], off offset:80
	global_load_dwordx4 v[26:29], v[50:51], off offset:64
	s_waitcnt vmcnt(3)
	v_fmac_f64_e32 v[58:59], v[14:15], v[66:67]
	s_waitcnt vmcnt(2)
	v_fmac_f64_e32 v[60:61], v[18:19], v[66:67]
	s_waitcnt vmcnt(1)
	v_fmac_f64_e32 v[30:31], v[22:23], v[66:67]
	s_waitcnt vmcnt(0)
	v_fmac_f64_e32 v[10:11], v[26:27], v[66:67]
	v_fmac_f64_e32 v[56:57], v[28:29], v[66:67]
	v_fmac_f64_e32 v[54:55], v[24:25], v[66:67]
	v_fmac_f64_e32 v[52:53], v[20:21], v[66:67]
	v_fmac_f64_e32 v[44:45], v[16:17], v[66:67]
	v_fma_f64 v[10:11], -v[28:29], v[68:69], v[10:11]
	v_fmac_f64_e32 v[56:57], v[26:27], v[68:69]
	v_fma_f64 v[30:31], -v[24:25], v[68:69], v[30:31]
	v_fmac_f64_e32 v[54:55], v[22:23], v[68:69]
	v_fma_f64 v[60:61], -v[20:21], v[68:69], v[60:61]
	v_fmac_f64_e32 v[52:53], v[18:19], v[68:69]
	v_fma_f64 v[58:59], -v[16:17], v[68:69], v[58:59]
	v_fmac_f64_e32 v[44:45], v[14:15], v[68:69]
	global_load_dwordx4 v[14:17], v[50:51], off offset:176
	global_load_dwordx4 v[18:21], v[50:51], off offset:160
	global_load_dwordx4 v[22:25], v[50:51], off offset:144
	global_load_dwordx4 v[26:29], v[50:51], off offset:128
	s_waitcnt vmcnt(3)
	v_fmac_f64_e32 v[58:59], v[14:15], v[4:5]
	s_waitcnt vmcnt(2)
	v_fmac_f64_e32 v[60:61], v[18:19], v[4:5]
	s_waitcnt vmcnt(1)
	v_fmac_f64_e32 v[30:31], v[22:23], v[4:5]
	s_waitcnt vmcnt(0)
	v_fmac_f64_e32 v[10:11], v[26:27], v[4:5]
	v_fmac_f64_e32 v[56:57], v[28:29], v[4:5]
	v_fmac_f64_e32 v[54:55], v[24:25], v[4:5]
	v_fmac_f64_e32 v[52:53], v[20:21], v[4:5]
	v_fmac_f64_e32 v[44:45], v[16:17], v[4:5]
	;; [unrolled: 24-line block ×3, first 2 shown]
	global_load_dword v0, v[8:9], off offset:-64
	v_fma_f64 v[30:31], -v[6:7], v[2:3], v[30:31]
	v_fma_f64 v[10:11], -v[24:25], v[2:3], v[10:11]
	v_fmac_f64_e32 v[56:57], v[22:23], v[2:3]
	v_fma_f64 v[70:71], -v[20:21], v[2:3], v[26:27]
	v_fmac_f64_e32 v[54:55], v[18:19], v[2:3]
	;; [unrolled: 2-line block ×3, first 2 shown]
	v_fmac_f64_e32 v[44:45], v[4:5], v[2:3]
	s_waitcnt vmcnt(0)
	v_subrev_u32_e32 v0, s20, v0
	v_lshlrev_b32_e32 v6, 2, v0
	v_add_co_u32_e32 v0, vcc, s12, v50
	v_ashrrev_i32_e32 v7, 31, v6
	v_addc_co_u32_e32 v1, vcc, 0, v51, vcc
	v_lshlrev_b64 v[6:7], 4, v[6:7]
	v_add_co_u32_e32 v6, vcc, s4, v6
	v_addc_co_u32_e32 v7, vcc, v12, v7, vcc
	global_load_dwordx4 v[2:5], v[0:1], off offset:-4096
	global_load_dwordx4 v[14:17], v[74:75], off offset:48
	global_load_dwordx4 v[18:21], v[74:75], off offset:32
	;; [unrolled: 1-line block ×6, first 2 shown]
	global_load_dwordx4 v[66:69], v[6:7], off
	s_waitcnt vmcnt(0)
	v_fmac_f64_e32 v[10:11], v[2:3], v[66:67]
	v_fmac_f64_e32 v[56:57], v[4:5], v[66:67]
	;; [unrolled: 1-line block ×8, first 2 shown]
	v_fma_f64 v[6:7], -v[4:5], v[68:69], v[10:11]
	v_fmac_f64_e32 v[56:57], v[2:3], v[68:69]
	v_fma_f64 v[10:11], -v[24:25], v[68:69], v[70:71]
	v_fmac_f64_e32 v[54:55], v[22:23], v[68:69]
	;; [unrolled: 2-line block ×4, first 2 shown]
	global_load_dwordx4 v[2:5], v[74:75], off offset:112
	global_load_dwordx4 v[14:17], v[74:75], off offset:96
	;; [unrolled: 1-line block ×4, first 2 shown]
	s_waitcnt vmcnt(3)
	v_fmac_f64_e32 v[30:31], v[2:3], v[62:63]
	s_waitcnt vmcnt(2)
	v_fmac_f64_e32 v[70:71], v[14:15], v[62:63]
	;; [unrolled: 2-line block ×4, first 2 shown]
	v_fmac_f64_e32 v[56:57], v[24:25], v[62:63]
	v_fmac_f64_e32 v[54:55], v[20:21], v[62:63]
	;; [unrolled: 1-line block ×4, first 2 shown]
	v_fma_f64 v[6:7], -v[24:25], v[64:65], v[6:7]
	v_fmac_f64_e32 v[56:57], v[22:23], v[64:65]
	v_fma_f64 v[10:11], -v[20:21], v[64:65], v[10:11]
	v_fmac_f64_e32 v[54:55], v[18:19], v[64:65]
	;; [unrolled: 2-line block ×4, first 2 shown]
	global_load_dwordx4 v[2:5], v[74:75], off offset:176
	global_load_dwordx4 v[14:17], v[74:75], off offset:160
	;; [unrolled: 1-line block ×4, first 2 shown]
	s_waitcnt vmcnt(3)
	v_fmac_f64_e32 v[30:31], v[2:3], v[58:59]
	s_waitcnt vmcnt(2)
	v_fmac_f64_e32 v[66:67], v[14:15], v[58:59]
	;; [unrolled: 2-line block ×4, first 2 shown]
	v_fmac_f64_e32 v[56:57], v[24:25], v[58:59]
	v_fmac_f64_e32 v[54:55], v[20:21], v[58:59]
	;; [unrolled: 1-line block ×3, first 2 shown]
	v_fma_f64 v[62:63], -v[24:25], v[60:61], v[6:7]
	v_fmac_f64_e32 v[56:57], v[22:23], v[60:61]
	v_fma_f64 v[10:11], -v[20:21], v[60:61], v[10:11]
	v_fmac_f64_e32 v[54:55], v[18:19], v[60:61]
	;; [unrolled: 2-line block ×4, first 2 shown]
	global_load_dwordx4 v[14:17], v[74:75], off offset:240
	global_load_dwordx4 v[18:21], v[74:75], off offset:224
	;; [unrolled: 1-line block ×4, first 2 shown]
	global_load_dword v13, v[8:9], off
	v_fmac_f64_e32 v[44:45], v[2:3], v[60:61]
	s_waitcnt vmcnt(4)
	v_fmac_f64_e32 v[30:31], v[14:15], v[26:27]
	s_waitcnt vmcnt(3)
	;; [unrolled: 2-line block ×5, first 2 shown]
	v_subrev_u32_e32 v13, s20, v13
	v_fmac_f64_e32 v[62:63], v[4:5], v[26:27]
	v_fmac_f64_e32 v[56:57], v[4:5], v[28:29]
	v_fma_f64 v[4:5], -v[24:25], v[28:29], v[10:11]
	v_fma_f64 v[10:11], -v[16:17], v[28:29], v[30:31]
	v_lshlrev_b32_e32 v30, 2, v13
	v_ashrrev_i32_e32 v31, 31, v30
	v_lshlrev_b64 v[30:31], 4, v[30:31]
	v_add_co_u32_e32 v30, vcc, s4, v30
	v_fmac_f64_e32 v[54:55], v[24:25], v[26:27]
	v_fmac_f64_e32 v[52:53], v[20:21], v[26:27]
	;; [unrolled: 1-line block ×3, first 2 shown]
	v_addc_co_u32_e32 v31, vcc, v12, v31, vcc
	v_fma_f64 v[2:3], -v[6:7], v[28:29], v[62:63]
	v_fmac_f64_e32 v[54:55], v[22:23], v[28:29]
	v_fma_f64 v[6:7], -v[20:21], v[28:29], v[64:65]
	v_fmac_f64_e32 v[52:53], v[18:19], v[28:29]
	v_fmac_f64_e32 v[44:45], v[14:15], v[28:29]
	global_load_dwordx4 v[14:17], v[0:1], off
	global_load_dwordx4 v[18:21], v[0:1], off offset:48
	global_load_dwordx4 v[22:25], v[0:1], off offset:32
	;; [unrolled: 1-line block ×6, first 2 shown]
	global_load_dwordx4 v[70:73], v[30:31], off
	s_waitcnt vmcnt(0)
	v_fmac_f64_e32 v[2:3], v[14:15], v[70:71]
	v_fmac_f64_e32 v[56:57], v[16:17], v[70:71]
	;; [unrolled: 1-line block ×7, first 2 shown]
	v_fma_f64 v[30:31], -v[16:17], v[72:73], v[2:3]
	v_fmac_f64_e32 v[56:57], v[14:15], v[72:73]
	v_fma_f64 v[74:75], -v[28:29], v[72:73], v[4:5]
	v_fma_f64 v[6:7], -v[24:25], v[72:73], v[6:7]
	v_fmac_f64_e32 v[52:53], v[22:23], v[72:73]
	v_fma_f64 v[10:11], -v[20:21], v[72:73], v[10:11]
	v_fmac_f64_e32 v[44:45], v[18:19], v[72:73]
	global_load_dwordx4 v[2:5], v[0:1], off offset:112
	global_load_dwordx4 v[14:17], v[0:1], off offset:96
	global_load_dwordx4 v[18:21], v[0:1], off offset:80
	global_load_dwordx4 v[22:25], v[0:1], off offset:64
	v_fmac_f64_e32 v[54:55], v[28:29], v[70:71]
	v_fmac_f64_e32 v[54:55], v[26:27], v[72:73]
	s_waitcnt vmcnt(3)
	v_fmac_f64_e32 v[10:11], v[2:3], v[66:67]
	s_waitcnt vmcnt(2)
	;; [unrolled: 2-line block ×4, first 2 shown]
	v_fmac_f64_e32 v[30:31], v[22:23], v[66:67]
	v_fmac_f64_e32 v[56:57], v[24:25], v[66:67]
	;; [unrolled: 1-line block ×5, first 2 shown]
	v_fma_f64 v[26:27], -v[24:25], v[68:69], v[30:31]
	v_fmac_f64_e32 v[56:57], v[22:23], v[68:69]
	v_fma_f64 v[28:29], -v[20:21], v[68:69], v[74:75]
	v_fmac_f64_e32 v[54:55], v[18:19], v[68:69]
	;; [unrolled: 2-line block ×4, first 2 shown]
	global_load_dwordx4 v[2:5], v[0:1], off offset:176
	global_load_dwordx4 v[14:17], v[0:1], off offset:160
	;; [unrolled: 1-line block ×4, first 2 shown]
	s_waitcnt vmcnt(3)
	v_fmac_f64_e32 v[10:11], v[2:3], v[62:63]
	s_waitcnt vmcnt(2)
	v_fmac_f64_e32 v[6:7], v[14:15], v[62:63]
	;; [unrolled: 2-line block ×4, first 2 shown]
	v_fmac_f64_e32 v[56:57], v[24:25], v[62:63]
	v_fmac_f64_e32 v[54:55], v[20:21], v[62:63]
	;; [unrolled: 1-line block ×3, first 2 shown]
	v_fma_f64 v[26:27], -v[24:25], v[64:65], v[26:27]
	v_fmac_f64_e32 v[56:57], v[22:23], v[64:65]
	v_fma_f64 v[28:29], -v[20:21], v[64:65], v[28:29]
	v_fmac_f64_e32 v[54:55], v[18:19], v[64:65]
	;; [unrolled: 2-line block ×4, first 2 shown]
	global_load_dwordx4 v[14:17], v[0:1], off offset:240
	global_load_dwordx4 v[18:21], v[0:1], off offset:224
	;; [unrolled: 1-line block ×4, first 2 shown]
	v_fmac_f64_e32 v[44:45], v[2:3], v[64:65]
	s_waitcnt vmcnt(3)
	v_fmac_f64_e32 v[10:11], v[14:15], v[58:59]
	s_waitcnt vmcnt(2)
	;; [unrolled: 2-line block ×3, first 2 shown]
	v_fmac_f64_e32 v[28:29], v[4:5], v[58:59]
	v_fma_f64 v[2:3], -v[6:7], v[60:61], v[28:29]
	v_fmac_f64_e32 v[54:55], v[6:7], v[58:59]
	v_fma_f64 v[6:7], -v[16:17], v[60:61], v[10:11]
	global_load_dword v10, v[8:9], off offset:64
	v_fmac_f64_e32 v[54:55], v[4:5], v[60:61]
	v_fma_f64 v[4:5], -v[20:21], v[60:61], v[30:31]
	v_add_co_u32_e32 v30, vcc, s13, v50
	v_addc_co_u32_e32 v31, vcc, 0, v51, vcc
	s_waitcnt vmcnt(1)
	v_fmac_f64_e32 v[26:27], v[22:23], v[58:59]
	v_fmac_f64_e32 v[56:57], v[24:25], v[58:59]
	;; [unrolled: 1-line block ×4, first 2 shown]
	v_fma_f64 v[0:1], -v[24:25], v[60:61], v[26:27]
	v_fmac_f64_e32 v[56:57], v[22:23], v[60:61]
	v_fmac_f64_e32 v[52:53], v[18:19], v[60:61]
	;; [unrolled: 1-line block ×3, first 2 shown]
	global_load_dwordx4 v[14:17], v[30:31], off
	global_load_dwordx4 v[18:21], v[30:31], off offset:48
	global_load_dwordx4 v[22:25], v[30:31], off offset:32
	;; [unrolled: 1-line block ×3, first 2 shown]
	s_waitcnt vmcnt(4)
	v_subrev_u32_e32 v10, s20, v10
	v_lshlrev_b32_e32 v10, 2, v10
	v_ashrrev_i32_e32 v11, 31, v10
	v_lshlrev_b64 v[10:11], 4, v[10:11]
	v_add_co_u32_e32 v10, vcc, s4, v10
	v_addc_co_u32_e32 v11, vcc, v12, v11, vcc
	global_load_dwordx4 v[66:69], v[10:11], off offset:48
	global_load_dwordx4 v[58:61], v[10:11], off offset:32
	;; [unrolled: 1-line block ×3, first 2 shown]
	global_load_dwordx4 v[70:73], v[10:11], off
	v_add_co_u32_e32 v46, vcc, 64, v46
	v_addc_co_u32_e32 v47, vcc, 0, v47, vcc
	v_add_co_u32_e32 v8, vcc, 0x100, v8
	v_addc_co_u32_e32 v9, vcc, 0, v9, vcc
	v_cmp_ge_i64_e64 s[0:1], v[46:47], v[48:49]
	v_add_co_u32_e32 v50, vcc, 0x4000, v50
	v_addc_co_u32_e32 v51, vcc, 0, v51, vcc
	s_or_b64 s[10:11], s[0:1], s[10:11]
	s_waitcnt vmcnt(0)
	v_fmac_f64_e32 v[0:1], v[14:15], v[70:71]
	v_fmac_f64_e32 v[56:57], v[16:17], v[70:71]
	;; [unrolled: 1-line block ×8, first 2 shown]
	v_fma_f64 v[10:11], -v[16:17], v[72:73], v[0:1]
	v_fmac_f64_e32 v[56:57], v[14:15], v[72:73]
	v_fma_f64 v[74:75], -v[28:29], v[72:73], v[2:3]
	v_fmac_f64_e32 v[54:55], v[26:27], v[72:73]
	v_fma_f64 v[26:27], -v[24:25], v[72:73], v[4:5]
	v_fmac_f64_e32 v[52:53], v[22:23], v[72:73]
	v_fma_f64 v[22:23], -v[20:21], v[72:73], v[6:7]
	v_fmac_f64_e32 v[44:45], v[18:19], v[72:73]
	global_load_dwordx4 v[0:3], v[30:31], off offset:112
	global_load_dwordx4 v[4:7], v[30:31], off offset:96
	global_load_dwordx4 v[14:17], v[30:31], off offset:80
	global_load_dwordx4 v[18:21], v[30:31], off offset:64
	s_waitcnt vmcnt(3)
	v_fmac_f64_e32 v[22:23], v[0:1], v[62:63]
	s_waitcnt vmcnt(2)
	v_fmac_f64_e32 v[26:27], v[4:5], v[62:63]
	s_waitcnt vmcnt(1)
	v_fmac_f64_e32 v[74:75], v[14:15], v[62:63]
	s_waitcnt vmcnt(0)
	v_fmac_f64_e32 v[10:11], v[18:19], v[62:63]
	v_fmac_f64_e32 v[56:57], v[20:21], v[62:63]
	v_fmac_f64_e32 v[54:55], v[16:17], v[62:63]
	v_fmac_f64_e32 v[52:53], v[6:7], v[62:63]
	v_fmac_f64_e32 v[44:45], v[2:3], v[62:63]
	v_fma_f64 v[10:11], -v[20:21], v[64:65], v[10:11]
	v_fmac_f64_e32 v[56:57], v[18:19], v[64:65]
	v_fma_f64 v[24:25], -v[16:17], v[64:65], v[74:75]
	v_fmac_f64_e32 v[54:55], v[14:15], v[64:65]
	v_fma_f64 v[26:27], -v[6:7], v[64:65], v[26:27]
	v_fmac_f64_e32 v[52:53], v[4:5], v[64:65]
	v_fma_f64 v[22:23], -v[2:3], v[64:65], v[22:23]
	v_fmac_f64_e32 v[44:45], v[0:1], v[64:65]
	global_load_dwordx4 v[0:3], v[30:31], off offset:176
	global_load_dwordx4 v[4:7], v[30:31], off offset:160
	global_load_dwordx4 v[14:17], v[30:31], off offset:144
	global_load_dwordx4 v[18:21], v[30:31], off offset:128
	s_waitcnt vmcnt(3)
	v_fmac_f64_e32 v[22:23], v[0:1], v[58:59]
	s_waitcnt vmcnt(2)
	v_fmac_f64_e32 v[26:27], v[4:5], v[58:59]
	s_waitcnt vmcnt(1)
	v_fmac_f64_e32 v[24:25], v[14:15], v[58:59]
	s_waitcnt vmcnt(0)
	v_fmac_f64_e32 v[10:11], v[18:19], v[58:59]
	v_fmac_f64_e32 v[56:57], v[20:21], v[58:59]
	v_fmac_f64_e32 v[54:55], v[16:17], v[58:59]
	v_fmac_f64_e32 v[52:53], v[6:7], v[58:59]
	v_fmac_f64_e32 v[44:45], v[2:3], v[58:59]
	;; [unrolled: 24-line block ×3, first 2 shown]
	v_fma_f64 v[64:65], -v[20:21], v[68:69], v[10:11]
	v_fmac_f64_e32 v[56:57], v[18:19], v[68:69]
	v_fma_f64 v[62:63], -v[16:17], v[68:69], v[24:25]
	v_fmac_f64_e32 v[54:55], v[14:15], v[68:69]
	;; [unrolled: 2-line block ×4, first 2 shown]
	s_andn2_b64 exec, exec, s[10:11]
	s_cbranch_execnz .LBB37_35
; %bb.36:
	s_or_b64 exec, exec, s[10:11]
.LBB37_37:
	s_or_b64 exec, exec, s[8:9]
.LBB37_38:
	s_or_b64 exec, exec, s[2:3]
.LBB37_39:
	v_mov_b32_dpp v0, v64 row_shr:1 row_mask:0xf bank_mask:0xf
	v_mov_b32_dpp v1, v65 row_shr:1 row_mask:0xf bank_mask:0xf
	v_mov_b32_dpp v4, v56 row_shr:1 row_mask:0xf bank_mask:0xf
	v_mov_b32_dpp v5, v57 row_shr:1 row_mask:0xf bank_mask:0xf
	v_mov_b32_dpp v8, v62 row_shr:1 row_mask:0xf bank_mask:0xf
	v_mov_b32_dpp v9, v63 row_shr:1 row_mask:0xf bank_mask:0xf
	v_mov_b32_dpp v12, v54 row_shr:1 row_mask:0xf bank_mask:0xf
	v_mov_b32_dpp v13, v55 row_shr:1 row_mask:0xf bank_mask:0xf
	v_mov_b32_dpp v16, v60 row_shr:1 row_mask:0xf bank_mask:0xf
	v_mov_b32_dpp v17, v61 row_shr:1 row_mask:0xf bank_mask:0xf
	v_mov_b32_dpp v20, v52 row_shr:1 row_mask:0xf bank_mask:0xf
	v_mov_b32_dpp v21, v53 row_shr:1 row_mask:0xf bank_mask:0xf
	v_mov_b32_dpp v24, v58 row_shr:1 row_mask:0xf bank_mask:0xf
	v_mov_b32_dpp v25, v59 row_shr:1 row_mask:0xf bank_mask:0xf
	v_mov_b32_dpp v28, v44 row_shr:1 row_mask:0xf bank_mask:0xf
	v_mov_b32_dpp v29, v45 row_shr:1 row_mask:0xf bank_mask:0xf
	v_add_f64 v[0:1], v[64:65], v[0:1]
	v_add_f64 v[4:5], v[56:57], v[4:5]
	v_add_f64 v[8:9], v[62:63], v[8:9]
	v_add_f64 v[12:13], v[54:55], v[12:13]
	v_add_f64 v[16:17], v[60:61], v[16:17]
	v_add_f64 v[20:21], v[52:53], v[20:21]
	v_add_f64 v[24:25], v[58:59], v[24:25]
	v_add_f64 v[28:29], v[44:45], v[28:29]
	v_mov_b32_dpp v2, v0 row_shr:2 row_mask:0xf bank_mask:0xf
	v_mov_b32_dpp v3, v1 row_shr:2 row_mask:0xf bank_mask:0xf
	v_mov_b32_dpp v6, v4 row_shr:2 row_mask:0xf bank_mask:0xf
	v_mov_b32_dpp v7, v5 row_shr:2 row_mask:0xf bank_mask:0xf
	v_mov_b32_dpp v10, v8 row_shr:2 row_mask:0xf bank_mask:0xf
	v_mov_b32_dpp v11, v9 row_shr:2 row_mask:0xf bank_mask:0xf
	v_mov_b32_dpp v14, v12 row_shr:2 row_mask:0xf bank_mask:0xf
	v_mov_b32_dpp v15, v13 row_shr:2 row_mask:0xf bank_mask:0xf
	v_mov_b32_dpp v18, v16 row_shr:2 row_mask:0xf bank_mask:0xf
	v_mov_b32_dpp v19, v17 row_shr:2 row_mask:0xf bank_mask:0xf
	v_mov_b32_dpp v22, v20 row_shr:2 row_mask:0xf bank_mask:0xf
	v_mov_b32_dpp v23, v21 row_shr:2 row_mask:0xf bank_mask:0xf
	v_mov_b32_dpp v26, v24 row_shr:2 row_mask:0xf bank_mask:0xf
	v_mov_b32_dpp v27, v25 row_shr:2 row_mask:0xf bank_mask:0xf
	v_mov_b32_dpp v30, v28 row_shr:2 row_mask:0xf bank_mask:0xf
	v_mov_b32_dpp v31, v29 row_shr:2 row_mask:0xf bank_mask:0xf
	v_add_f64 v[0:1], v[0:1], v[2:3]
	v_add_f64 v[4:5], v[4:5], v[6:7]
	v_add_f64 v[8:9], v[8:9], v[10:11]
	v_add_f64 v[12:13], v[12:13], v[14:15]
	v_add_f64 v[16:17], v[16:17], v[18:19]
	v_add_f64 v[20:21], v[20:21], v[22:23]
	v_add_f64 v[24:25], v[24:25], v[26:27]
	v_add_f64 v[28:29], v[28:29], v[30:31]
	;; [unrolled: 24-line block ×3, first 2 shown]
	v_mov_b32_dpp v2, v0 row_shr:8 row_mask:0xf bank_mask:0xc
	v_mov_b32_dpp v3, v1 row_shr:8 row_mask:0xf bank_mask:0xc
	v_mov_b32_dpp v6, v4 row_shr:8 row_mask:0xf bank_mask:0xc
	v_mov_b32_dpp v7, v5 row_shr:8 row_mask:0xf bank_mask:0xc
	v_mov_b32_dpp v10, v8 row_shr:8 row_mask:0xf bank_mask:0xc
	v_mov_b32_dpp v11, v9 row_shr:8 row_mask:0xf bank_mask:0xc
	v_mov_b32_dpp v14, v12 row_shr:8 row_mask:0xf bank_mask:0xc
	v_mov_b32_dpp v15, v13 row_shr:8 row_mask:0xf bank_mask:0xc
	v_mov_b32_dpp v18, v16 row_shr:8 row_mask:0xf bank_mask:0xc
	v_mov_b32_dpp v19, v17 row_shr:8 row_mask:0xf bank_mask:0xc
	v_mov_b32_dpp v22, v20 row_shr:8 row_mask:0xf bank_mask:0xc
	v_mov_b32_dpp v23, v21 row_shr:8 row_mask:0xf bank_mask:0xc
	v_mov_b32_dpp v26, v24 row_shr:8 row_mask:0xf bank_mask:0xc
	v_mov_b32_dpp v27, v25 row_shr:8 row_mask:0xf bank_mask:0xc
	v_mov_b32_dpp v30, v28 row_shr:8 row_mask:0xf bank_mask:0xc
	v_mov_b32_dpp v31, v29 row_shr:8 row_mask:0xf bank_mask:0xc
	v_cmp_eq_u32_e32 vcc, 15, v42
	s_and_b64 exec, exec, vcc
	s_cbranch_execz .LBB37_12
; %bb.40:
	s_load_dwordx2 s[2:3], s[6:7], 0x60
	v_add_f64 v[42:43], v[0:1], v[2:3]
	v_add_f64 v[0:1], v[4:5], v[6:7]
	;; [unrolled: 1-line block ×8, first 2 shown]
	v_cmp_eq_f64_e32 vcc, 0, v[32:33]
	v_cmp_eq_f64_e64 s[0:1], 0, v[34:35]
	v_mul_f64 v[12:13], v[0:1], -v[38:39]
	v_mul_f64 v[14:15], v[36:37], v[0:1]
	v_mul_f64 v[8:9], v[2:3], -v[38:39]
	v_mul_f64 v[10:11], v[36:37], v[2:3]
	;; [unrolled: 2-line block ×4, first 2 shown]
	s_and_b64 s[0:1], vcc, s[0:1]
	v_fmac_f64_e32 v[12:13], v[36:37], v[42:43]
	v_fmac_f64_e32 v[14:15], v[38:39], v[42:43]
	v_lshlrev_b32_e32 v16, 2, v40
	v_fmac_f64_e32 v[8:9], v[36:37], v[44:45]
	v_fmac_f64_e32 v[10:11], v[38:39], v[44:45]
	;; [unrolled: 1-line block ×6, first 2 shown]
	s_and_saveexec_b64 s[4:5], s[0:1]
	s_xor_b64 s[0:1], exec, s[4:5]
	s_cbranch_execz .LBB37_42
; %bb.41:
	v_ashrrev_i32_e32 v17, 31, v16
	v_lshlrev_b64 v[16:17], 4, v[16:17]
	s_waitcnt lgkmcnt(0)
	v_mov_b32_e32 v18, s3
	v_add_co_u32_e32 v16, vcc, s2, v16
	v_addc_co_u32_e32 v17, vcc, v18, v17, vcc
	global_store_dwordx4 v[16:17], v[12:15], off
	global_store_dwordx4 v[16:17], v[8:11], off offset:16
	global_store_dwordx4 v[16:17], v[4:7], off offset:32
	;; [unrolled: 1-line block ×3, first 2 shown]
                                        ; implicit-def: $vgpr32_vgpr33
                                        ; implicit-def: $vgpr34_vgpr35
                                        ; implicit-def: $vgpr12_vgpr13
                                        ; implicit-def: $vgpr16
                                        ; implicit-def: $vgpr8_vgpr9
                                        ; implicit-def: $vgpr4_vgpr5
                                        ; implicit-def: $vgpr0_vgpr1
.LBB37_42:
	s_andn2_saveexec_b64 s[0:1], s[0:1]
	s_cbranch_execz .LBB37_12
; %bb.43:
	v_ashrrev_i32_e32 v17, 31, v16
	v_lshlrev_b64 v[16:17], 4, v[16:17]
	s_waitcnt lgkmcnt(0)
	v_mov_b32_e32 v18, s3
	v_add_co_u32_e32 v36, vcc, s2, v16
	v_addc_co_u32_e32 v37, vcc, v18, v17, vcc
	global_load_dwordx4 v[16:19], v[36:37], off
	global_load_dwordx4 v[20:23], v[36:37], off offset:16
	global_load_dwordx4 v[24:27], v[36:37], off offset:32
	;; [unrolled: 1-line block ×3, first 2 shown]
	s_waitcnt vmcnt(3)
	v_fmac_f64_e32 v[12:13], v[32:33], v[16:17]
	v_fmac_f64_e32 v[14:15], v[34:35], v[16:17]
	s_waitcnt vmcnt(2)
	v_fmac_f64_e32 v[8:9], v[32:33], v[20:21]
	v_fmac_f64_e32 v[10:11], v[34:35], v[20:21]
	;; [unrolled: 3-line block ×4, first 2 shown]
	v_fma_f64 v[12:13], -v[34:35], v[18:19], v[12:13]
	v_fmac_f64_e32 v[14:15], v[32:33], v[18:19]
	v_fma_f64 v[8:9], -v[34:35], v[22:23], v[8:9]
	v_fmac_f64_e32 v[10:11], v[32:33], v[22:23]
	;; [unrolled: 2-line block ×4, first 2 shown]
	global_store_dwordx4 v[36:37], v[12:15], off
	global_store_dwordx4 v[36:37], v[8:11], off offset:16
	global_store_dwordx4 v[36:37], v[4:7], off offset:32
	;; [unrolled: 1-line block ×3, first 2 shown]
	s_endpgm
	.section	.rodata,"a",@progbits
	.p2align	6, 0x0
	.amdhsa_kernel _ZN9rocsparseL18bsrxmvn_4x4_kernelILj128ELj16E21rocsparse_complex_numIdEliS2_S2_S2_EEvT3_20rocsparse_direction_NS_24const_host_device_scalarIT1_EES3_PKS3_PKT2_SC_S9_PKT4_PKT5_S7_PT6_21rocsparse_index_base_b
		.amdhsa_group_segment_fixed_size 2048
		.amdhsa_private_segment_fixed_size 0
		.amdhsa_kernarg_size 112
		.amdhsa_user_sgpr_count 8
		.amdhsa_user_sgpr_private_segment_buffer 1
		.amdhsa_user_sgpr_dispatch_ptr 1
		.amdhsa_user_sgpr_queue_ptr 0
		.amdhsa_user_sgpr_kernarg_segment_ptr 1
		.amdhsa_user_sgpr_dispatch_id 0
		.amdhsa_user_sgpr_flat_scratch_init 0
		.amdhsa_user_sgpr_kernarg_preload_length 0
		.amdhsa_user_sgpr_kernarg_preload_offset 0
		.amdhsa_user_sgpr_private_segment_size 0
		.amdhsa_uses_dynamic_stack 0
		.amdhsa_system_sgpr_private_segment_wavefront_offset 0
		.amdhsa_system_sgpr_workgroup_id_x 1
		.amdhsa_system_sgpr_workgroup_id_y 0
		.amdhsa_system_sgpr_workgroup_id_z 0
		.amdhsa_system_sgpr_workgroup_info 0
		.amdhsa_system_vgpr_workitem_id 2
		.amdhsa_next_free_vgpr 130
		.amdhsa_next_free_sgpr 23
		.amdhsa_accum_offset 132
		.amdhsa_reserve_vcc 1
		.amdhsa_reserve_flat_scratch 0
		.amdhsa_float_round_mode_32 0
		.amdhsa_float_round_mode_16_64 0
		.amdhsa_float_denorm_mode_32 3
		.amdhsa_float_denorm_mode_16_64 3
		.amdhsa_dx10_clamp 1
		.amdhsa_ieee_mode 1
		.amdhsa_fp16_overflow 0
		.amdhsa_tg_split 0
		.amdhsa_exception_fp_ieee_invalid_op 0
		.amdhsa_exception_fp_denorm_src 0
		.amdhsa_exception_fp_ieee_div_zero 0
		.amdhsa_exception_fp_ieee_overflow 0
		.amdhsa_exception_fp_ieee_underflow 0
		.amdhsa_exception_fp_ieee_inexact 0
		.amdhsa_exception_int_div_zero 0
	.end_amdhsa_kernel
	.section	.text._ZN9rocsparseL18bsrxmvn_4x4_kernelILj128ELj16E21rocsparse_complex_numIdEliS2_S2_S2_EEvT3_20rocsparse_direction_NS_24const_host_device_scalarIT1_EES3_PKS3_PKT2_SC_S9_PKT4_PKT5_S7_PT6_21rocsparse_index_base_b,"axG",@progbits,_ZN9rocsparseL18bsrxmvn_4x4_kernelILj128ELj16E21rocsparse_complex_numIdEliS2_S2_S2_EEvT3_20rocsparse_direction_NS_24const_host_device_scalarIT1_EES3_PKS3_PKT2_SC_S9_PKT4_PKT5_S7_PT6_21rocsparse_index_base_b,comdat
.Lfunc_end37:
	.size	_ZN9rocsparseL18bsrxmvn_4x4_kernelILj128ELj16E21rocsparse_complex_numIdEliS2_S2_S2_EEvT3_20rocsparse_direction_NS_24const_host_device_scalarIT1_EES3_PKS3_PKT2_SC_S9_PKT4_PKT5_S7_PT6_21rocsparse_index_base_b, .Lfunc_end37-_ZN9rocsparseL18bsrxmvn_4x4_kernelILj128ELj16E21rocsparse_complex_numIdEliS2_S2_S2_EEvT3_20rocsparse_direction_NS_24const_host_device_scalarIT1_EES3_PKS3_PKT2_SC_S9_PKT4_PKT5_S7_PT6_21rocsparse_index_base_b
                                        ; -- End function
	.section	.AMDGPU.csdata,"",@progbits
; Kernel info:
; codeLenInByte = 8540
; NumSgprs: 27
; NumVgprs: 130
; NumAgprs: 0
; TotalNumVgprs: 130
; ScratchSize: 0
; MemoryBound: 1
; FloatMode: 240
; IeeeMode: 1
; LDSByteSize: 2048 bytes/workgroup (compile time only)
; SGPRBlocks: 3
; VGPRBlocks: 16
; NumSGPRsForWavesPerEU: 27
; NumVGPRsForWavesPerEU: 130
; AccumOffset: 132
; Occupancy: 3
; WaveLimiterHint : 1
; COMPUTE_PGM_RSRC2:SCRATCH_EN: 0
; COMPUTE_PGM_RSRC2:USER_SGPR: 8
; COMPUTE_PGM_RSRC2:TRAP_HANDLER: 0
; COMPUTE_PGM_RSRC2:TGID_X_EN: 1
; COMPUTE_PGM_RSRC2:TGID_Y_EN: 0
; COMPUTE_PGM_RSRC2:TGID_Z_EN: 0
; COMPUTE_PGM_RSRC2:TIDIG_COMP_CNT: 2
; COMPUTE_PGM_RSRC3_GFX90A:ACCUM_OFFSET: 32
; COMPUTE_PGM_RSRC3_GFX90A:TG_SPLIT: 0
	.section	.text._ZN9rocsparseL18bsrxmvn_4x4_kernelILj128ELj32E21rocsparse_complex_numIdEliS2_S2_S2_EEvT3_20rocsparse_direction_NS_24const_host_device_scalarIT1_EES3_PKS3_PKT2_SC_S9_PKT4_PKT5_S7_PT6_21rocsparse_index_base_b,"axG",@progbits,_ZN9rocsparseL18bsrxmvn_4x4_kernelILj128ELj32E21rocsparse_complex_numIdEliS2_S2_S2_EEvT3_20rocsparse_direction_NS_24const_host_device_scalarIT1_EES3_PKS3_PKT2_SC_S9_PKT4_PKT5_S7_PT6_21rocsparse_index_base_b,comdat
	.globl	_ZN9rocsparseL18bsrxmvn_4x4_kernelILj128ELj32E21rocsparse_complex_numIdEliS2_S2_S2_EEvT3_20rocsparse_direction_NS_24const_host_device_scalarIT1_EES3_PKS3_PKT2_SC_S9_PKT4_PKT5_S7_PT6_21rocsparse_index_base_b ; -- Begin function _ZN9rocsparseL18bsrxmvn_4x4_kernelILj128ELj32E21rocsparse_complex_numIdEliS2_S2_S2_EEvT3_20rocsparse_direction_NS_24const_host_device_scalarIT1_EES3_PKS3_PKT2_SC_S9_PKT4_PKT5_S7_PT6_21rocsparse_index_base_b
	.p2align	8
	.type	_ZN9rocsparseL18bsrxmvn_4x4_kernelILj128ELj32E21rocsparse_complex_numIdEliS2_S2_S2_EEvT3_20rocsparse_direction_NS_24const_host_device_scalarIT1_EES3_PKS3_PKT2_SC_S9_PKT4_PKT5_S7_PT6_21rocsparse_index_base_b,@function
_ZN9rocsparseL18bsrxmvn_4x4_kernelILj128ELj32E21rocsparse_complex_numIdEliS2_S2_S2_EEvT3_20rocsparse_direction_NS_24const_host_device_scalarIT1_EES3_PKS3_PKT2_SC_S9_PKT4_PKT5_S7_PT6_21rocsparse_index_base_b: ; @_ZN9rocsparseL18bsrxmvn_4x4_kernelILj128ELj32E21rocsparse_complex_numIdEliS2_S2_S2_EEvT3_20rocsparse_direction_NS_24const_host_device_scalarIT1_EES3_PKS3_PKT2_SC_S9_PKT4_PKT5_S7_PT6_21rocsparse_index_base_b
; %bb.0:
	s_load_dwordx2 s[20:21], s[6:7], 0x68
	s_load_dwordx4 s[12:15], s[6:7], 0x8
	s_load_dwordx2 s[10:11], s[4:5], 0x4
	s_load_dwordx4 s[16:19], s[6:7], 0x50
	s_mov_b64 s[2:3], src_shared_base
	v_bfe_u32 v2, v0, 10, 10
	s_waitcnt lgkmcnt(0)
	s_bitcmp1_b32 s21, 0
	s_cselect_b64 s[0:1], -1, 0
	s_and_b64 vcc, s[0:1], exec
	s_cselect_b32 s2, s3, s13
	s_lshr_b32 s4, s10, 16
	v_and_b32_e32 v1, 0x3ff, v0
	s_mul_i32 s4, s4, s11
	v_mul_u32_u24_e32 v2, s11, v2
	v_mad_u32_u24 v2, s4, v1, v2
	v_bfe_u32 v0, v0, 20, 10
	v_add_lshl_u32 v0, v2, v0, 3
	v_mov_b32_e32 v6, s12
	v_add_u32_e32 v7, 0x400, v0
	v_pk_mov_b32 v[2:3], s[12:13], s[12:13] op_sel:[0,1]
	v_pk_mov_b32 v[4:5], s[16:17], s[16:17] op_sel:[0,1]
	ds_write2st64_b64 v0, v[4:5], v[2:3] offset1:2
	v_cndmask_b32_e64 v2, v6, v7, s[0:1]
	v_mov_b32_e32 v3, s2
	flat_load_dwordx2 v[40:41], v[2:3]
	s_xor_b64 s[4:5], s[0:1], -1
	v_pk_mov_b32 v[42:43], s[14:15], s[14:15] op_sel:[0,1]
	s_cbranch_vccnz .LBB38_2
; %bb.1:
	v_pk_mov_b32 v[2:3], s[12:13], s[12:13] op_sel:[0,1]
	flat_load_dwordx2 v[42:43], v[2:3] offset:8
.LBB38_2:
	s_and_b64 s[10:11], s[0:1], exec
	s_cselect_b32 s2, s3, s17
	v_mov_b32_e32 v2, s16
	v_cndmask_b32_e64 v2, v2, v0, s[0:1]
	v_mov_b32_e32 v3, s2
	flat_load_dwordx2 v[36:37], v[2:3]
	s_andn2_b64 vcc, exec, s[4:5]
	v_pk_mov_b32 v[38:39], s[18:19], s[18:19] op_sel:[0,1]
	s_cbranch_vccnz .LBB38_4
; %bb.3:
	v_pk_mov_b32 v[2:3], s[16:17], s[16:17] op_sel:[0,1]
	flat_load_dwordx2 v[38:39], v[2:3] offset:8
.LBB38_4:
	s_waitcnt vmcnt(0) lgkmcnt(0)
	v_cmp_eq_f64_e32 vcc, 0, v[40:41]
	v_cmp_eq_f64_e64 s[0:1], 0, v[42:43]
	s_and_b64 s[4:5], vcc, s[0:1]
	s_mov_b64 s[0:1], -1
	s_and_saveexec_b64 s[2:3], s[4:5]
; %bb.5:
	v_cmp_neq_f64_e32 vcc, 1.0, v[36:37]
	v_cmp_neq_f64_e64 s[0:1], 0, v[38:39]
	s_or_b64 s[0:1], vcc, s[0:1]
	s_orn2_b64 s[0:1], s[0:1], exec
; %bb.6:
	s_or_b64 exec, exec, s[2:3]
	s_and_saveexec_b64 s[2:3], s[0:1]
	s_cbranch_execz .LBB38_12
; %bb.7:
	s_load_dwordx2 s[4:5], s[6:7], 0x20
	s_load_dwordx2 s[0:1], s[6:7], 0x0
	v_lshrrev_b32_e32 v0, 5, v1
	v_lshl_or_b32 v44, s8, 2, v0
	s_mov_b64 s[2:3], 0
	s_waitcnt lgkmcnt(0)
	s_cmp_lg_u64 s[4:5], 0
	s_cbranch_scc0 .LBB38_13
; %bb.8:
	s_load_dword s8, s[6:7], 0x18
                                        ; implicit-def: $vgpr0
	s_waitcnt lgkmcnt(0)
	v_cmp_gt_i32_e32 vcc, s8, v44
	s_and_saveexec_b64 s[8:9], vcc
	s_xor_b64 s[8:9], exec, s[8:9]
	s_cbranch_execz .LBB38_10
; %bb.9:
	v_ashrrev_i32_e32 v45, 31, v44
	v_lshlrev_b64 v[2:3], 2, v[44:45]
	v_mov_b32_e32 v0, s5
	v_add_co_u32_e32 v2, vcc, s4, v2
	v_addc_co_u32_e32 v3, vcc, v0, v3, vcc
	global_load_dword v0, v[2:3], off
	s_mov_b64 s[2:3], exec
	s_waitcnt vmcnt(0)
	v_subrev_u32_e32 v0, s20, v0
.LBB38_10:
	s_or_b64 exec, exec, s[8:9]
	s_branch .LBB38_14
.LBB38_11:
	v_cmp_gt_i32_e32 vcc, s0, v44
	s_andn2_b64 s[2:3], s[2:3], exec
	s_and_b64 s[4:5], vcc, exec
	s_or_b64 s[2:3], s[2:3], s[4:5]
	s_and_b64 exec, exec, s[2:3]
	s_cbranch_execnz .LBB38_15
.LBB38_12:
	s_endpgm
.LBB38_13:
                                        ; implicit-def: $vgpr0
	s_cbranch_execnz .LBB38_11
.LBB38_14:
	v_mov_b32_e32 v44, v0
	s_and_b64 exec, exec, s[2:3]
	s_cbranch_execz .LBB38_12
.LBB38_15:
	s_load_dwordx8 s[8:15], s[6:7], 0x28
	v_ashrrev_i32_e32 v45, 31, v44
	v_lshlrev_b64 v[2:3], 3, v[44:45]
	v_and_b32_e32 v46, 31, v1
	s_load_dwordx2 s[4:5], s[6:7], 0x48
	s_waitcnt lgkmcnt(0)
	v_mov_b32_e32 v0, s9
	v_add_co_u32_e32 v4, vcc, s8, v2
	v_addc_co_u32_e32 v5, vcc, v0, v3, vcc
	v_add_co_u32_e32 v0, vcc, 8, v4
	global_load_dwordx2 v[16:17], v[4:5], off
	v_addc_co_u32_e32 v4, vcc, 0, v5, vcc
	v_mov_b32_e32 v5, s11
	v_add_co_u32_e32 v2, vcc, s10, v2
	s_cmp_eq_u64 s[10:11], 0
	v_addc_co_u32_e32 v3, vcc, v5, v3, vcc
	s_cselect_b64 vcc, -1, 0
	v_cndmask_b32_e32 v3, v3, v4, vcc
	v_cndmask_b32_e32 v2, v2, v0, vcc
	global_load_dwordx2 v[2:3], v[2:3], off
	v_mov_b32_e32 v4, s15
	s_mov_b32 s18, 0
	s_cmp_eq_u32 s1, 1
	s_waitcnt vmcnt(1)
	v_subrev_co_u32_e32 v0, vcc, s20, v16
	v_subbrev_co_u32_e32 v1, vcc, 0, v17, vcc
	v_add_co_u32_e32 v52, vcc, v0, v46
	v_addc_co_u32_e32 v53, vcc, 0, v1, vcc
	v_lshlrev_b64 v[0:1], 8, v[52:53]
	s_waitcnt vmcnt(0)
	v_subrev_co_u32_e32 v54, vcc, s20, v2
	v_subbrev_co_u32_e32 v55, vcc, 0, v3, vcc
	v_add_co_u32_e32 v56, vcc, s14, v0
	v_addc_co_u32_e32 v57, vcc, v4, v1, vcc
	v_cmp_lt_i64_e64 s[0:1], v[52:53], v[54:55]
	s_cbranch_scc1 .LBB38_27
; %bb.16:
	v_pk_mov_b32 v[60:61], 0, 0
	s_mov_b64 s[8:9], 0
	v_pk_mov_b32 v[68:69], v[60:61], v[60:61] op_sel:[0,1]
	v_pk_mov_b32 v[62:63], v[60:61], v[60:61] op_sel:[0,1]
	;; [unrolled: 1-line block ×7, first 2 shown]
	s_and_saveexec_b64 s[10:11], s[0:1]
	s_cbranch_execz .LBB38_26
; %bb.17:
	v_or_b32_e32 v0, 32, v46
	v_mov_b32_e32 v1, s18
	v_subrev_co_u32_e32 v0, vcc, s20, v0
	v_subb_co_u32_e32 v1, vcc, 0, v1, vcc
	v_add_co_u32_e32 v0, vcc, v0, v16
	v_addc_co_u32_e32 v1, vcc, v1, v17, vcc
	v_cmp_gt_i64_e32 vcc, v[0:1], v[54:55]
	v_cndmask_b32_e32 v1, v55, v1, vcc
	v_cndmask_b32_e32 v0, v54, v0, vcc
	v_mov_b32_e32 v4, s18
	v_sub_co_u32_e32 v5, vcc, s20, v46
	v_not_b32_e32 v3, v16
	v_subbrev_co_u32_e32 v4, vcc, 0, v4, vcc
	v_not_b32_e32 v2, v17
	v_add_co_u32_e32 v3, vcc, v5, v3
	v_addc_co_u32_e32 v2, vcc, v4, v2, vcc
	v_add_co_u32_e32 v22, vcc, v3, v0
	v_lshrrev_b32_e32 v0, 5, v22
	v_add_u32_e32 v0, 1, v0
	v_addc_co_u32_e32 v23, vcc, v2, v1, vcc
	v_and_b32_e32 v0, 3, v0
	v_pk_mov_b32 v[58:59], 0, 0
	v_cmp_ne_u32_e32 vcc, 0, v0
	s_mov_b64 s[16:17], 0
	v_pk_mov_b32 v[66:67], v[58:59], v[58:59] op_sel:[0,1]
	v_pk_mov_b32 v[50:51], v[58:59], v[58:59] op_sel:[0,1]
	;; [unrolled: 1-line block ×9, first 2 shown]
	s_and_saveexec_b64 s[14:15], vcc
	s_cbranch_execz .LBB38_21
; %bb.18:
	v_lshlrev_b64 v[2:3], 2, v[52:53]
	v_mov_b32_e32 v1, s13
	v_add_co_u32_e32 v26, vcc, s12, v2
	v_pk_mov_b32 v[60:61], 0, 0
	v_mov_b32_e32 v25, 0
	v_addc_co_u32_e32 v27, vcc, v1, v3, vcc
	v_lshlrev_b32_e32 v24, 2, v0
	s_movk_i32 s19, 0x2000
	v_mov_b32_e32 v28, s5
	v_pk_mov_b32 v[20:21], v[52:53], v[52:53] op_sel:[0,1]
	v_pk_mov_b32 v[18:19], v[56:57], v[56:57] op_sel:[0,1]
	;; [unrolled: 1-line block ×9, first 2 shown]
.LBB38_19:                              ; =>This Inner Loop Header: Depth=1
	global_load_dword v29, v[26:27], off
	global_load_dwordx4 v[0:3], v[18:19], off offset:16
	global_load_dwordx4 v[4:7], v[18:19], off
	global_load_dwordx4 v[8:11], v[18:19], off offset:80
	global_load_dwordx4 v[12:15], v[18:19], off offset:64
	;; [unrolled: 1-line block ×14, first 2 shown]
	v_add_co_u32_e32 v18, vcc, s19, v18
	v_addc_co_u32_e32 v19, vcc, 0, v19, vcc
	v_add_co_u32_e32 v26, vcc, 0x80, v26
	v_addc_co_u32_e32 v27, vcc, 0, v27, vcc
	s_waitcnt vmcnt(16)
	v_subrev_u32_e32 v29, s20, v29
	v_lshlrev_b32_e32 v34, 2, v29
	v_ashrrev_i32_e32 v35, 31, v34
	v_lshlrev_b64 v[34:35], 4, v[34:35]
	v_add_co_u32_e64 v34, s[2:3], s4, v34
	v_addc_co_u32_e64 v35, s[2:3], v28, v35, s[2:3]
	global_load_dwordx4 v[114:117], v[34:35], off
	global_load_dwordx4 v[118:121], v[34:35], off offset:16
	global_load_dwordx4 v[122:125], v[34:35], off offset:32
	;; [unrolled: 1-line block ×3, first 2 shown]
	v_add_co_u32_e64 v20, s[2:3], 32, v20
	v_addc_co_u32_e64 v21, s[2:3], 0, v21, s[2:3]
	v_add_co_u32_e64 v24, s[2:3], -4, v24
	v_addc_co_u32_e64 v25, s[2:3], -1, v25, s[2:3]
	v_cmp_eq_u64_e64 s[2:3], 0, v[24:25]
	s_or_b64 s[16:17], s[2:3], s[16:17]
	s_waitcnt vmcnt(3)
	v_fmac_f64_e32 v[68:69], v[4:5], v[114:115]
	v_fmac_f64_e32 v[60:61], v[6:7], v[114:115]
	v_fmac_f64_e32 v[66:67], v[12:13], v[114:115]
	v_fmac_f64_e32 v[58:59], v[14:15], v[114:115]
	v_fmac_f64_e32 v[64:65], v[70:71], v[114:115]
	v_fmac_f64_e32 v[50:51], v[72:73], v[114:115]
	v_fmac_f64_e32 v[62:63], v[74:75], v[114:115]
	v_fmac_f64_e32 v[48:49], v[76:77], v[114:115]
	v_fma_f64 v[6:7], -v[6:7], v[116:117], v[68:69]
	v_fmac_f64_e32 v[60:61], v[4:5], v[116:117]
	v_fma_f64 v[4:5], -v[14:15], v[116:117], v[66:67]
	v_fmac_f64_e32 v[58:59], v[12:13], v[116:117]
	v_fma_f64 v[12:13], -v[72:73], v[116:117], v[64:65]
	v_fmac_f64_e32 v[50:51], v[70:71], v[116:117]
	v_fma_f64 v[14:15], -v[76:77], v[116:117], v[62:63]
	v_fmac_f64_e32 v[48:49], v[74:75], v[116:117]
	s_waitcnt vmcnt(2)
	v_fmac_f64_e32 v[6:7], v[0:1], v[118:119]
	v_fmac_f64_e32 v[60:61], v[2:3], v[118:119]
	v_fmac_f64_e32 v[4:5], v[8:9], v[118:119]
	v_fmac_f64_e32 v[58:59], v[10:11], v[118:119]
	v_fmac_f64_e32 v[12:13], v[30:31], v[118:119]
	v_fmac_f64_e32 v[50:51], v[32:33], v[118:119]
	v_fmac_f64_e32 v[14:15], v[78:79], v[118:119]
	v_fmac_f64_e32 v[48:49], v[80:81], v[118:119]
	v_fma_f64 v[2:3], -v[2:3], v[120:121], v[6:7]
	v_fmac_f64_e32 v[60:61], v[0:1], v[120:121]
	v_fma_f64 v[0:1], -v[10:11], v[120:121], v[4:5]
	v_fmac_f64_e32 v[58:59], v[8:9], v[120:121]
	v_fma_f64 v[4:5], -v[32:33], v[120:121], v[12:13]
	v_fmac_f64_e32 v[50:51], v[30:31], v[120:121]
	v_fma_f64 v[6:7], -v[80:81], v[120:121], v[14:15]
	v_fmac_f64_e32 v[48:49], v[78:79], v[120:121]
	;; [unrolled: 17-line block ×4, first 2 shown]
	s_andn2_b64 exec, exec, s[16:17]
	s_cbranch_execnz .LBB38_19
; %bb.20:
	s_or_b64 exec, exec, s[16:17]
.LBB38_21:
	s_or_b64 exec, exec, s[14:15]
	s_mov_b64 s[2:3], 0x5f
	v_cmp_lt_u64_e32 vcc, s[2:3], v[22:23]
	s_and_saveexec_b64 s[14:15], vcc
	s_cbranch_execz .LBB38_25
; %bb.22:
	v_lshlrev_b64 v[0:1], 2, v[20:21]
	v_mov_b32_e32 v2, s13
	v_add_co_u32_e32 v0, vcc, s12, v0
	v_addc_co_u32_e32 v1, vcc, v1, v2, vcc
	v_add_co_u32_e32 v22, vcc, 0x100, v0
	v_addc_co_u32_e32 v23, vcc, 0, v1, vcc
	s_mov_b64 s[16:17], 0
	v_mov_b32_e32 v28, s5
	s_movk_i32 s19, 0x2000
	s_movk_i32 s21, 0x4000
	s_movk_i32 s22, 0x6000
.LBB38_23:                              ; =>This Inner Loop Header: Depth=1
	global_load_dword v0, v[22:23], off offset:-256
	global_load_dwordx4 v[30:33], v[18:19], off offset:48
	global_load_dwordx4 v[24:27], v[18:19], off offset:32
	;; [unrolled: 1-line block ×3, first 2 shown]
	global_load_dwordx4 v[74:77], v[18:19], off
	s_waitcnt vmcnt(4)
	v_subrev_u32_e32 v0, s20, v0
	v_lshlrev_b32_e32 v0, 2, v0
	v_ashrrev_i32_e32 v1, 31, v0
	v_lshlrev_b64 v[0:1], 4, v[0:1]
	v_add_co_u32_e32 v34, vcc, s4, v0
	v_addc_co_u32_e32 v35, vcc, v28, v1, vcc
	global_load_dwordx4 v[0:3], v[34:35], off offset:48
	global_load_dwordx4 v[4:7], v[34:35], off offset:32
	;; [unrolled: 1-line block ×3, first 2 shown]
	global_load_dwordx4 v[12:15], v[34:35], off
	v_add_co_u32_e32 v80, vcc, s19, v18
	v_addc_co_u32_e32 v81, vcc, 0, v19, vcc
	s_waitcnt vmcnt(0)
	v_fmac_f64_e32 v[68:69], v[74:75], v[12:13]
	v_fmac_f64_e32 v[60:61], v[76:77], v[12:13]
	v_fma_f64 v[34:35], -v[76:77], v[14:15], v[68:69]
	v_fmac_f64_e32 v[60:61], v[74:75], v[14:15]
	v_fmac_f64_e32 v[34:35], v[70:71], v[8:9]
	v_fmac_f64_e32 v[60:61], v[72:73], v[8:9]
	v_fma_f64 v[34:35], -v[72:73], v[10:11], v[34:35]
	v_fmac_f64_e32 v[60:61], v[70:71], v[10:11]
	v_fmac_f64_e32 v[34:35], v[24:25], v[4:5]
	v_fmac_f64_e32 v[60:61], v[26:27], v[4:5]
	v_fma_f64 v[34:35], -v[26:27], v[6:7], v[34:35]
	v_fmac_f64_e32 v[60:61], v[24:25], v[6:7]
	v_fmac_f64_e32 v[34:35], v[30:31], v[0:1]
	v_fmac_f64_e32 v[60:61], v[32:33], v[0:1]
	v_fma_f64 v[24:25], -v[32:33], v[2:3], v[34:35]
	v_fmac_f64_e32 v[60:61], v[30:31], v[2:3]
	global_load_dwordx4 v[30:33], v[18:19], off offset:112
	global_load_dwordx4 v[68:71], v[18:19], off offset:96
	global_load_dwordx4 v[72:75], v[18:19], off offset:80
	global_load_dwordx4 v[76:79], v[18:19], off offset:64
	s_waitcnt vmcnt(0)
	v_fmac_f64_e32 v[66:67], v[76:77], v[12:13]
	v_fmac_f64_e32 v[58:59], v[78:79], v[12:13]
	v_fma_f64 v[26:27], -v[78:79], v[14:15], v[66:67]
	v_fmac_f64_e32 v[58:59], v[76:77], v[14:15]
	v_fmac_f64_e32 v[26:27], v[72:73], v[8:9]
	v_fmac_f64_e32 v[58:59], v[74:75], v[8:9]
	v_fma_f64 v[26:27], -v[74:75], v[10:11], v[26:27]
	v_fmac_f64_e32 v[58:59], v[72:73], v[10:11]
	v_fmac_f64_e32 v[26:27], v[68:69], v[4:5]
	v_fmac_f64_e32 v[58:59], v[70:71], v[4:5]
	v_fma_f64 v[26:27], -v[70:71], v[6:7], v[26:27]
	v_fmac_f64_e32 v[58:59], v[68:69], v[6:7]
	v_fmac_f64_e32 v[26:27], v[30:31], v[0:1]
	v_fmac_f64_e32 v[58:59], v[32:33], v[0:1]
	v_fma_f64 v[26:27], -v[32:33], v[2:3], v[26:27]
	v_fmac_f64_e32 v[58:59], v[30:31], v[2:3]
	global_load_dwordx4 v[30:33], v[18:19], off offset:176
	global_load_dwordx4 v[66:69], v[18:19], off offset:160
	global_load_dwordx4 v[70:73], v[18:19], off offset:144
	global_load_dwordx4 v[74:77], v[18:19], off offset:128
	;; [unrolled: 21-line block ×3, first 2 shown]
	s_waitcnt vmcnt(0)
	v_fmac_f64_e32 v[62:63], v[72:73], v[12:13]
	v_fmac_f64_e32 v[48:49], v[74:75], v[12:13]
	v_fma_f64 v[62:63], -v[74:75], v[14:15], v[62:63]
	v_fmac_f64_e32 v[48:49], v[72:73], v[14:15]
	v_fmac_f64_e32 v[62:63], v[68:69], v[8:9]
	v_fmac_f64_e32 v[48:49], v[70:71], v[8:9]
	v_fma_f64 v[12:13], -v[70:71], v[10:11], v[62:63]
	v_fmac_f64_e32 v[48:49], v[68:69], v[10:11]
	;; [unrolled: 4-line block ×3, first 2 shown]
	v_fmac_f64_e32 v[8:9], v[30:31], v[0:1]
	v_fmac_f64_e32 v[48:49], v[32:33], v[0:1]
	global_load_dword v0, v[22:23], off offset:-128
	v_fmac_f64_e32 v[48:49], v[30:31], v[2:3]
	v_fma_f64 v[78:79], -v[32:33], v[2:3], v[8:9]
	s_waitcnt vmcnt(0)
	v_subrev_u32_e32 v0, s20, v0
	v_lshlrev_b32_e32 v30, 2, v0
	v_ashrrev_i32_e32 v31, 31, v30
	v_lshlrev_b64 v[30:31], 4, v[30:31]
	v_add_co_u32_e32 v74, vcc, s4, v30
	v_addc_co_u32_e32 v75, vcc, v28, v31, vcc
	global_load_dwordx4 v[0:3], v[80:81], off
	global_load_dwordx4 v[4:7], v[80:81], off offset:48
	global_load_dwordx4 v[8:11], v[80:81], off offset:32
	;; [unrolled: 1-line block ×6, first 2 shown]
	global_load_dwordx4 v[70:73], v[74:75], off
	s_waitcnt vmcnt(0)
	v_fmac_f64_e32 v[24:25], v[0:1], v[70:71]
	v_fmac_f64_e32 v[60:61], v[2:3], v[70:71]
	v_fma_f64 v[24:25], -v[2:3], v[72:73], v[24:25]
	v_fmac_f64_e32 v[60:61], v[0:1], v[72:73]
	v_fmac_f64_e32 v[24:25], v[12:13], v[66:67]
	v_fmac_f64_e32 v[60:61], v[14:15], v[66:67]
	v_fma_f64 v[0:1], -v[14:15], v[68:69], v[24:25]
	v_fmac_f64_e32 v[60:61], v[12:13], v[68:69]
	;; [unrolled: 4-line block ×4, first 2 shown]
	global_load_dwordx4 v[4:7], v[80:81], off offset:112
	global_load_dwordx4 v[8:11], v[80:81], off offset:96
	;; [unrolled: 1-line block ×4, first 2 shown]
	s_waitcnt vmcnt(0)
	v_fmac_f64_e32 v[26:27], v[74:75], v[70:71]
	v_fma_f64 v[2:3], -v[76:77], v[72:73], v[26:27]
	v_fmac_f64_e32 v[58:59], v[76:77], v[70:71]
	v_fmac_f64_e32 v[58:59], v[74:75], v[72:73]
	v_fmac_f64_e32 v[2:3], v[12:13], v[66:67]
	v_fma_f64 v[2:3], -v[14:15], v[68:69], v[2:3]
	v_fmac_f64_e32 v[58:59], v[14:15], v[66:67]
	v_fmac_f64_e32 v[58:59], v[12:13], v[68:69]
	;; [unrolled: 4-line block ×3, first 2 shown]
	v_fmac_f64_e32 v[2:3], v[4:5], v[30:31]
	v_fma_f64 v[2:3], -v[6:7], v[32:33], v[2:3]
	v_fmac_f64_e32 v[58:59], v[6:7], v[30:31]
	global_load_dwordx4 v[6:9], v[80:81], off offset:176
	global_load_dwordx4 v[10:13], v[80:81], off offset:160
	;; [unrolled: 1-line block ×4, first 2 shown]
	v_fmac_f64_e32 v[58:59], v[4:5], v[32:33]
	s_waitcnt vmcnt(0)
	v_fmac_f64_e32 v[34:35], v[74:75], v[70:71]
	v_fma_f64 v[4:5], -v[76:77], v[72:73], v[34:35]
	v_fmac_f64_e32 v[50:51], v[76:77], v[70:71]
	v_fmac_f64_e32 v[50:51], v[74:75], v[72:73]
	v_fmac_f64_e32 v[4:5], v[24:25], v[66:67]
	v_fma_f64 v[4:5], -v[26:27], v[68:69], v[4:5]
	v_fmac_f64_e32 v[50:51], v[26:27], v[66:67]
	v_fmac_f64_e32 v[50:51], v[24:25], v[68:69]
	v_fmac_f64_e32 v[4:5], v[10:11], v[62:63]
	v_fma_f64 v[4:5], -v[12:13], v[64:65], v[4:5]
	v_fmac_f64_e32 v[50:51], v[12:13], v[62:63]
	v_fmac_f64_e32 v[50:51], v[10:11], v[64:65]
	v_fmac_f64_e32 v[4:5], v[6:7], v[30:31]
	v_fma_f64 v[4:5], -v[8:9], v[32:33], v[4:5]
	v_fmac_f64_e32 v[50:51], v[8:9], v[30:31]
	global_load_dwordx4 v[8:11], v[80:81], off offset:240
	global_load_dwordx4 v[12:15], v[80:81], off offset:224
	;; [unrolled: 1-line block ×4, first 2 shown]
	v_fmac_f64_e32 v[50:51], v[6:7], v[32:33]
	v_add_co_u32_e32 v34, vcc, s21, v18
	v_addc_co_u32_e32 v35, vcc, 0, v19, vcc
	s_waitcnt vmcnt(0)
	v_fmac_f64_e32 v[48:49], v[76:77], v[70:71]
	v_fmac_f64_e32 v[78:79], v[74:75], v[70:71]
	v_fmac_f64_e32 v[48:49], v[74:75], v[72:73]
	v_fma_f64 v[6:7], -v[76:77], v[72:73], v[78:79]
	v_fmac_f64_e32 v[48:49], v[26:27], v[66:67]
	v_fmac_f64_e32 v[6:7], v[24:25], v[66:67]
	v_fmac_f64_e32 v[48:49], v[24:25], v[68:69]
	v_fma_f64 v[6:7], -v[26:27], v[68:69], v[6:7]
	;; [unrolled: 4-line block ×3, first 2 shown]
	v_fmac_f64_e32 v[48:49], v[10:11], v[30:31]
	v_fmac_f64_e32 v[6:7], v[8:9], v[30:31]
	;; [unrolled: 1-line block ×3, first 2 shown]
	global_load_dword v8, v[22:23], off
	v_fma_f64 v[6:7], -v[10:11], v[32:33], v[6:7]
	global_load_dwordx4 v[10:13], v[34:35], off
	global_load_dwordx4 v[24:27], v[34:35], off offset:48
	global_load_dwordx4 v[30:33], v[34:35], off offset:32
	;; [unrolled: 1-line block ×3, first 2 shown]
	s_waitcnt vmcnt(4)
	v_subrev_u32_e32 v8, s20, v8
	v_lshlrev_b32_e32 v8, 2, v8
	v_ashrrev_i32_e32 v9, 31, v8
	v_lshlrev_b64 v[8:9], 4, v[8:9]
	v_add_co_u32_e32 v8, vcc, s4, v8
	v_addc_co_u32_e32 v9, vcc, v28, v9, vcc
	global_load_dwordx4 v[66:69], v[8:9], off offset:48
	global_load_dwordx4 v[70:73], v[8:9], off offset:32
	;; [unrolled: 1-line block ×3, first 2 shown]
	global_load_dwordx4 v[78:81], v[8:9], off
	s_waitcnt vmcnt(0)
	v_fmac_f64_e32 v[0:1], v[10:11], v[78:79]
	v_fmac_f64_e32 v[60:61], v[12:13], v[78:79]
	v_fma_f64 v[0:1], -v[12:13], v[80:81], v[0:1]
	v_fmac_f64_e32 v[60:61], v[10:11], v[80:81]
	v_fmac_f64_e32 v[0:1], v[62:63], v[74:75]
	v_fmac_f64_e32 v[60:61], v[64:65], v[74:75]
	v_fma_f64 v[0:1], -v[64:65], v[76:77], v[0:1]
	v_fmac_f64_e32 v[60:61], v[62:63], v[76:77]
	;; [unrolled: 4-line block ×4, first 2 shown]
	global_load_dwordx4 v[8:11], v[34:35], off offset:112
	global_load_dwordx4 v[12:15], v[34:35], off offset:96
	;; [unrolled: 1-line block ×4, first 2 shown]
	v_add_co_u32_e32 v62, vcc, s22, v18
	v_addc_co_u32_e32 v63, vcc, 0, v19, vcc
	s_waitcnt vmcnt(0)
	v_fmac_f64_e32 v[2:3], v[30:31], v[78:79]
	v_fmac_f64_e32 v[58:59], v[32:33], v[78:79]
	v_fma_f64 v[2:3], -v[32:33], v[80:81], v[2:3]
	v_fmac_f64_e32 v[58:59], v[30:31], v[80:81]
	v_fmac_f64_e32 v[2:3], v[24:25], v[74:75]
	v_fmac_f64_e32 v[58:59], v[26:27], v[74:75]
	v_fma_f64 v[2:3], -v[26:27], v[76:77], v[2:3]
	v_fmac_f64_e32 v[58:59], v[24:25], v[76:77]
	;; [unrolled: 4-line block ×4, first 2 shown]
	global_load_dwordx4 v[8:11], v[34:35], off offset:176
	global_load_dwordx4 v[12:15], v[34:35], off offset:160
	;; [unrolled: 1-line block ×4, first 2 shown]
	s_waitcnt vmcnt(0)
	v_fmac_f64_e32 v[4:5], v[30:31], v[78:79]
	v_fmac_f64_e32 v[50:51], v[32:33], v[78:79]
	v_fma_f64 v[4:5], -v[32:33], v[80:81], v[4:5]
	v_fmac_f64_e32 v[50:51], v[30:31], v[80:81]
	v_fmac_f64_e32 v[4:5], v[24:25], v[74:75]
	v_fmac_f64_e32 v[50:51], v[26:27], v[74:75]
	v_fma_f64 v[4:5], -v[26:27], v[76:77], v[4:5]
	v_fmac_f64_e32 v[50:51], v[24:25], v[76:77]
	;; [unrolled: 4-line block ×4, first 2 shown]
	global_load_dwordx4 v[8:11], v[34:35], off offset:240
	global_load_dwordx4 v[12:15], v[34:35], off offset:224
	;; [unrolled: 1-line block ×4, first 2 shown]
	s_waitcnt vmcnt(0)
	v_fmac_f64_e32 v[48:49], v[32:33], v[78:79]
	v_fmac_f64_e32 v[6:7], v[30:31], v[78:79]
	v_fmac_f64_e32 v[48:49], v[30:31], v[80:81]
	v_fma_f64 v[6:7], -v[32:33], v[80:81], v[6:7]
	v_fmac_f64_e32 v[48:49], v[26:27], v[74:75]
	v_fmac_f64_e32 v[6:7], v[24:25], v[74:75]
	v_fmac_f64_e32 v[48:49], v[24:25], v[76:77]
	v_fma_f64 v[6:7], -v[26:27], v[76:77], v[6:7]
	;; [unrolled: 4-line block ×3, first 2 shown]
	v_fmac_f64_e32 v[48:49], v[10:11], v[66:67]
	v_fmac_f64_e32 v[6:7], v[8:9], v[66:67]
	;; [unrolled: 1-line block ×3, first 2 shown]
	global_load_dword v8, v[22:23], off offset:128
	v_fma_f64 v[6:7], -v[10:11], v[68:69], v[6:7]
	s_waitcnt vmcnt(0)
	v_subrev_u32_e32 v8, s20, v8
	v_lshlrev_b32_e32 v34, 2, v8
	v_ashrrev_i32_e32 v35, 31, v34
	v_lshlrev_b64 v[34:35], 4, v[34:35]
	v_add_co_u32_e32 v34, vcc, s4, v34
	v_addc_co_u32_e32 v35, vcc, v28, v35, vcc
	global_load_dwordx4 v[8:11], v[62:63], off
	global_load_dwordx4 v[12:15], v[62:63], off offset:48
	global_load_dwordx4 v[24:27], v[62:63], off offset:32
	global_load_dwordx4 v[30:33], v[62:63], off offset:16
	global_load_dwordx4 v[70:73], v[34:35], off offset:48
	global_load_dwordx4 v[74:77], v[34:35], off offset:32
	global_load_dwordx4 v[78:81], v[34:35], off offset:16
	global_load_dwordx4 v[82:85], v[34:35], off
	v_add_co_u32_e32 v20, vcc, 0x80, v20
	v_addc_co_u32_e32 v21, vcc, 0, v21, vcc
	v_add_co_u32_e32 v22, vcc, 0x200, v22
	v_addc_co_u32_e32 v23, vcc, 0, v23, vcc
	v_cmp_ge_i64_e64 s[2:3], v[20:21], v[54:55]
	v_add_co_u32_e32 v18, vcc, 0x8000, v18
	v_addc_co_u32_e32 v19, vcc, 0, v19, vcc
	s_or_b64 s[16:17], s[2:3], s[16:17]
	s_waitcnt vmcnt(0)
	v_fmac_f64_e32 v[0:1], v[8:9], v[82:83]
	v_fmac_f64_e32 v[60:61], v[10:11], v[82:83]
	v_fma_f64 v[0:1], -v[10:11], v[84:85], v[0:1]
	v_fmac_f64_e32 v[60:61], v[8:9], v[84:85]
	v_fmac_f64_e32 v[0:1], v[30:31], v[78:79]
	v_fmac_f64_e32 v[60:61], v[32:33], v[78:79]
	v_fma_f64 v[0:1], -v[32:33], v[80:81], v[0:1]
	v_fmac_f64_e32 v[60:61], v[30:31], v[80:81]
	v_fmac_f64_e32 v[0:1], v[24:25], v[74:75]
	v_fmac_f64_e32 v[60:61], v[26:27], v[74:75]
	v_fma_f64 v[0:1], -v[26:27], v[76:77], v[0:1]
	v_fmac_f64_e32 v[60:61], v[24:25], v[76:77]
	v_fmac_f64_e32 v[0:1], v[12:13], v[70:71]
	v_fmac_f64_e32 v[60:61], v[14:15], v[70:71]
	v_fma_f64 v[68:69], -v[14:15], v[72:73], v[0:1]
	v_fmac_f64_e32 v[60:61], v[12:13], v[72:73]
	global_load_dwordx4 v[8:11], v[62:63], off offset:112
	global_load_dwordx4 v[12:15], v[62:63], off offset:96
	global_load_dwordx4 v[24:27], v[62:63], off offset:80
	global_load_dwordx4 v[30:33], v[62:63], off offset:64
	s_waitcnt vmcnt(0)
	v_fmac_f64_e32 v[2:3], v[30:31], v[82:83]
	v_fmac_f64_e32 v[58:59], v[32:33], v[82:83]
	v_fma_f64 v[0:1], -v[32:33], v[84:85], v[2:3]
	v_fmac_f64_e32 v[58:59], v[30:31], v[84:85]
	v_fmac_f64_e32 v[0:1], v[24:25], v[78:79]
	v_fmac_f64_e32 v[58:59], v[26:27], v[78:79]
	v_fma_f64 v[0:1], -v[26:27], v[80:81], v[0:1]
	v_fmac_f64_e32 v[58:59], v[24:25], v[80:81]
	v_fmac_f64_e32 v[0:1], v[12:13], v[74:75]
	v_fmac_f64_e32 v[58:59], v[14:15], v[74:75]
	v_fma_f64 v[0:1], -v[14:15], v[76:77], v[0:1]
	v_fmac_f64_e32 v[58:59], v[12:13], v[76:77]
	v_fmac_f64_e32 v[0:1], v[8:9], v[70:71]
	v_fmac_f64_e32 v[58:59], v[10:11], v[70:71]
	v_fma_f64 v[66:67], -v[10:11], v[72:73], v[0:1]
	v_fmac_f64_e32 v[58:59], v[8:9], v[72:73]
	global_load_dwordx4 v[0:3], v[62:63], off offset:176
	global_load_dwordx4 v[8:11], v[62:63], off offset:160
	global_load_dwordx4 v[12:15], v[62:63], off offset:144
	global_load_dwordx4 v[24:27], v[62:63], off offset:128
	;; [unrolled: 21-line block ×3, first 2 shown]
	s_waitcnt vmcnt(0)
	v_fmac_f64_e32 v[6:7], v[24:25], v[82:83]
	v_fmac_f64_e32 v[48:49], v[26:27], v[82:83]
	v_fma_f64 v[4:5], -v[26:27], v[84:85], v[6:7]
	v_fmac_f64_e32 v[48:49], v[24:25], v[84:85]
	v_fmac_f64_e32 v[4:5], v[12:13], v[78:79]
	v_fmac_f64_e32 v[48:49], v[14:15], v[78:79]
	v_fma_f64 v[4:5], -v[14:15], v[80:81], v[4:5]
	v_fmac_f64_e32 v[48:49], v[12:13], v[80:81]
	;; [unrolled: 4-line block ×4, first 2 shown]
	s_andn2_b64 exec, exec, s[16:17]
	s_cbranch_execnz .LBB38_23
; %bb.24:
	s_or_b64 exec, exec, s[16:17]
.LBB38_25:
	s_or_b64 exec, exec, s[14:15]
.LBB38_26:
	s_or_b64 exec, exec, s[10:11]
	s_andn2_b64 vcc, exec, s[8:9]
	s_cbranch_vccz .LBB38_28
	s_branch .LBB38_39
.LBB38_27:
                                        ; implicit-def: $vgpr60_vgpr61
                                        ; implicit-def: $vgpr68_vgpr69
                                        ; implicit-def: $vgpr62_vgpr63
                                        ; implicit-def: $vgpr48_vgpr49
                                        ; implicit-def: $vgpr64_vgpr65
                                        ; implicit-def: $vgpr50_vgpr51
                                        ; implicit-def: $vgpr66_vgpr67
                                        ; implicit-def: $vgpr58_vgpr59
.LBB38_28:
	v_pk_mov_b32 v[60:61], 0, 0
	v_pk_mov_b32 v[68:69], v[60:61], v[60:61] op_sel:[0,1]
	v_pk_mov_b32 v[62:63], v[60:61], v[60:61] op_sel:[0,1]
	;; [unrolled: 1-line block ×7, first 2 shown]
	s_and_saveexec_b64 s[2:3], s[0:1]
	s_cbranch_execz .LBB38_38
; %bb.29:
	v_or_b32_e32 v0, 32, v46
	v_mov_b32_e32 v1, s18
	v_subrev_co_u32_e32 v0, vcc, s20, v0
	v_subb_co_u32_e32 v1, vcc, 0, v1, vcc
	v_add_co_u32_e32 v0, vcc, v0, v16
	v_addc_co_u32_e32 v1, vcc, v1, v17, vcc
	v_cmp_gt_i64_e32 vcc, v[0:1], v[54:55]
	v_cndmask_b32_e32 v1, v55, v1, vcc
	v_cndmask_b32_e32 v0, v54, v0, vcc
	v_mov_b32_e32 v4, s18
	v_sub_co_u32_e32 v5, vcc, s20, v46
	v_not_b32_e32 v3, v16
	v_subbrev_co_u32_e32 v4, vcc, 0, v4, vcc
	v_not_b32_e32 v2, v17
	v_add_co_u32_e32 v3, vcc, v5, v3
	v_addc_co_u32_e32 v2, vcc, v4, v2, vcc
	v_add_co_u32_e32 v70, vcc, v3, v0
	v_lshrrev_b32_e32 v0, 5, v70
	v_add_u32_e32 v0, 1, v0
	v_addc_co_u32_e32 v71, vcc, v2, v1, vcc
	v_and_b32_e32 v0, 3, v0
	v_pk_mov_b32 v[58:59], 0, 0
	v_cmp_ne_u32_e32 vcc, 0, v0
	s_mov_b64 s[10:11], 0
	v_pk_mov_b32 v[66:67], v[58:59], v[58:59] op_sel:[0,1]
	v_pk_mov_b32 v[50:51], v[58:59], v[58:59] op_sel:[0,1]
	;; [unrolled: 1-line block ×7, first 2 shown]
	s_and_saveexec_b64 s[8:9], vcc
	s_cbranch_execz .LBB38_33
; %bb.30:
	v_lshlrev_b64 v[2:3], 2, v[52:53]
	v_mov_b32_e32 v1, s13
	v_add_co_u32_e32 v74, vcc, s12, v2
	v_pk_mov_b32 v[60:61], 0, 0
	v_mov_b32_e32 v73, 0
	v_addc_co_u32_e32 v75, vcc, v1, v3, vcc
	v_lshlrev_b32_e32 v72, 2, v0
	s_movk_i32 s14, 0x2000
	v_mov_b32_e32 v45, s5
	v_pk_mov_b32 v[68:69], v[60:61], v[60:61] op_sel:[0,1]
	v_pk_mov_b32 v[62:63], v[60:61], v[60:61] op_sel:[0,1]
	v_pk_mov_b32 v[48:49], v[60:61], v[60:61] op_sel:[0,1]
	v_pk_mov_b32 v[64:65], v[60:61], v[60:61] op_sel:[0,1]
	v_pk_mov_b32 v[50:51], v[60:61], v[60:61] op_sel:[0,1]
	v_pk_mov_b32 v[66:67], v[60:61], v[60:61] op_sel:[0,1]
	v_pk_mov_b32 v[58:59], v[60:61], v[60:61] op_sel:[0,1]
.LBB38_31:                              ; =>This Inner Loop Header: Depth=1
	global_load_dword v47, v[74:75], off
	global_load_dwordx4 v[0:3], v[56:57], off offset:48
	global_load_dwordx4 v[4:7], v[56:57], off offset:32
	;; [unrolled: 1-line block ×3, first 2 shown]
	global_load_dwordx4 v[12:15], v[56:57], off
	global_load_dwordx4 v[16:19], v[56:57], off offset:112
	global_load_dwordx4 v[20:23], v[56:57], off offset:96
	;; [unrolled: 1-line block ×12, first 2 shown]
	v_add_co_u32_e32 v56, vcc, s14, v56
	s_mov_b64 s[0:1], vcc
	v_addc_co_u32_e64 v57, s[0:1], 0, v57, s[0:1]
	s_waitcnt vmcnt(16)
	v_subrev_u32_e32 v47, s20, v47
	v_lshlrev_b32_e32 v104, 2, v47
	v_ashrrev_i32_e32 v105, 31, v104
	v_lshlrev_b64 v[104:105], 4, v[104:105]
	v_add_co_u32_e32 v120, vcc, s4, v104
	v_addc_co_u32_e32 v121, vcc, v45, v105, vcc
	global_load_dwordx4 v[104:107], v[120:121], off
	global_load_dwordx4 v[108:111], v[120:121], off offset:16
	global_load_dwordx4 v[112:115], v[120:121], off offset:32
	;; [unrolled: 1-line block ×3, first 2 shown]
	v_add_co_u32_e32 v52, vcc, 32, v52
	v_addc_co_u32_e32 v53, vcc, 0, v53, vcc
	v_add_co_u32_e32 v72, vcc, -4, v72
	v_addc_co_u32_e32 v73, vcc, -1, v73, vcc
	v_add_co_u32_e32 v74, vcc, 0x80, v74
	v_cmp_eq_u64_e64 s[0:1], 0, v[72:73]
	v_addc_co_u32_e32 v75, vcc, 0, v75, vcc
	s_or_b64 s[10:11], s[0:1], s[10:11]
	s_waitcnt vmcnt(3)
	v_fmac_f64_e32 v[68:69], v[12:13], v[104:105]
	v_fmac_f64_e32 v[60:61], v[14:15], v[104:105]
	v_fmac_f64_e32 v[66:67], v[8:9], v[104:105]
	v_fmac_f64_e32 v[58:59], v[10:11], v[104:105]
	v_fmac_f64_e32 v[64:65], v[4:5], v[104:105]
	v_fmac_f64_e32 v[50:51], v[6:7], v[104:105]
	v_fmac_f64_e32 v[62:63], v[0:1], v[104:105]
	v_fmac_f64_e32 v[48:49], v[2:3], v[104:105]
	v_fma_f64 v[14:15], -v[14:15], v[106:107], v[68:69]
	v_fmac_f64_e32 v[60:61], v[12:13], v[106:107]
	v_fma_f64 v[10:11], -v[10:11], v[106:107], v[66:67]
	v_fmac_f64_e32 v[58:59], v[8:9], v[106:107]
	v_fma_f64 v[6:7], -v[6:7], v[106:107], v[64:65]
	v_fmac_f64_e32 v[50:51], v[4:5], v[106:107]
	v_fma_f64 v[2:3], -v[2:3], v[106:107], v[62:63]
	v_fmac_f64_e32 v[48:49], v[0:1], v[106:107]
	s_waitcnt vmcnt(2)
	v_fmac_f64_e32 v[14:15], v[28:29], v[108:109]
	v_fmac_f64_e32 v[60:61], v[30:31], v[108:109]
	v_fmac_f64_e32 v[10:11], v[24:25], v[108:109]
	v_fmac_f64_e32 v[58:59], v[26:27], v[108:109]
	v_fmac_f64_e32 v[6:7], v[20:21], v[108:109]
	v_fmac_f64_e32 v[50:51], v[22:23], v[108:109]
	v_fmac_f64_e32 v[2:3], v[16:17], v[108:109]
	v_fmac_f64_e32 v[48:49], v[18:19], v[108:109]
	v_fma_f64 v[0:1], -v[30:31], v[110:111], v[14:15]
	v_fmac_f64_e32 v[60:61], v[28:29], v[110:111]
	v_fma_f64 v[4:5], -v[26:27], v[110:111], v[10:11]
	v_fmac_f64_e32 v[58:59], v[24:25], v[110:111]
	v_fma_f64 v[6:7], -v[22:23], v[110:111], v[6:7]
	v_fmac_f64_e32 v[50:51], v[20:21], v[110:111]
	v_fma_f64 v[2:3], -v[18:19], v[110:111], v[2:3]
	v_fmac_f64_e32 v[48:49], v[16:17], v[110:111]
	;; [unrolled: 17-line block ×4, first 2 shown]
	s_andn2_b64 exec, exec, s[10:11]
	s_cbranch_execnz .LBB38_31
; %bb.32:
	s_or_b64 exec, exec, s[10:11]
.LBB38_33:
	s_or_b64 exec, exec, s[8:9]
	s_mov_b64 s[0:1], 0x5f
	v_cmp_lt_u64_e32 vcc, s[0:1], v[70:71]
	s_and_saveexec_b64 s[8:9], vcc
	s_cbranch_execz .LBB38_37
; %bb.34:
	v_lshlrev_b64 v[0:1], 2, v[52:53]
	v_mov_b32_e32 v2, s13
	v_add_co_u32_e32 v0, vcc, s12, v0
	v_addc_co_u32_e32 v1, vcc, v1, v2, vcc
	v_add_co_u32_e32 v8, vcc, 0x100, v0
	v_addc_co_u32_e32 v9, vcc, 0, v1, vcc
	s_mov_b64 s[10:11], 0
	v_mov_b32_e32 v12, s5
	s_movk_i32 s5, 0x2000
	s_movk_i32 s12, 0x4000
	s_movk_i32 s13, 0x6000
.LBB38_35:                              ; =>This Inner Loop Header: Depth=1
	global_load_dword v0, v[8:9], off offset:-256
	global_load_dwordx4 v[14:17], v[56:57], off offset:48
	global_load_dwordx4 v[18:21], v[56:57], off offset:32
	;; [unrolled: 1-line block ×3, first 2 shown]
	global_load_dwordx4 v[26:29], v[56:57], off
	s_waitcnt vmcnt(4)
	v_subrev_u32_e32 v0, s20, v0
	v_lshlrev_b32_e32 v0, 2, v0
	v_ashrrev_i32_e32 v1, 31, v0
	v_lshlrev_b64 v[0:1], 4, v[0:1]
	v_add_co_u32_e32 v10, vcc, s4, v0
	v_addc_co_u32_e32 v11, vcc, v12, v1, vcc
	global_load_dwordx4 v[0:3], v[10:11], off offset:48
	global_load_dwordx4 v[4:7], v[10:11], off offset:32
	;; [unrolled: 1-line block ×3, first 2 shown]
	global_load_dwordx4 v[70:73], v[10:11], off
	s_waitcnt vmcnt(0)
	v_fmac_f64_e32 v[68:69], v[26:27], v[70:71]
	v_fmac_f64_e32 v[60:61], v[28:29], v[70:71]
	;; [unrolled: 1-line block ×8, first 2 shown]
	v_fma_f64 v[10:11], -v[28:29], v[72:73], v[68:69]
	v_fmac_f64_e32 v[60:61], v[26:27], v[72:73]
	v_fma_f64 v[34:35], -v[24:25], v[72:73], v[66:67]
	v_fmac_f64_e32 v[58:59], v[22:23], v[72:73]
	;; [unrolled: 2-line block ×4, first 2 shown]
	global_load_dwordx4 v[14:17], v[56:57], off offset:112
	global_load_dwordx4 v[18:21], v[56:57], off offset:96
	;; [unrolled: 1-line block ×4, first 2 shown]
	v_add_co_u32_e32 v70, vcc, s5, v56
	v_addc_co_u32_e32 v71, vcc, 0, v57, vcc
	s_waitcnt vmcnt(3)
	v_fmac_f64_e32 v[62:63], v[14:15], v[30:31]
	s_waitcnt vmcnt(2)
	v_fmac_f64_e32 v[64:65], v[18:19], v[30:31]
	;; [unrolled: 2-line block ×4, first 2 shown]
	v_fmac_f64_e32 v[60:61], v[28:29], v[30:31]
	v_fmac_f64_e32 v[58:59], v[24:25], v[30:31]
	;; [unrolled: 1-line block ×4, first 2 shown]
	v_fma_f64 v[10:11], -v[28:29], v[32:33], v[10:11]
	v_fmac_f64_e32 v[60:61], v[26:27], v[32:33]
	v_fma_f64 v[34:35], -v[24:25], v[32:33], v[34:35]
	v_fmac_f64_e32 v[58:59], v[22:23], v[32:33]
	;; [unrolled: 2-line block ×4, first 2 shown]
	global_load_dwordx4 v[14:17], v[56:57], off offset:176
	global_load_dwordx4 v[18:21], v[56:57], off offset:160
	;; [unrolled: 1-line block ×4, first 2 shown]
	s_waitcnt vmcnt(3)
	v_fmac_f64_e32 v[62:63], v[14:15], v[4:5]
	s_waitcnt vmcnt(2)
	v_fmac_f64_e32 v[64:65], v[18:19], v[4:5]
	;; [unrolled: 2-line block ×4, first 2 shown]
	v_fmac_f64_e32 v[60:61], v[28:29], v[4:5]
	v_fmac_f64_e32 v[58:59], v[24:25], v[4:5]
	;; [unrolled: 1-line block ×4, first 2 shown]
	v_fma_f64 v[10:11], -v[28:29], v[6:7], v[10:11]
	v_fmac_f64_e32 v[60:61], v[26:27], v[6:7]
	v_fma_f64 v[26:27], -v[24:25], v[6:7], v[34:35]
	v_fmac_f64_e32 v[58:59], v[22:23], v[6:7]
	;; [unrolled: 2-line block ×4, first 2 shown]
	global_load_dwordx4 v[4:7], v[56:57], off offset:240
	global_load_dwordx4 v[14:17], v[56:57], off offset:224
	;; [unrolled: 1-line block ×4, first 2 shown]
	s_waitcnt vmcnt(3)
	v_fmac_f64_e32 v[30:31], v[4:5], v[0:1]
	s_waitcnt vmcnt(2)
	v_fmac_f64_e32 v[28:29], v[14:15], v[0:1]
	s_waitcnt vmcnt(1)
	v_fmac_f64_e32 v[26:27], v[18:19], v[0:1]
	s_waitcnt vmcnt(0)
	v_fmac_f64_e32 v[10:11], v[22:23], v[0:1]
	v_fmac_f64_e32 v[60:61], v[24:25], v[0:1]
	v_fmac_f64_e32 v[58:59], v[20:21], v[0:1]
	;; [unrolled: 1-line block ×4, first 2 shown]
	global_load_dword v0, v[8:9], off offset:-128
	v_fmac_f64_e32 v[60:61], v[22:23], v[2:3]
	v_fma_f64 v[10:11], -v[24:25], v[2:3], v[10:11]
	v_fma_f64 v[34:35], -v[20:21], v[2:3], v[26:27]
	v_fmac_f64_e32 v[58:59], v[18:19], v[2:3]
	v_fma_f64 v[66:67], -v[16:17], v[2:3], v[28:29]
	v_fmac_f64_e32 v[50:51], v[14:15], v[2:3]
	v_fma_f64 v[68:69], -v[6:7], v[2:3], v[30:31]
	v_fmac_f64_e32 v[48:49], v[4:5], v[2:3]
	s_waitcnt vmcnt(0)
	v_subrev_u32_e32 v0, s20, v0
	v_lshlrev_b32_e32 v22, 2, v0
	v_ashrrev_i32_e32 v23, 31, v22
	v_lshlrev_b64 v[22:23], 4, v[22:23]
	v_add_co_u32_e32 v72, vcc, s4, v22
	v_addc_co_u32_e32 v73, vcc, v12, v23, vcc
	global_load_dwordx4 v[0:3], v[70:71], off
	global_load_dwordx4 v[4:7], v[70:71], off offset:48
	global_load_dwordx4 v[14:17], v[70:71], off offset:32
	;; [unrolled: 1-line block ×6, first 2 shown]
	global_load_dwordx4 v[62:65], v[72:73], off
	s_waitcnt vmcnt(0)
	v_fmac_f64_e32 v[10:11], v[0:1], v[62:63]
	v_fmac_f64_e32 v[60:61], v[2:3], v[62:63]
	;; [unrolled: 1-line block ×8, first 2 shown]
	v_fma_f64 v[10:11], -v[2:3], v[64:65], v[10:11]
	v_fmac_f64_e32 v[60:61], v[0:1], v[64:65]
	v_fma_f64 v[34:35], -v[20:21], v[64:65], v[34:35]
	v_fmac_f64_e32 v[58:59], v[18:19], v[64:65]
	;; [unrolled: 2-line block ×4, first 2 shown]
	global_load_dwordx4 v[0:3], v[70:71], off offset:112
	global_load_dwordx4 v[4:7], v[70:71], off offset:96
	;; [unrolled: 1-line block ×4, first 2 shown]
	s_waitcnt vmcnt(3)
	v_fmac_f64_e32 v[68:69], v[0:1], v[30:31]
	s_waitcnt vmcnt(2)
	v_fmac_f64_e32 v[66:67], v[4:5], v[30:31]
	;; [unrolled: 2-line block ×4, first 2 shown]
	v_fmac_f64_e32 v[60:61], v[20:21], v[30:31]
	v_fmac_f64_e32 v[58:59], v[16:17], v[30:31]
	;; [unrolled: 1-line block ×4, first 2 shown]
	v_fma_f64 v[10:11], -v[20:21], v[32:33], v[10:11]
	v_fmac_f64_e32 v[60:61], v[18:19], v[32:33]
	v_fma_f64 v[34:35], -v[16:17], v[32:33], v[34:35]
	v_fmac_f64_e32 v[58:59], v[14:15], v[32:33]
	;; [unrolled: 2-line block ×4, first 2 shown]
	global_load_dwordx4 v[0:3], v[70:71], off offset:176
	global_load_dwordx4 v[4:7], v[70:71], off offset:160
	;; [unrolled: 1-line block ×4, first 2 shown]
	s_waitcnt vmcnt(3)
	v_fmac_f64_e32 v[64:65], v[0:1], v[26:27]
	s_waitcnt vmcnt(2)
	v_fmac_f64_e32 v[62:63], v[4:5], v[26:27]
	s_waitcnt vmcnt(1)
	v_fmac_f64_e32 v[34:35], v[14:15], v[26:27]
	s_waitcnt vmcnt(0)
	v_fmac_f64_e32 v[10:11], v[18:19], v[26:27]
	v_fmac_f64_e32 v[60:61], v[20:21], v[26:27]
	v_fmac_f64_e32 v[58:59], v[16:17], v[26:27]
	;; [unrolled: 1-line block ×4, first 2 shown]
	v_fma_f64 v[10:11], -v[20:21], v[28:29], v[10:11]
	v_fmac_f64_e32 v[60:61], v[18:19], v[28:29]
	v_fma_f64 v[30:31], -v[16:17], v[28:29], v[34:35]
	v_fmac_f64_e32 v[58:59], v[14:15], v[28:29]
	v_fma_f64 v[32:33], -v[6:7], v[28:29], v[62:63]
	v_fmac_f64_e32 v[50:51], v[4:5], v[28:29]
	v_fma_f64 v[34:35], -v[2:3], v[28:29], v[64:65]
	v_fmac_f64_e32 v[48:49], v[0:1], v[28:29]
	global_load_dwordx4 v[14:17], v[70:71], off offset:240
	global_load_dwordx4 v[18:21], v[70:71], off offset:224
	;; [unrolled: 1-line block ×4, first 2 shown]
	s_waitcnt vmcnt(3)
	v_fmac_f64_e32 v[34:35], v[14:15], v[22:23]
	s_waitcnt vmcnt(2)
	v_fmac_f64_e32 v[32:33], v[18:19], v[22:23]
	;; [unrolled: 2-line block ×4, first 2 shown]
	v_fma_f64 v[0:1], -v[28:29], v[24:25], v[10:11]
	global_load_dword v10, v[8:9], off
	v_fma_f64 v[2:3], -v[6:7], v[24:25], v[30:31]
	v_fmac_f64_e32 v[58:59], v[6:7], v[22:23]
	v_fma_f64 v[6:7], -v[16:17], v[24:25], v[34:35]
	v_add_co_u32_e32 v34, vcc, s12, v56
	v_addc_co_u32_e32 v35, vcc, 0, v57, vcc
	v_fmac_f64_e32 v[60:61], v[28:29], v[22:23]
	v_fmac_f64_e32 v[50:51], v[20:21], v[22:23]
	;; [unrolled: 1-line block ×5, first 2 shown]
	v_fma_f64 v[4:5], -v[20:21], v[24:25], v[32:33]
	v_fmac_f64_e32 v[50:51], v[18:19], v[24:25]
	v_fmac_f64_e32 v[48:49], v[14:15], v[24:25]
	global_load_dwordx4 v[14:17], v[34:35], off
	global_load_dwordx4 v[18:21], v[34:35], off offset:48
	global_load_dwordx4 v[22:25], v[34:35], off offset:32
	;; [unrolled: 1-line block ×3, first 2 shown]
	s_waitcnt vmcnt(4)
	v_subrev_u32_e32 v10, s20, v10
	v_lshlrev_b32_e32 v10, 2, v10
	v_ashrrev_i32_e32 v11, 31, v10
	v_lshlrev_b64 v[10:11], 4, v[10:11]
	v_add_co_u32_e32 v10, vcc, s4, v10
	v_addc_co_u32_e32 v11, vcc, v12, v11, vcc
	global_load_dwordx4 v[30:33], v[10:11], off offset:48
	global_load_dwordx4 v[62:65], v[10:11], off offset:32
	;; [unrolled: 1-line block ×3, first 2 shown]
	global_load_dwordx4 v[70:73], v[10:11], off
	s_waitcnt vmcnt(0)
	v_fmac_f64_e32 v[0:1], v[14:15], v[70:71]
	v_fmac_f64_e32 v[60:61], v[16:17], v[70:71]
	;; [unrolled: 1-line block ×8, first 2 shown]
	v_fma_f64 v[10:11], -v[16:17], v[72:73], v[0:1]
	v_fmac_f64_e32 v[60:61], v[14:15], v[72:73]
	v_fma_f64 v[74:75], -v[28:29], v[72:73], v[2:3]
	v_fmac_f64_e32 v[58:59], v[26:27], v[72:73]
	;; [unrolled: 2-line block ×4, first 2 shown]
	global_load_dwordx4 v[0:3], v[34:35], off offset:112
	global_load_dwordx4 v[4:7], v[34:35], off offset:96
	;; [unrolled: 1-line block ×4, first 2 shown]
	s_waitcnt vmcnt(3)
	v_fmac_f64_e32 v[22:23], v[0:1], v[66:67]
	s_waitcnt vmcnt(2)
	v_fmac_f64_e32 v[26:27], v[4:5], v[66:67]
	s_waitcnt vmcnt(1)
	v_fmac_f64_e32 v[74:75], v[14:15], v[66:67]
	s_waitcnt vmcnt(0)
	v_fmac_f64_e32 v[10:11], v[18:19], v[66:67]
	v_fmac_f64_e32 v[60:61], v[20:21], v[66:67]
	v_fmac_f64_e32 v[58:59], v[16:17], v[66:67]
	;; [unrolled: 1-line block ×4, first 2 shown]
	v_fma_f64 v[10:11], -v[20:21], v[68:69], v[10:11]
	v_fmac_f64_e32 v[60:61], v[18:19], v[68:69]
	v_fma_f64 v[24:25], -v[16:17], v[68:69], v[74:75]
	v_fmac_f64_e32 v[58:59], v[14:15], v[68:69]
	;; [unrolled: 2-line block ×4, first 2 shown]
	global_load_dwordx4 v[0:3], v[34:35], off offset:176
	global_load_dwordx4 v[4:7], v[34:35], off offset:160
	;; [unrolled: 1-line block ×4, first 2 shown]
	s_waitcnt vmcnt(3)
	v_fmac_f64_e32 v[22:23], v[0:1], v[62:63]
	s_waitcnt vmcnt(2)
	v_fmac_f64_e32 v[26:27], v[4:5], v[62:63]
	;; [unrolled: 2-line block ×4, first 2 shown]
	v_fmac_f64_e32 v[60:61], v[20:21], v[62:63]
	v_fmac_f64_e32 v[58:59], v[16:17], v[62:63]
	;; [unrolled: 1-line block ×3, first 2 shown]
	v_fma_f64 v[10:11], -v[20:21], v[64:65], v[10:11]
	v_fmac_f64_e32 v[60:61], v[18:19], v[64:65]
	v_fma_f64 v[28:29], -v[16:17], v[64:65], v[24:25]
	v_fmac_f64_e32 v[58:59], v[14:15], v[64:65]
	;; [unrolled: 2-line block ×3, first 2 shown]
	v_fma_f64 v[66:67], -v[2:3], v[64:65], v[22:23]
	global_load_dwordx4 v[14:17], v[34:35], off offset:240
	global_load_dwordx4 v[18:21], v[34:35], off offset:224
	;; [unrolled: 1-line block ×4, first 2 shown]
	v_fmac_f64_e32 v[48:49], v[2:3], v[62:63]
	v_fmac_f64_e32 v[48:49], v[0:1], v[64:65]
	v_add_co_u32_e32 v34, vcc, s13, v56
	v_addc_co_u32_e32 v35, vcc, 0, v57, vcc
	s_waitcnt vmcnt(3)
	v_fmac_f64_e32 v[66:67], v[14:15], v[30:31]
	s_waitcnt vmcnt(2)
	v_fmac_f64_e32 v[26:27], v[18:19], v[30:31]
	;; [unrolled: 2-line block ×4, first 2 shown]
	v_fma_f64 v[0:1], -v[24:25], v[32:33], v[10:11]
	global_load_dword v10, v[8:9], off offset:128
	v_fmac_f64_e32 v[60:61], v[24:25], v[30:31]
	v_fmac_f64_e32 v[58:59], v[6:7], v[30:31]
	;; [unrolled: 1-line block ×5, first 2 shown]
	v_fma_f64 v[2:3], -v[6:7], v[32:33], v[28:29]
	v_fmac_f64_e32 v[58:59], v[4:5], v[32:33]
	v_fma_f64 v[4:5], -v[20:21], v[32:33], v[26:27]
	v_fmac_f64_e32 v[50:51], v[18:19], v[32:33]
	;; [unrolled: 2-line block ×3, first 2 shown]
	global_load_dwordx4 v[14:17], v[34:35], off
	global_load_dwordx4 v[18:21], v[34:35], off offset:48
	global_load_dwordx4 v[22:25], v[34:35], off offset:32
	;; [unrolled: 1-line block ×3, first 2 shown]
	s_waitcnt vmcnt(4)
	v_subrev_u32_e32 v10, s20, v10
	v_lshlrev_b32_e32 v10, 2, v10
	v_ashrrev_i32_e32 v11, 31, v10
	v_lshlrev_b64 v[10:11], 4, v[10:11]
	v_add_co_u32_e32 v10, vcc, s4, v10
	v_addc_co_u32_e32 v11, vcc, v12, v11, vcc
	global_load_dwordx4 v[30:33], v[10:11], off offset:48
	global_load_dwordx4 v[62:65], v[10:11], off offset:32
	;; [unrolled: 1-line block ×3, first 2 shown]
	global_load_dwordx4 v[70:73], v[10:11], off
	v_add_co_u32_e32 v52, vcc, 0x80, v52
	v_addc_co_u32_e32 v53, vcc, 0, v53, vcc
	v_add_co_u32_e32 v8, vcc, 0x200, v8
	v_addc_co_u32_e32 v9, vcc, 0, v9, vcc
	v_cmp_ge_i64_e64 s[0:1], v[52:53], v[54:55]
	v_add_co_u32_e32 v56, vcc, 0x8000, v56
	v_addc_co_u32_e32 v57, vcc, 0, v57, vcc
	s_or_b64 s[10:11], s[0:1], s[10:11]
	s_waitcnt vmcnt(0)
	v_fmac_f64_e32 v[0:1], v[14:15], v[70:71]
	v_fmac_f64_e32 v[60:61], v[16:17], v[70:71]
	v_fmac_f64_e32 v[2:3], v[26:27], v[70:71]
	v_fmac_f64_e32 v[58:59], v[28:29], v[70:71]
	v_fmac_f64_e32 v[4:5], v[22:23], v[70:71]
	v_fmac_f64_e32 v[50:51], v[24:25], v[70:71]
	v_fmac_f64_e32 v[6:7], v[18:19], v[70:71]
	v_fmac_f64_e32 v[48:49], v[20:21], v[70:71]
	v_fma_f64 v[10:11], -v[16:17], v[72:73], v[0:1]
	v_fmac_f64_e32 v[60:61], v[14:15], v[72:73]
	v_fma_f64 v[74:75], -v[28:29], v[72:73], v[2:3]
	v_fmac_f64_e32 v[58:59], v[26:27], v[72:73]
	v_fma_f64 v[26:27], -v[24:25], v[72:73], v[4:5]
	v_fmac_f64_e32 v[50:51], v[22:23], v[72:73]
	v_fma_f64 v[22:23], -v[20:21], v[72:73], v[6:7]
	v_fmac_f64_e32 v[48:49], v[18:19], v[72:73]
	global_load_dwordx4 v[0:3], v[34:35], off offset:112
	global_load_dwordx4 v[4:7], v[34:35], off offset:96
	global_load_dwordx4 v[14:17], v[34:35], off offset:80
	global_load_dwordx4 v[18:21], v[34:35], off offset:64
	s_waitcnt vmcnt(3)
	v_fmac_f64_e32 v[22:23], v[0:1], v[66:67]
	s_waitcnt vmcnt(2)
	v_fmac_f64_e32 v[26:27], v[4:5], v[66:67]
	s_waitcnt vmcnt(1)
	v_fmac_f64_e32 v[74:75], v[14:15], v[66:67]
	s_waitcnt vmcnt(0)
	v_fmac_f64_e32 v[10:11], v[18:19], v[66:67]
	v_fmac_f64_e32 v[60:61], v[20:21], v[66:67]
	v_fmac_f64_e32 v[58:59], v[16:17], v[66:67]
	v_fmac_f64_e32 v[50:51], v[6:7], v[66:67]
	v_fmac_f64_e32 v[48:49], v[2:3], v[66:67]
	v_fma_f64 v[10:11], -v[20:21], v[68:69], v[10:11]
	v_fmac_f64_e32 v[60:61], v[18:19], v[68:69]
	v_fma_f64 v[24:25], -v[16:17], v[68:69], v[74:75]
	v_fmac_f64_e32 v[58:59], v[14:15], v[68:69]
	v_fma_f64 v[26:27], -v[6:7], v[68:69], v[26:27]
	v_fmac_f64_e32 v[50:51], v[4:5], v[68:69]
	v_fma_f64 v[22:23], -v[2:3], v[68:69], v[22:23]
	v_fmac_f64_e32 v[48:49], v[0:1], v[68:69]
	global_load_dwordx4 v[0:3], v[34:35], off offset:176
	global_load_dwordx4 v[4:7], v[34:35], off offset:160
	global_load_dwordx4 v[14:17], v[34:35], off offset:144
	global_load_dwordx4 v[18:21], v[34:35], off offset:128
	s_waitcnt vmcnt(3)
	v_fmac_f64_e32 v[22:23], v[0:1], v[62:63]
	s_waitcnt vmcnt(2)
	v_fmac_f64_e32 v[26:27], v[4:5], v[62:63]
	s_waitcnt vmcnt(1)
	v_fmac_f64_e32 v[24:25], v[14:15], v[62:63]
	s_waitcnt vmcnt(0)
	v_fmac_f64_e32 v[10:11], v[18:19], v[62:63]
	v_fmac_f64_e32 v[60:61], v[20:21], v[62:63]
	v_fmac_f64_e32 v[58:59], v[16:17], v[62:63]
	v_fmac_f64_e32 v[50:51], v[6:7], v[62:63]
	v_fmac_f64_e32 v[48:49], v[2:3], v[62:63]
	;; [unrolled: 24-line block ×3, first 2 shown]
	v_fma_f64 v[68:69], -v[20:21], v[32:33], v[10:11]
	v_fmac_f64_e32 v[60:61], v[18:19], v[32:33]
	v_fma_f64 v[66:67], -v[16:17], v[32:33], v[24:25]
	v_fmac_f64_e32 v[58:59], v[14:15], v[32:33]
	v_fma_f64 v[64:65], -v[6:7], v[32:33], v[26:27]
	v_fmac_f64_e32 v[50:51], v[4:5], v[32:33]
	v_fma_f64 v[62:63], -v[2:3], v[32:33], v[22:23]
	v_fmac_f64_e32 v[48:49], v[0:1], v[32:33]
	s_andn2_b64 exec, exec, s[10:11]
	s_cbranch_execnz .LBB38_35
; %bb.36:
	s_or_b64 exec, exec, s[10:11]
.LBB38_37:
	s_or_b64 exec, exec, s[8:9]
.LBB38_38:
	s_or_b64 exec, exec, s[2:3]
.LBB38_39:
	v_mov_b32_dpp v0, v68 row_shr:1 row_mask:0xf bank_mask:0xf
	v_mov_b32_dpp v1, v69 row_shr:1 row_mask:0xf bank_mask:0xf
	v_mov_b32_dpp v4, v60 row_shr:1 row_mask:0xf bank_mask:0xf
	v_mov_b32_dpp v5, v61 row_shr:1 row_mask:0xf bank_mask:0xf
	v_mov_b32_dpp v8, v66 row_shr:1 row_mask:0xf bank_mask:0xf
	v_mov_b32_dpp v9, v67 row_shr:1 row_mask:0xf bank_mask:0xf
	v_mov_b32_dpp v12, v58 row_shr:1 row_mask:0xf bank_mask:0xf
	v_mov_b32_dpp v13, v59 row_shr:1 row_mask:0xf bank_mask:0xf
	v_mov_b32_dpp v16, v64 row_shr:1 row_mask:0xf bank_mask:0xf
	v_mov_b32_dpp v17, v65 row_shr:1 row_mask:0xf bank_mask:0xf
	v_mov_b32_dpp v20, v50 row_shr:1 row_mask:0xf bank_mask:0xf
	v_mov_b32_dpp v21, v51 row_shr:1 row_mask:0xf bank_mask:0xf
	v_mov_b32_dpp v24, v62 row_shr:1 row_mask:0xf bank_mask:0xf
	v_mov_b32_dpp v25, v63 row_shr:1 row_mask:0xf bank_mask:0xf
	v_mov_b32_dpp v28, v48 row_shr:1 row_mask:0xf bank_mask:0xf
	v_mov_b32_dpp v29, v49 row_shr:1 row_mask:0xf bank_mask:0xf
	v_add_f64 v[0:1], v[68:69], v[0:1]
	v_add_f64 v[4:5], v[60:61], v[4:5]
	v_add_f64 v[8:9], v[66:67], v[8:9]
	v_add_f64 v[12:13], v[58:59], v[12:13]
	v_add_f64 v[16:17], v[64:65], v[16:17]
	v_add_f64 v[20:21], v[50:51], v[20:21]
	v_add_f64 v[24:25], v[62:63], v[24:25]
	v_add_f64 v[28:29], v[48:49], v[28:29]
	v_mov_b32_dpp v2, v0 row_shr:2 row_mask:0xf bank_mask:0xf
	v_mov_b32_dpp v3, v1 row_shr:2 row_mask:0xf bank_mask:0xf
	v_mov_b32_dpp v6, v4 row_shr:2 row_mask:0xf bank_mask:0xf
	v_mov_b32_dpp v7, v5 row_shr:2 row_mask:0xf bank_mask:0xf
	v_mov_b32_dpp v10, v8 row_shr:2 row_mask:0xf bank_mask:0xf
	v_mov_b32_dpp v11, v9 row_shr:2 row_mask:0xf bank_mask:0xf
	v_mov_b32_dpp v14, v12 row_shr:2 row_mask:0xf bank_mask:0xf
	v_mov_b32_dpp v15, v13 row_shr:2 row_mask:0xf bank_mask:0xf
	v_mov_b32_dpp v18, v16 row_shr:2 row_mask:0xf bank_mask:0xf
	v_mov_b32_dpp v19, v17 row_shr:2 row_mask:0xf bank_mask:0xf
	v_mov_b32_dpp v22, v20 row_shr:2 row_mask:0xf bank_mask:0xf
	v_mov_b32_dpp v23, v21 row_shr:2 row_mask:0xf bank_mask:0xf
	v_mov_b32_dpp v26, v24 row_shr:2 row_mask:0xf bank_mask:0xf
	v_mov_b32_dpp v27, v25 row_shr:2 row_mask:0xf bank_mask:0xf
	v_mov_b32_dpp v30, v28 row_shr:2 row_mask:0xf bank_mask:0xf
	v_mov_b32_dpp v31, v29 row_shr:2 row_mask:0xf bank_mask:0xf
	v_add_f64 v[0:1], v[0:1], v[2:3]
	v_add_f64 v[4:5], v[4:5], v[6:7]
	v_add_f64 v[8:9], v[8:9], v[10:11]
	v_add_f64 v[12:13], v[12:13], v[14:15]
	v_add_f64 v[16:17], v[16:17], v[18:19]
	v_add_f64 v[20:21], v[20:21], v[22:23]
	v_add_f64 v[24:25], v[24:25], v[26:27]
	v_add_f64 v[28:29], v[28:29], v[30:31]
	;; [unrolled: 24-line block ×4, first 2 shown]
	v_mov_b32_dpp v2, v0 row_bcast:15 row_mask:0xa bank_mask:0xf
	v_mov_b32_dpp v3, v1 row_bcast:15 row_mask:0xa bank_mask:0xf
	;; [unrolled: 1-line block ×16, first 2 shown]
	v_cmp_eq_u32_e32 vcc, 31, v46
	s_and_b64 exec, exec, vcc
	s_cbranch_execz .LBB38_12
; %bb.40:
	s_load_dwordx2 s[2:3], s[6:7], 0x60
	v_add_f64 v[32:33], v[0:1], v[2:3]
	v_add_f64 v[0:1], v[4:5], v[6:7]
	;; [unrolled: 1-line block ×8, first 2 shown]
	v_cmp_eq_f64_e32 vcc, 0, v[36:37]
	v_cmp_eq_f64_e64 s[0:1], 0, v[38:39]
	v_mul_f64 v[12:13], v[0:1], -v[42:43]
	v_mul_f64 v[14:15], v[40:41], v[0:1]
	v_mul_f64 v[8:9], v[2:3], -v[42:43]
	v_mul_f64 v[10:11], v[40:41], v[2:3]
	;; [unrolled: 2-line block ×4, first 2 shown]
	s_and_b64 s[0:1], vcc, s[0:1]
	v_fmac_f64_e32 v[12:13], v[40:41], v[32:33]
	v_fmac_f64_e32 v[14:15], v[42:43], v[32:33]
	v_lshlrev_b32_e32 v16, 2, v44
	v_fmac_f64_e32 v[8:9], v[40:41], v[34:35]
	v_fmac_f64_e32 v[10:11], v[42:43], v[34:35]
	;; [unrolled: 1-line block ×6, first 2 shown]
	s_and_saveexec_b64 s[4:5], s[0:1]
	s_xor_b64 s[0:1], exec, s[4:5]
	s_cbranch_execz .LBB38_42
; %bb.41:
	v_ashrrev_i32_e32 v17, 31, v16
	v_lshlrev_b64 v[16:17], 4, v[16:17]
	s_waitcnt lgkmcnt(0)
	v_mov_b32_e32 v18, s3
	v_add_co_u32_e32 v16, vcc, s2, v16
	v_addc_co_u32_e32 v17, vcc, v18, v17, vcc
	global_store_dwordx4 v[16:17], v[12:15], off
	global_store_dwordx4 v[16:17], v[8:11], off offset:16
	global_store_dwordx4 v[16:17], v[4:7], off offset:32
	;; [unrolled: 1-line block ×3, first 2 shown]
                                        ; implicit-def: $vgpr36_vgpr37
                                        ; implicit-def: $vgpr38_vgpr39
                                        ; implicit-def: $vgpr12_vgpr13
                                        ; implicit-def: $vgpr16
                                        ; implicit-def: $vgpr8_vgpr9
                                        ; implicit-def: $vgpr4_vgpr5
                                        ; implicit-def: $vgpr0_vgpr1
.LBB38_42:
	s_andn2_saveexec_b64 s[0:1], s[0:1]
	s_cbranch_execz .LBB38_12
; %bb.43:
	v_ashrrev_i32_e32 v17, 31, v16
	v_lshlrev_b64 v[16:17], 4, v[16:17]
	s_waitcnt lgkmcnt(0)
	v_mov_b32_e32 v18, s3
	v_add_co_u32_e32 v32, vcc, s2, v16
	v_addc_co_u32_e32 v33, vcc, v18, v17, vcc
	global_load_dwordx4 v[16:19], v[32:33], off
	global_load_dwordx4 v[20:23], v[32:33], off offset:16
	global_load_dwordx4 v[24:27], v[32:33], off offset:32
	;; [unrolled: 1-line block ×3, first 2 shown]
	s_waitcnt vmcnt(3)
	v_fmac_f64_e32 v[12:13], v[36:37], v[16:17]
	v_fmac_f64_e32 v[14:15], v[38:39], v[16:17]
	s_waitcnt vmcnt(2)
	v_fmac_f64_e32 v[8:9], v[36:37], v[20:21]
	v_fmac_f64_e32 v[10:11], v[38:39], v[20:21]
	;; [unrolled: 3-line block ×4, first 2 shown]
	v_fma_f64 v[12:13], -v[38:39], v[18:19], v[12:13]
	v_fmac_f64_e32 v[14:15], v[36:37], v[18:19]
	v_fma_f64 v[8:9], -v[38:39], v[22:23], v[8:9]
	v_fmac_f64_e32 v[10:11], v[36:37], v[22:23]
	;; [unrolled: 2-line block ×4, first 2 shown]
	global_store_dwordx4 v[32:33], v[12:15], off
	global_store_dwordx4 v[32:33], v[8:11], off offset:16
	global_store_dwordx4 v[32:33], v[4:7], off offset:32
	;; [unrolled: 1-line block ×3, first 2 shown]
	s_endpgm
	.section	.rodata,"a",@progbits
	.p2align	6, 0x0
	.amdhsa_kernel _ZN9rocsparseL18bsrxmvn_4x4_kernelILj128ELj32E21rocsparse_complex_numIdEliS2_S2_S2_EEvT3_20rocsparse_direction_NS_24const_host_device_scalarIT1_EES3_PKS3_PKT2_SC_S9_PKT4_PKT5_S7_PT6_21rocsparse_index_base_b
		.amdhsa_group_segment_fixed_size 2048
		.amdhsa_private_segment_fixed_size 0
		.amdhsa_kernarg_size 112
		.amdhsa_user_sgpr_count 8
		.amdhsa_user_sgpr_private_segment_buffer 1
		.amdhsa_user_sgpr_dispatch_ptr 1
		.amdhsa_user_sgpr_queue_ptr 0
		.amdhsa_user_sgpr_kernarg_segment_ptr 1
		.amdhsa_user_sgpr_dispatch_id 0
		.amdhsa_user_sgpr_flat_scratch_init 0
		.amdhsa_user_sgpr_kernarg_preload_length 0
		.amdhsa_user_sgpr_kernarg_preload_offset 0
		.amdhsa_user_sgpr_private_segment_size 0
		.amdhsa_uses_dynamic_stack 0
		.amdhsa_system_sgpr_private_segment_wavefront_offset 0
		.amdhsa_system_sgpr_workgroup_id_x 1
		.amdhsa_system_sgpr_workgroup_id_y 0
		.amdhsa_system_sgpr_workgroup_id_z 0
		.amdhsa_system_sgpr_workgroup_info 0
		.amdhsa_system_vgpr_workitem_id 2
		.amdhsa_next_free_vgpr 130
		.amdhsa_next_free_sgpr 23
		.amdhsa_accum_offset 132
		.amdhsa_reserve_vcc 1
		.amdhsa_reserve_flat_scratch 0
		.amdhsa_float_round_mode_32 0
		.amdhsa_float_round_mode_16_64 0
		.amdhsa_float_denorm_mode_32 3
		.amdhsa_float_denorm_mode_16_64 3
		.amdhsa_dx10_clamp 1
		.amdhsa_ieee_mode 1
		.amdhsa_fp16_overflow 0
		.amdhsa_tg_split 0
		.amdhsa_exception_fp_ieee_invalid_op 0
		.amdhsa_exception_fp_denorm_src 0
		.amdhsa_exception_fp_ieee_div_zero 0
		.amdhsa_exception_fp_ieee_overflow 0
		.amdhsa_exception_fp_ieee_underflow 0
		.amdhsa_exception_fp_ieee_inexact 0
		.amdhsa_exception_int_div_zero 0
	.end_amdhsa_kernel
	.section	.text._ZN9rocsparseL18bsrxmvn_4x4_kernelILj128ELj32E21rocsparse_complex_numIdEliS2_S2_S2_EEvT3_20rocsparse_direction_NS_24const_host_device_scalarIT1_EES3_PKS3_PKT2_SC_S9_PKT4_PKT5_S7_PT6_21rocsparse_index_base_b,"axG",@progbits,_ZN9rocsparseL18bsrxmvn_4x4_kernelILj128ELj32E21rocsparse_complex_numIdEliS2_S2_S2_EEvT3_20rocsparse_direction_NS_24const_host_device_scalarIT1_EES3_PKS3_PKT2_SC_S9_PKT4_PKT5_S7_PT6_21rocsparse_index_base_b,comdat
.Lfunc_end38:
	.size	_ZN9rocsparseL18bsrxmvn_4x4_kernelILj128ELj32E21rocsparse_complex_numIdEliS2_S2_S2_EEvT3_20rocsparse_direction_NS_24const_host_device_scalarIT1_EES3_PKS3_PKT2_SC_S9_PKT4_PKT5_S7_PT6_21rocsparse_index_base_b, .Lfunc_end38-_ZN9rocsparseL18bsrxmvn_4x4_kernelILj128ELj32E21rocsparse_complex_numIdEliS2_S2_S2_EEvT3_20rocsparse_direction_NS_24const_host_device_scalarIT1_EES3_PKS3_PKT2_SC_S9_PKT4_PKT5_S7_PT6_21rocsparse_index_base_b
                                        ; -- End function
	.section	.AMDGPU.csdata,"",@progbits
; Kernel info:
; codeLenInByte = 8740
; NumSgprs: 27
; NumVgprs: 130
; NumAgprs: 0
; TotalNumVgprs: 130
; ScratchSize: 0
; MemoryBound: 1
; FloatMode: 240
; IeeeMode: 1
; LDSByteSize: 2048 bytes/workgroup (compile time only)
; SGPRBlocks: 3
; VGPRBlocks: 16
; NumSGPRsForWavesPerEU: 27
; NumVGPRsForWavesPerEU: 130
; AccumOffset: 132
; Occupancy: 3
; WaveLimiterHint : 1
; COMPUTE_PGM_RSRC2:SCRATCH_EN: 0
; COMPUTE_PGM_RSRC2:USER_SGPR: 8
; COMPUTE_PGM_RSRC2:TRAP_HANDLER: 0
; COMPUTE_PGM_RSRC2:TGID_X_EN: 1
; COMPUTE_PGM_RSRC2:TGID_Y_EN: 0
; COMPUTE_PGM_RSRC2:TGID_Z_EN: 0
; COMPUTE_PGM_RSRC2:TIDIG_COMP_CNT: 2
; COMPUTE_PGM_RSRC3_GFX90A:ACCUM_OFFSET: 32
; COMPUTE_PGM_RSRC3_GFX90A:TG_SPLIT: 0
	.section	.text._ZN9rocsparseL18bsrxmvn_4x4_kernelILj128ELj64E21rocsparse_complex_numIdEliS2_S2_S2_EEvT3_20rocsparse_direction_NS_24const_host_device_scalarIT1_EES3_PKS3_PKT2_SC_S9_PKT4_PKT5_S7_PT6_21rocsparse_index_base_b,"axG",@progbits,_ZN9rocsparseL18bsrxmvn_4x4_kernelILj128ELj64E21rocsparse_complex_numIdEliS2_S2_S2_EEvT3_20rocsparse_direction_NS_24const_host_device_scalarIT1_EES3_PKS3_PKT2_SC_S9_PKT4_PKT5_S7_PT6_21rocsparse_index_base_b,comdat
	.globl	_ZN9rocsparseL18bsrxmvn_4x4_kernelILj128ELj64E21rocsparse_complex_numIdEliS2_S2_S2_EEvT3_20rocsparse_direction_NS_24const_host_device_scalarIT1_EES3_PKS3_PKT2_SC_S9_PKT4_PKT5_S7_PT6_21rocsparse_index_base_b ; -- Begin function _ZN9rocsparseL18bsrxmvn_4x4_kernelILj128ELj64E21rocsparse_complex_numIdEliS2_S2_S2_EEvT3_20rocsparse_direction_NS_24const_host_device_scalarIT1_EES3_PKS3_PKT2_SC_S9_PKT4_PKT5_S7_PT6_21rocsparse_index_base_b
	.p2align	8
	.type	_ZN9rocsparseL18bsrxmvn_4x4_kernelILj128ELj64E21rocsparse_complex_numIdEliS2_S2_S2_EEvT3_20rocsparse_direction_NS_24const_host_device_scalarIT1_EES3_PKS3_PKT2_SC_S9_PKT4_PKT5_S7_PT6_21rocsparse_index_base_b,@function
_ZN9rocsparseL18bsrxmvn_4x4_kernelILj128ELj64E21rocsparse_complex_numIdEliS2_S2_S2_EEvT3_20rocsparse_direction_NS_24const_host_device_scalarIT1_EES3_PKS3_PKT2_SC_S9_PKT4_PKT5_S7_PT6_21rocsparse_index_base_b: ; @_ZN9rocsparseL18bsrxmvn_4x4_kernelILj128ELj64E21rocsparse_complex_numIdEliS2_S2_S2_EEvT3_20rocsparse_direction_NS_24const_host_device_scalarIT1_EES3_PKS3_PKT2_SC_S9_PKT4_PKT5_S7_PT6_21rocsparse_index_base_b
; %bb.0:
	s_load_dwordx2 s[20:21], s[6:7], 0x68
	s_load_dwordx4 s[12:15], s[6:7], 0x8
	s_load_dwordx2 s[10:11], s[4:5], 0x4
	s_load_dwordx4 s[16:19], s[6:7], 0x50
	s_mov_b64 s[2:3], src_shared_base
	v_bfe_u32 v2, v0, 10, 10
	s_waitcnt lgkmcnt(0)
	s_bitcmp1_b32 s21, 0
	s_cselect_b64 s[0:1], -1, 0
	s_and_b64 vcc, s[0:1], exec
	s_cselect_b32 s2, s3, s13
	s_lshr_b32 s4, s10, 16
	v_and_b32_e32 v1, 0x3ff, v0
	s_mul_i32 s4, s4, s11
	v_mul_u32_u24_e32 v2, s11, v2
	v_mad_u32_u24 v2, s4, v1, v2
	v_bfe_u32 v0, v0, 20, 10
	v_add_lshl_u32 v0, v2, v0, 3
	v_mov_b32_e32 v6, s12
	v_add_u32_e32 v7, 0x400, v0
	v_pk_mov_b32 v[2:3], s[12:13], s[12:13] op_sel:[0,1]
	v_pk_mov_b32 v[4:5], s[16:17], s[16:17] op_sel:[0,1]
	ds_write2st64_b64 v0, v[4:5], v[2:3] offset1:2
	v_cndmask_b32_e64 v2, v6, v7, s[0:1]
	v_mov_b32_e32 v3, s2
	flat_load_dwordx2 v[40:41], v[2:3]
	s_xor_b64 s[4:5], s[0:1], -1
	v_pk_mov_b32 v[42:43], s[14:15], s[14:15] op_sel:[0,1]
	s_cbranch_vccnz .LBB39_2
; %bb.1:
	v_pk_mov_b32 v[2:3], s[12:13], s[12:13] op_sel:[0,1]
	flat_load_dwordx2 v[42:43], v[2:3] offset:8
.LBB39_2:
	s_and_b64 s[10:11], s[0:1], exec
	s_cselect_b32 s2, s3, s17
	v_mov_b32_e32 v2, s16
	v_cndmask_b32_e64 v2, v2, v0, s[0:1]
	v_mov_b32_e32 v3, s2
	flat_load_dwordx2 v[36:37], v[2:3]
	s_andn2_b64 vcc, exec, s[4:5]
	v_pk_mov_b32 v[38:39], s[18:19], s[18:19] op_sel:[0,1]
	s_cbranch_vccnz .LBB39_4
; %bb.3:
	v_pk_mov_b32 v[2:3], s[16:17], s[16:17] op_sel:[0,1]
	flat_load_dwordx2 v[38:39], v[2:3] offset:8
.LBB39_4:
	s_waitcnt vmcnt(0) lgkmcnt(0)
	v_cmp_eq_f64_e32 vcc, 0, v[40:41]
	v_cmp_eq_f64_e64 s[0:1], 0, v[42:43]
	s_and_b64 s[4:5], vcc, s[0:1]
	s_mov_b64 s[0:1], -1
	s_and_saveexec_b64 s[2:3], s[4:5]
; %bb.5:
	v_cmp_neq_f64_e32 vcc, 1.0, v[36:37]
	v_cmp_neq_f64_e64 s[0:1], 0, v[38:39]
	s_or_b64 s[0:1], vcc, s[0:1]
	s_orn2_b64 s[0:1], s[0:1], exec
; %bb.6:
	s_or_b64 exec, exec, s[2:3]
	s_and_saveexec_b64 s[2:3], s[0:1]
	s_cbranch_execz .LBB39_12
; %bb.7:
	s_load_dwordx2 s[4:5], s[6:7], 0x20
	s_load_dwordx2 s[0:1], s[6:7], 0x0
	v_lshrrev_b32_e32 v0, 6, v1
	v_lshl_or_b32 v44, s8, 1, v0
	s_mov_b64 s[2:3], 0
	s_waitcnt lgkmcnt(0)
	s_cmp_lg_u64 s[4:5], 0
	s_cbranch_scc0 .LBB39_13
; %bb.8:
	s_load_dword s8, s[6:7], 0x18
                                        ; implicit-def: $vgpr0
	s_waitcnt lgkmcnt(0)
	v_cmp_gt_i32_e32 vcc, s8, v44
	s_and_saveexec_b64 s[8:9], vcc
	s_xor_b64 s[8:9], exec, s[8:9]
	s_cbranch_execz .LBB39_10
; %bb.9:
	v_ashrrev_i32_e32 v45, 31, v44
	v_lshlrev_b64 v[2:3], 2, v[44:45]
	v_mov_b32_e32 v0, s5
	v_add_co_u32_e32 v2, vcc, s4, v2
	v_addc_co_u32_e32 v3, vcc, v0, v3, vcc
	global_load_dword v0, v[2:3], off
	s_mov_b64 s[2:3], exec
	s_waitcnt vmcnt(0)
	v_subrev_u32_e32 v0, s20, v0
.LBB39_10:
	s_or_b64 exec, exec, s[8:9]
	s_branch .LBB39_14
.LBB39_11:
	v_cmp_gt_i32_e32 vcc, s0, v44
	s_andn2_b64 s[2:3], s[2:3], exec
	s_and_b64 s[4:5], vcc, exec
	s_or_b64 s[2:3], s[2:3], s[4:5]
	s_and_b64 exec, exec, s[2:3]
	s_cbranch_execnz .LBB39_15
.LBB39_12:
	s_endpgm
.LBB39_13:
                                        ; implicit-def: $vgpr0
	s_cbranch_execnz .LBB39_11
.LBB39_14:
	v_mov_b32_e32 v44, v0
	s_and_b64 exec, exec, s[2:3]
	s_cbranch_execz .LBB39_12
.LBB39_15:
	s_load_dwordx8 s[8:15], s[6:7], 0x28
	v_ashrrev_i32_e32 v45, 31, v44
	v_lshlrev_b64 v[2:3], 3, v[44:45]
	v_and_b32_e32 v46, 63, v1
	s_load_dwordx2 s[4:5], s[6:7], 0x48
	s_waitcnt lgkmcnt(0)
	v_mov_b32_e32 v0, s9
	v_add_co_u32_e32 v4, vcc, s8, v2
	v_addc_co_u32_e32 v5, vcc, v0, v3, vcc
	v_add_co_u32_e32 v0, vcc, 8, v4
	global_load_dwordx2 v[16:17], v[4:5], off
	v_addc_co_u32_e32 v4, vcc, 0, v5, vcc
	v_mov_b32_e32 v5, s11
	v_add_co_u32_e32 v2, vcc, s10, v2
	s_cmp_eq_u64 s[10:11], 0
	v_addc_co_u32_e32 v3, vcc, v5, v3, vcc
	s_cselect_b64 vcc, -1, 0
	v_cndmask_b32_e32 v3, v3, v4, vcc
	v_cndmask_b32_e32 v2, v2, v0, vcc
	global_load_dwordx2 v[2:3], v[2:3], off
	v_mov_b32_e32 v4, s15
	s_mov_b32 s18, 0
	s_cmp_eq_u32 s1, 1
	s_waitcnt vmcnt(1)
	v_subrev_co_u32_e32 v0, vcc, s20, v16
	v_subbrev_co_u32_e32 v1, vcc, 0, v17, vcc
	v_add_co_u32_e32 v52, vcc, v0, v46
	v_addc_co_u32_e32 v53, vcc, 0, v1, vcc
	v_lshlrev_b64 v[0:1], 8, v[52:53]
	s_waitcnt vmcnt(0)
	v_subrev_co_u32_e32 v54, vcc, s20, v2
	v_subbrev_co_u32_e32 v55, vcc, 0, v3, vcc
	v_add_co_u32_e32 v56, vcc, s14, v0
	v_addc_co_u32_e32 v57, vcc, v4, v1, vcc
	v_cmp_lt_i64_e64 s[0:1], v[52:53], v[54:55]
	s_cbranch_scc1 .LBB39_27
; %bb.16:
	v_pk_mov_b32 v[60:61], 0, 0
	s_mov_b64 s[8:9], 0
	v_pk_mov_b32 v[68:69], v[60:61], v[60:61] op_sel:[0,1]
	v_pk_mov_b32 v[62:63], v[60:61], v[60:61] op_sel:[0,1]
	;; [unrolled: 1-line block ×7, first 2 shown]
	s_and_saveexec_b64 s[10:11], s[0:1]
	s_cbranch_execz .LBB39_26
; %bb.17:
	v_or_b32_e32 v0, 64, v46
	v_mov_b32_e32 v1, s18
	v_subrev_co_u32_e32 v0, vcc, s20, v0
	v_subb_co_u32_e32 v1, vcc, 0, v1, vcc
	v_add_co_u32_e32 v0, vcc, v0, v16
	v_addc_co_u32_e32 v1, vcc, v1, v17, vcc
	v_cmp_gt_i64_e32 vcc, v[0:1], v[54:55]
	v_cndmask_b32_e32 v1, v55, v1, vcc
	v_cndmask_b32_e32 v0, v54, v0, vcc
	v_mov_b32_e32 v4, s18
	v_sub_co_u32_e32 v5, vcc, s20, v46
	v_not_b32_e32 v3, v16
	v_subbrev_co_u32_e32 v4, vcc, 0, v4, vcc
	v_not_b32_e32 v2, v17
	v_add_co_u32_e32 v3, vcc, v5, v3
	v_addc_co_u32_e32 v2, vcc, v4, v2, vcc
	v_add_co_u32_e32 v22, vcc, v3, v0
	v_lshrrev_b32_e32 v0, 6, v22
	v_add_u32_e32 v0, 1, v0
	v_addc_co_u32_e32 v23, vcc, v2, v1, vcc
	v_and_b32_e32 v0, 3, v0
	v_pk_mov_b32 v[58:59], 0, 0
	v_cmp_ne_u32_e32 vcc, 0, v0
	s_mov_b64 s[16:17], 0
	v_pk_mov_b32 v[66:67], v[58:59], v[58:59] op_sel:[0,1]
	v_pk_mov_b32 v[50:51], v[58:59], v[58:59] op_sel:[0,1]
	;; [unrolled: 1-line block ×9, first 2 shown]
	s_and_saveexec_b64 s[14:15], vcc
	s_cbranch_execz .LBB39_21
; %bb.18:
	v_lshlrev_b64 v[2:3], 2, v[52:53]
	v_mov_b32_e32 v1, s13
	v_add_co_u32_e32 v26, vcc, s12, v2
	v_pk_mov_b32 v[60:61], 0, 0
	v_mov_b32_e32 v25, 0
	v_addc_co_u32_e32 v27, vcc, v1, v3, vcc
	v_lshlrev_b32_e32 v24, 2, v0
	s_movk_i32 s19, 0x4000
	v_mov_b32_e32 v28, s5
	v_pk_mov_b32 v[20:21], v[52:53], v[52:53] op_sel:[0,1]
	v_pk_mov_b32 v[18:19], v[56:57], v[56:57] op_sel:[0,1]
	;; [unrolled: 1-line block ×9, first 2 shown]
.LBB39_19:                              ; =>This Inner Loop Header: Depth=1
	global_load_dword v29, v[26:27], off
	global_load_dwordx4 v[0:3], v[18:19], off offset:16
	global_load_dwordx4 v[4:7], v[18:19], off
	global_load_dwordx4 v[8:11], v[18:19], off offset:80
	global_load_dwordx4 v[12:15], v[18:19], off offset:64
	;; [unrolled: 1-line block ×14, first 2 shown]
	v_add_co_u32_e32 v18, vcc, s19, v18
	v_addc_co_u32_e32 v19, vcc, 0, v19, vcc
	v_add_co_u32_e32 v26, vcc, 0x100, v26
	v_addc_co_u32_e32 v27, vcc, 0, v27, vcc
	s_waitcnt vmcnt(16)
	v_subrev_u32_e32 v29, s20, v29
	v_lshlrev_b32_e32 v34, 2, v29
	v_ashrrev_i32_e32 v35, 31, v34
	v_lshlrev_b64 v[34:35], 4, v[34:35]
	v_add_co_u32_e64 v34, s[2:3], s4, v34
	v_addc_co_u32_e64 v35, s[2:3], v28, v35, s[2:3]
	global_load_dwordx4 v[114:117], v[34:35], off
	global_load_dwordx4 v[118:121], v[34:35], off offset:16
	global_load_dwordx4 v[122:125], v[34:35], off offset:32
	;; [unrolled: 1-line block ×3, first 2 shown]
	v_add_co_u32_e64 v20, s[2:3], 64, v20
	v_addc_co_u32_e64 v21, s[2:3], 0, v21, s[2:3]
	v_add_co_u32_e64 v24, s[2:3], -4, v24
	v_addc_co_u32_e64 v25, s[2:3], -1, v25, s[2:3]
	v_cmp_eq_u64_e64 s[2:3], 0, v[24:25]
	s_or_b64 s[16:17], s[2:3], s[16:17]
	s_waitcnt vmcnt(3)
	v_fmac_f64_e32 v[68:69], v[4:5], v[114:115]
	v_fmac_f64_e32 v[60:61], v[6:7], v[114:115]
	v_fmac_f64_e32 v[66:67], v[12:13], v[114:115]
	v_fmac_f64_e32 v[58:59], v[14:15], v[114:115]
	v_fmac_f64_e32 v[64:65], v[70:71], v[114:115]
	v_fmac_f64_e32 v[50:51], v[72:73], v[114:115]
	v_fmac_f64_e32 v[62:63], v[74:75], v[114:115]
	v_fmac_f64_e32 v[48:49], v[76:77], v[114:115]
	v_fma_f64 v[6:7], -v[6:7], v[116:117], v[68:69]
	v_fmac_f64_e32 v[60:61], v[4:5], v[116:117]
	v_fma_f64 v[4:5], -v[14:15], v[116:117], v[66:67]
	v_fmac_f64_e32 v[58:59], v[12:13], v[116:117]
	v_fma_f64 v[12:13], -v[72:73], v[116:117], v[64:65]
	v_fmac_f64_e32 v[50:51], v[70:71], v[116:117]
	v_fma_f64 v[14:15], -v[76:77], v[116:117], v[62:63]
	v_fmac_f64_e32 v[48:49], v[74:75], v[116:117]
	s_waitcnt vmcnt(2)
	v_fmac_f64_e32 v[6:7], v[0:1], v[118:119]
	v_fmac_f64_e32 v[60:61], v[2:3], v[118:119]
	v_fmac_f64_e32 v[4:5], v[8:9], v[118:119]
	v_fmac_f64_e32 v[58:59], v[10:11], v[118:119]
	v_fmac_f64_e32 v[12:13], v[30:31], v[118:119]
	v_fmac_f64_e32 v[50:51], v[32:33], v[118:119]
	v_fmac_f64_e32 v[14:15], v[78:79], v[118:119]
	v_fmac_f64_e32 v[48:49], v[80:81], v[118:119]
	v_fma_f64 v[2:3], -v[2:3], v[120:121], v[6:7]
	v_fmac_f64_e32 v[60:61], v[0:1], v[120:121]
	v_fma_f64 v[0:1], -v[10:11], v[120:121], v[4:5]
	v_fmac_f64_e32 v[58:59], v[8:9], v[120:121]
	v_fma_f64 v[4:5], -v[32:33], v[120:121], v[12:13]
	v_fmac_f64_e32 v[50:51], v[30:31], v[120:121]
	v_fma_f64 v[6:7], -v[80:81], v[120:121], v[14:15]
	v_fmac_f64_e32 v[48:49], v[78:79], v[120:121]
	;; [unrolled: 17-line block ×4, first 2 shown]
	s_andn2_b64 exec, exec, s[16:17]
	s_cbranch_execnz .LBB39_19
; %bb.20:
	s_or_b64 exec, exec, s[16:17]
.LBB39_21:
	s_or_b64 exec, exec, s[14:15]
	s_mov_b64 s[2:3], 0xbf
	v_cmp_lt_u64_e32 vcc, s[2:3], v[22:23]
	s_and_saveexec_b64 s[14:15], vcc
	s_cbranch_execz .LBB39_25
; %bb.22:
	v_lshlrev_b64 v[0:1], 2, v[20:21]
	v_mov_b32_e32 v2, s13
	v_add_co_u32_e32 v0, vcc, s12, v0
	v_addc_co_u32_e32 v1, vcc, v1, v2, vcc
	v_add_co_u32_e32 v22, vcc, 0x200, v0
	v_addc_co_u32_e32 v23, vcc, 0, v1, vcc
	s_mov_b64 s[16:17], 0
	v_mov_b32_e32 v28, s5
	s_movk_i32 s19, 0x4000
	s_mov_b32 s21, 0x8000
	s_mov_b32 s22, 0xc000
.LBB39_23:                              ; =>This Inner Loop Header: Depth=1
	global_load_dword v0, v[22:23], off offset:-512
	global_load_dwordx4 v[30:33], v[18:19], off offset:48
	global_load_dwordx4 v[24:27], v[18:19], off offset:32
	;; [unrolled: 1-line block ×3, first 2 shown]
	global_load_dwordx4 v[74:77], v[18:19], off
	s_waitcnt vmcnt(4)
	v_subrev_u32_e32 v0, s20, v0
	v_lshlrev_b32_e32 v0, 2, v0
	v_ashrrev_i32_e32 v1, 31, v0
	v_lshlrev_b64 v[0:1], 4, v[0:1]
	v_add_co_u32_e32 v34, vcc, s4, v0
	v_addc_co_u32_e32 v35, vcc, v28, v1, vcc
	global_load_dwordx4 v[0:3], v[34:35], off offset:48
	global_load_dwordx4 v[4:7], v[34:35], off offset:32
	;; [unrolled: 1-line block ×3, first 2 shown]
	global_load_dwordx4 v[12:15], v[34:35], off
	v_add_co_u32_e32 v80, vcc, s19, v18
	v_addc_co_u32_e32 v81, vcc, 0, v19, vcc
	s_waitcnt vmcnt(0)
	v_fmac_f64_e32 v[68:69], v[74:75], v[12:13]
	v_fmac_f64_e32 v[60:61], v[76:77], v[12:13]
	v_fma_f64 v[34:35], -v[76:77], v[14:15], v[68:69]
	v_fmac_f64_e32 v[60:61], v[74:75], v[14:15]
	v_fmac_f64_e32 v[34:35], v[70:71], v[8:9]
	v_fmac_f64_e32 v[60:61], v[72:73], v[8:9]
	v_fma_f64 v[34:35], -v[72:73], v[10:11], v[34:35]
	v_fmac_f64_e32 v[60:61], v[70:71], v[10:11]
	v_fmac_f64_e32 v[34:35], v[24:25], v[4:5]
	v_fmac_f64_e32 v[60:61], v[26:27], v[4:5]
	v_fma_f64 v[34:35], -v[26:27], v[6:7], v[34:35]
	v_fmac_f64_e32 v[60:61], v[24:25], v[6:7]
	v_fmac_f64_e32 v[34:35], v[30:31], v[0:1]
	v_fmac_f64_e32 v[60:61], v[32:33], v[0:1]
	v_fma_f64 v[24:25], -v[32:33], v[2:3], v[34:35]
	v_fmac_f64_e32 v[60:61], v[30:31], v[2:3]
	global_load_dwordx4 v[30:33], v[18:19], off offset:112
	global_load_dwordx4 v[68:71], v[18:19], off offset:96
	global_load_dwordx4 v[72:75], v[18:19], off offset:80
	global_load_dwordx4 v[76:79], v[18:19], off offset:64
	s_waitcnt vmcnt(0)
	v_fmac_f64_e32 v[66:67], v[76:77], v[12:13]
	v_fmac_f64_e32 v[58:59], v[78:79], v[12:13]
	v_fma_f64 v[26:27], -v[78:79], v[14:15], v[66:67]
	v_fmac_f64_e32 v[58:59], v[76:77], v[14:15]
	v_fmac_f64_e32 v[26:27], v[72:73], v[8:9]
	v_fmac_f64_e32 v[58:59], v[74:75], v[8:9]
	v_fma_f64 v[26:27], -v[74:75], v[10:11], v[26:27]
	v_fmac_f64_e32 v[58:59], v[72:73], v[10:11]
	v_fmac_f64_e32 v[26:27], v[68:69], v[4:5]
	v_fmac_f64_e32 v[58:59], v[70:71], v[4:5]
	v_fma_f64 v[26:27], -v[70:71], v[6:7], v[26:27]
	v_fmac_f64_e32 v[58:59], v[68:69], v[6:7]
	v_fmac_f64_e32 v[26:27], v[30:31], v[0:1]
	v_fmac_f64_e32 v[58:59], v[32:33], v[0:1]
	v_fma_f64 v[26:27], -v[32:33], v[2:3], v[26:27]
	v_fmac_f64_e32 v[58:59], v[30:31], v[2:3]
	global_load_dwordx4 v[30:33], v[18:19], off offset:176
	global_load_dwordx4 v[66:69], v[18:19], off offset:160
	global_load_dwordx4 v[70:73], v[18:19], off offset:144
	global_load_dwordx4 v[74:77], v[18:19], off offset:128
	;; [unrolled: 21-line block ×3, first 2 shown]
	s_waitcnt vmcnt(0)
	v_fmac_f64_e32 v[62:63], v[72:73], v[12:13]
	v_fmac_f64_e32 v[48:49], v[74:75], v[12:13]
	v_fma_f64 v[62:63], -v[74:75], v[14:15], v[62:63]
	v_fmac_f64_e32 v[48:49], v[72:73], v[14:15]
	v_fmac_f64_e32 v[62:63], v[68:69], v[8:9]
	v_fmac_f64_e32 v[48:49], v[70:71], v[8:9]
	v_fma_f64 v[12:13], -v[70:71], v[10:11], v[62:63]
	v_fmac_f64_e32 v[48:49], v[68:69], v[10:11]
	v_fmac_f64_e32 v[12:13], v[64:65], v[4:5]
	v_fmac_f64_e32 v[48:49], v[66:67], v[4:5]
	v_fma_f64 v[8:9], -v[66:67], v[6:7], v[12:13]
	v_fmac_f64_e32 v[48:49], v[64:65], v[6:7]
	v_fmac_f64_e32 v[8:9], v[30:31], v[0:1]
	v_fmac_f64_e32 v[48:49], v[32:33], v[0:1]
	global_load_dword v0, v[22:23], off offset:-256
	v_fmac_f64_e32 v[48:49], v[30:31], v[2:3]
	v_fma_f64 v[78:79], -v[32:33], v[2:3], v[8:9]
	s_waitcnt vmcnt(0)
	v_subrev_u32_e32 v0, s20, v0
	v_lshlrev_b32_e32 v30, 2, v0
	v_ashrrev_i32_e32 v31, 31, v30
	v_lshlrev_b64 v[30:31], 4, v[30:31]
	v_add_co_u32_e32 v74, vcc, s4, v30
	v_addc_co_u32_e32 v75, vcc, v28, v31, vcc
	global_load_dwordx4 v[0:3], v[80:81], off
	global_load_dwordx4 v[4:7], v[80:81], off offset:48
	global_load_dwordx4 v[8:11], v[80:81], off offset:32
	;; [unrolled: 1-line block ×6, first 2 shown]
	global_load_dwordx4 v[70:73], v[74:75], off
	s_waitcnt vmcnt(0)
	v_fmac_f64_e32 v[24:25], v[0:1], v[70:71]
	v_fmac_f64_e32 v[60:61], v[2:3], v[70:71]
	v_fma_f64 v[24:25], -v[2:3], v[72:73], v[24:25]
	v_fmac_f64_e32 v[60:61], v[0:1], v[72:73]
	v_fmac_f64_e32 v[24:25], v[12:13], v[66:67]
	v_fmac_f64_e32 v[60:61], v[14:15], v[66:67]
	v_fma_f64 v[0:1], -v[14:15], v[68:69], v[24:25]
	v_fmac_f64_e32 v[60:61], v[12:13], v[68:69]
	;; [unrolled: 4-line block ×4, first 2 shown]
	global_load_dwordx4 v[4:7], v[80:81], off offset:112
	global_load_dwordx4 v[8:11], v[80:81], off offset:96
	;; [unrolled: 1-line block ×4, first 2 shown]
	s_waitcnt vmcnt(0)
	v_fmac_f64_e32 v[26:27], v[74:75], v[70:71]
	v_fma_f64 v[2:3], -v[76:77], v[72:73], v[26:27]
	v_fmac_f64_e32 v[58:59], v[76:77], v[70:71]
	v_fmac_f64_e32 v[58:59], v[74:75], v[72:73]
	v_fmac_f64_e32 v[2:3], v[12:13], v[66:67]
	v_fma_f64 v[2:3], -v[14:15], v[68:69], v[2:3]
	v_fmac_f64_e32 v[58:59], v[14:15], v[66:67]
	v_fmac_f64_e32 v[58:59], v[12:13], v[68:69]
	;; [unrolled: 4-line block ×3, first 2 shown]
	v_fmac_f64_e32 v[2:3], v[4:5], v[30:31]
	v_fma_f64 v[2:3], -v[6:7], v[32:33], v[2:3]
	v_fmac_f64_e32 v[58:59], v[6:7], v[30:31]
	global_load_dwordx4 v[6:9], v[80:81], off offset:176
	global_load_dwordx4 v[10:13], v[80:81], off offset:160
	;; [unrolled: 1-line block ×4, first 2 shown]
	v_fmac_f64_e32 v[58:59], v[4:5], v[32:33]
	s_waitcnt vmcnt(0)
	v_fmac_f64_e32 v[34:35], v[74:75], v[70:71]
	v_fma_f64 v[4:5], -v[76:77], v[72:73], v[34:35]
	v_fmac_f64_e32 v[50:51], v[76:77], v[70:71]
	v_fmac_f64_e32 v[50:51], v[74:75], v[72:73]
	v_fmac_f64_e32 v[4:5], v[24:25], v[66:67]
	v_fma_f64 v[4:5], -v[26:27], v[68:69], v[4:5]
	v_fmac_f64_e32 v[50:51], v[26:27], v[66:67]
	v_fmac_f64_e32 v[50:51], v[24:25], v[68:69]
	;; [unrolled: 4-line block ×3, first 2 shown]
	v_fmac_f64_e32 v[4:5], v[6:7], v[30:31]
	v_fma_f64 v[4:5], -v[8:9], v[32:33], v[4:5]
	v_fmac_f64_e32 v[50:51], v[8:9], v[30:31]
	global_load_dwordx4 v[8:11], v[80:81], off offset:240
	global_load_dwordx4 v[12:15], v[80:81], off offset:224
	;; [unrolled: 1-line block ×4, first 2 shown]
	v_fmac_f64_e32 v[50:51], v[6:7], v[32:33]
	v_add_co_u32_e32 v34, vcc, s21, v18
	v_addc_co_u32_e32 v35, vcc, 0, v19, vcc
	s_waitcnt vmcnt(0)
	v_fmac_f64_e32 v[48:49], v[76:77], v[70:71]
	v_fmac_f64_e32 v[78:79], v[74:75], v[70:71]
	v_fmac_f64_e32 v[48:49], v[74:75], v[72:73]
	v_fma_f64 v[6:7], -v[76:77], v[72:73], v[78:79]
	v_fmac_f64_e32 v[48:49], v[26:27], v[66:67]
	v_fmac_f64_e32 v[6:7], v[24:25], v[66:67]
	v_fmac_f64_e32 v[48:49], v[24:25], v[68:69]
	v_fma_f64 v[6:7], -v[26:27], v[68:69], v[6:7]
	;; [unrolled: 4-line block ×3, first 2 shown]
	v_fmac_f64_e32 v[48:49], v[10:11], v[30:31]
	v_fmac_f64_e32 v[6:7], v[8:9], v[30:31]
	;; [unrolled: 1-line block ×3, first 2 shown]
	global_load_dword v8, v[22:23], off
	v_fma_f64 v[6:7], -v[10:11], v[32:33], v[6:7]
	global_load_dwordx4 v[10:13], v[34:35], off
	global_load_dwordx4 v[24:27], v[34:35], off offset:48
	global_load_dwordx4 v[30:33], v[34:35], off offset:32
	;; [unrolled: 1-line block ×3, first 2 shown]
	s_waitcnt vmcnt(4)
	v_subrev_u32_e32 v8, s20, v8
	v_lshlrev_b32_e32 v8, 2, v8
	v_ashrrev_i32_e32 v9, 31, v8
	v_lshlrev_b64 v[8:9], 4, v[8:9]
	v_add_co_u32_e32 v8, vcc, s4, v8
	v_addc_co_u32_e32 v9, vcc, v28, v9, vcc
	global_load_dwordx4 v[66:69], v[8:9], off offset:48
	global_load_dwordx4 v[70:73], v[8:9], off offset:32
	;; [unrolled: 1-line block ×3, first 2 shown]
	global_load_dwordx4 v[78:81], v[8:9], off
	s_waitcnt vmcnt(0)
	v_fmac_f64_e32 v[0:1], v[10:11], v[78:79]
	v_fmac_f64_e32 v[60:61], v[12:13], v[78:79]
	v_fma_f64 v[0:1], -v[12:13], v[80:81], v[0:1]
	v_fmac_f64_e32 v[60:61], v[10:11], v[80:81]
	v_fmac_f64_e32 v[0:1], v[62:63], v[74:75]
	v_fmac_f64_e32 v[60:61], v[64:65], v[74:75]
	v_fma_f64 v[0:1], -v[64:65], v[76:77], v[0:1]
	v_fmac_f64_e32 v[60:61], v[62:63], v[76:77]
	;; [unrolled: 4-line block ×4, first 2 shown]
	global_load_dwordx4 v[8:11], v[34:35], off offset:112
	global_load_dwordx4 v[12:15], v[34:35], off offset:96
	global_load_dwordx4 v[24:27], v[34:35], off offset:80
	global_load_dwordx4 v[30:33], v[34:35], off offset:64
	v_add_co_u32_e32 v62, vcc, s22, v18
	v_addc_co_u32_e32 v63, vcc, 0, v19, vcc
	s_waitcnt vmcnt(0)
	v_fmac_f64_e32 v[2:3], v[30:31], v[78:79]
	v_fmac_f64_e32 v[58:59], v[32:33], v[78:79]
	v_fma_f64 v[2:3], -v[32:33], v[80:81], v[2:3]
	v_fmac_f64_e32 v[58:59], v[30:31], v[80:81]
	v_fmac_f64_e32 v[2:3], v[24:25], v[74:75]
	v_fmac_f64_e32 v[58:59], v[26:27], v[74:75]
	v_fma_f64 v[2:3], -v[26:27], v[76:77], v[2:3]
	v_fmac_f64_e32 v[58:59], v[24:25], v[76:77]
	;; [unrolled: 4-line block ×4, first 2 shown]
	global_load_dwordx4 v[8:11], v[34:35], off offset:176
	global_load_dwordx4 v[12:15], v[34:35], off offset:160
	;; [unrolled: 1-line block ×4, first 2 shown]
	s_waitcnt vmcnt(0)
	v_fmac_f64_e32 v[4:5], v[30:31], v[78:79]
	v_fmac_f64_e32 v[50:51], v[32:33], v[78:79]
	v_fma_f64 v[4:5], -v[32:33], v[80:81], v[4:5]
	v_fmac_f64_e32 v[50:51], v[30:31], v[80:81]
	v_fmac_f64_e32 v[4:5], v[24:25], v[74:75]
	v_fmac_f64_e32 v[50:51], v[26:27], v[74:75]
	v_fma_f64 v[4:5], -v[26:27], v[76:77], v[4:5]
	v_fmac_f64_e32 v[50:51], v[24:25], v[76:77]
	;; [unrolled: 4-line block ×4, first 2 shown]
	global_load_dwordx4 v[8:11], v[34:35], off offset:240
	global_load_dwordx4 v[12:15], v[34:35], off offset:224
	;; [unrolled: 1-line block ×4, first 2 shown]
	s_waitcnt vmcnt(0)
	v_fmac_f64_e32 v[48:49], v[32:33], v[78:79]
	v_fmac_f64_e32 v[6:7], v[30:31], v[78:79]
	v_fmac_f64_e32 v[48:49], v[30:31], v[80:81]
	v_fma_f64 v[6:7], -v[32:33], v[80:81], v[6:7]
	v_fmac_f64_e32 v[48:49], v[26:27], v[74:75]
	v_fmac_f64_e32 v[6:7], v[24:25], v[74:75]
	v_fmac_f64_e32 v[48:49], v[24:25], v[76:77]
	v_fma_f64 v[6:7], -v[26:27], v[76:77], v[6:7]
	;; [unrolled: 4-line block ×3, first 2 shown]
	v_fmac_f64_e32 v[48:49], v[10:11], v[66:67]
	v_fmac_f64_e32 v[6:7], v[8:9], v[66:67]
	;; [unrolled: 1-line block ×3, first 2 shown]
	global_load_dword v8, v[22:23], off offset:256
	v_fma_f64 v[6:7], -v[10:11], v[68:69], v[6:7]
	s_waitcnt vmcnt(0)
	v_subrev_u32_e32 v8, s20, v8
	v_lshlrev_b32_e32 v34, 2, v8
	v_ashrrev_i32_e32 v35, 31, v34
	v_lshlrev_b64 v[34:35], 4, v[34:35]
	v_add_co_u32_e32 v34, vcc, s4, v34
	v_addc_co_u32_e32 v35, vcc, v28, v35, vcc
	global_load_dwordx4 v[8:11], v[62:63], off
	global_load_dwordx4 v[12:15], v[62:63], off offset:48
	global_load_dwordx4 v[24:27], v[62:63], off offset:32
	;; [unrolled: 1-line block ×6, first 2 shown]
	global_load_dwordx4 v[82:85], v[34:35], off
	v_add_co_u32_e32 v20, vcc, 0x100, v20
	v_addc_co_u32_e32 v21, vcc, 0, v21, vcc
	v_add_co_u32_e32 v22, vcc, 0x400, v22
	v_addc_co_u32_e32 v23, vcc, 0, v23, vcc
	v_cmp_ge_i64_e64 s[2:3], v[20:21], v[54:55]
	v_add_co_u32_e32 v18, vcc, 0x10000, v18
	v_addc_co_u32_e32 v19, vcc, 0, v19, vcc
	s_or_b64 s[16:17], s[2:3], s[16:17]
	s_waitcnt vmcnt(0)
	v_fmac_f64_e32 v[0:1], v[8:9], v[82:83]
	v_fmac_f64_e32 v[60:61], v[10:11], v[82:83]
	v_fma_f64 v[0:1], -v[10:11], v[84:85], v[0:1]
	v_fmac_f64_e32 v[60:61], v[8:9], v[84:85]
	v_fmac_f64_e32 v[0:1], v[30:31], v[78:79]
	v_fmac_f64_e32 v[60:61], v[32:33], v[78:79]
	v_fma_f64 v[0:1], -v[32:33], v[80:81], v[0:1]
	v_fmac_f64_e32 v[60:61], v[30:31], v[80:81]
	v_fmac_f64_e32 v[0:1], v[24:25], v[74:75]
	v_fmac_f64_e32 v[60:61], v[26:27], v[74:75]
	v_fma_f64 v[0:1], -v[26:27], v[76:77], v[0:1]
	v_fmac_f64_e32 v[60:61], v[24:25], v[76:77]
	v_fmac_f64_e32 v[0:1], v[12:13], v[70:71]
	v_fmac_f64_e32 v[60:61], v[14:15], v[70:71]
	v_fma_f64 v[68:69], -v[14:15], v[72:73], v[0:1]
	v_fmac_f64_e32 v[60:61], v[12:13], v[72:73]
	global_load_dwordx4 v[8:11], v[62:63], off offset:112
	global_load_dwordx4 v[12:15], v[62:63], off offset:96
	global_load_dwordx4 v[24:27], v[62:63], off offset:80
	global_load_dwordx4 v[30:33], v[62:63], off offset:64
	s_waitcnt vmcnt(0)
	v_fmac_f64_e32 v[2:3], v[30:31], v[82:83]
	v_fmac_f64_e32 v[58:59], v[32:33], v[82:83]
	v_fma_f64 v[0:1], -v[32:33], v[84:85], v[2:3]
	v_fmac_f64_e32 v[58:59], v[30:31], v[84:85]
	v_fmac_f64_e32 v[0:1], v[24:25], v[78:79]
	v_fmac_f64_e32 v[58:59], v[26:27], v[78:79]
	v_fma_f64 v[0:1], -v[26:27], v[80:81], v[0:1]
	v_fmac_f64_e32 v[58:59], v[24:25], v[80:81]
	v_fmac_f64_e32 v[0:1], v[12:13], v[74:75]
	v_fmac_f64_e32 v[58:59], v[14:15], v[74:75]
	v_fma_f64 v[0:1], -v[14:15], v[76:77], v[0:1]
	v_fmac_f64_e32 v[58:59], v[12:13], v[76:77]
	v_fmac_f64_e32 v[0:1], v[8:9], v[70:71]
	v_fmac_f64_e32 v[58:59], v[10:11], v[70:71]
	v_fma_f64 v[66:67], -v[10:11], v[72:73], v[0:1]
	v_fmac_f64_e32 v[58:59], v[8:9], v[72:73]
	global_load_dwordx4 v[0:3], v[62:63], off offset:176
	global_load_dwordx4 v[8:11], v[62:63], off offset:160
	global_load_dwordx4 v[12:15], v[62:63], off offset:144
	global_load_dwordx4 v[24:27], v[62:63], off offset:128
	;; [unrolled: 21-line block ×3, first 2 shown]
	s_waitcnt vmcnt(0)
	v_fmac_f64_e32 v[6:7], v[24:25], v[82:83]
	v_fmac_f64_e32 v[48:49], v[26:27], v[82:83]
	v_fma_f64 v[4:5], -v[26:27], v[84:85], v[6:7]
	v_fmac_f64_e32 v[48:49], v[24:25], v[84:85]
	v_fmac_f64_e32 v[4:5], v[12:13], v[78:79]
	v_fmac_f64_e32 v[48:49], v[14:15], v[78:79]
	v_fma_f64 v[4:5], -v[14:15], v[80:81], v[4:5]
	v_fmac_f64_e32 v[48:49], v[12:13], v[80:81]
	;; [unrolled: 4-line block ×4, first 2 shown]
	s_andn2_b64 exec, exec, s[16:17]
	s_cbranch_execnz .LBB39_23
; %bb.24:
	s_or_b64 exec, exec, s[16:17]
.LBB39_25:
	s_or_b64 exec, exec, s[14:15]
.LBB39_26:
	s_or_b64 exec, exec, s[10:11]
	s_andn2_b64 vcc, exec, s[8:9]
	s_cbranch_vccz .LBB39_28
	s_branch .LBB39_39
.LBB39_27:
                                        ; implicit-def: $vgpr60_vgpr61
                                        ; implicit-def: $vgpr68_vgpr69
                                        ; implicit-def: $vgpr62_vgpr63
                                        ; implicit-def: $vgpr48_vgpr49
                                        ; implicit-def: $vgpr64_vgpr65
                                        ; implicit-def: $vgpr50_vgpr51
                                        ; implicit-def: $vgpr66_vgpr67
                                        ; implicit-def: $vgpr58_vgpr59
.LBB39_28:
	v_pk_mov_b32 v[60:61], 0, 0
	v_pk_mov_b32 v[68:69], v[60:61], v[60:61] op_sel:[0,1]
	v_pk_mov_b32 v[62:63], v[60:61], v[60:61] op_sel:[0,1]
	;; [unrolled: 1-line block ×7, first 2 shown]
	s_and_saveexec_b64 s[2:3], s[0:1]
	s_cbranch_execz .LBB39_38
; %bb.29:
	v_or_b32_e32 v0, 64, v46
	v_mov_b32_e32 v1, s18
	v_subrev_co_u32_e32 v0, vcc, s20, v0
	v_subb_co_u32_e32 v1, vcc, 0, v1, vcc
	v_add_co_u32_e32 v0, vcc, v0, v16
	v_addc_co_u32_e32 v1, vcc, v1, v17, vcc
	v_cmp_gt_i64_e32 vcc, v[0:1], v[54:55]
	v_cndmask_b32_e32 v1, v55, v1, vcc
	v_cndmask_b32_e32 v0, v54, v0, vcc
	v_mov_b32_e32 v4, s18
	v_sub_co_u32_e32 v5, vcc, s20, v46
	v_not_b32_e32 v3, v16
	v_subbrev_co_u32_e32 v4, vcc, 0, v4, vcc
	v_not_b32_e32 v2, v17
	v_add_co_u32_e32 v3, vcc, v5, v3
	v_addc_co_u32_e32 v2, vcc, v4, v2, vcc
	v_add_co_u32_e32 v70, vcc, v3, v0
	v_lshrrev_b32_e32 v0, 6, v70
	v_add_u32_e32 v0, 1, v0
	v_addc_co_u32_e32 v71, vcc, v2, v1, vcc
	v_and_b32_e32 v0, 3, v0
	v_pk_mov_b32 v[58:59], 0, 0
	v_cmp_ne_u32_e32 vcc, 0, v0
	s_mov_b64 s[10:11], 0
	v_pk_mov_b32 v[66:67], v[58:59], v[58:59] op_sel:[0,1]
	v_pk_mov_b32 v[50:51], v[58:59], v[58:59] op_sel:[0,1]
	;; [unrolled: 1-line block ×7, first 2 shown]
	s_and_saveexec_b64 s[8:9], vcc
	s_cbranch_execz .LBB39_33
; %bb.30:
	v_lshlrev_b64 v[2:3], 2, v[52:53]
	v_mov_b32_e32 v1, s13
	v_add_co_u32_e32 v74, vcc, s12, v2
	v_pk_mov_b32 v[60:61], 0, 0
	v_mov_b32_e32 v73, 0
	v_addc_co_u32_e32 v75, vcc, v1, v3, vcc
	v_lshlrev_b32_e32 v72, 2, v0
	s_movk_i32 s14, 0x4000
	v_mov_b32_e32 v45, s5
	v_pk_mov_b32 v[68:69], v[60:61], v[60:61] op_sel:[0,1]
	v_pk_mov_b32 v[62:63], v[60:61], v[60:61] op_sel:[0,1]
	;; [unrolled: 1-line block ×7, first 2 shown]
.LBB39_31:                              ; =>This Inner Loop Header: Depth=1
	global_load_dword v47, v[74:75], off
	global_load_dwordx4 v[0:3], v[56:57], off offset:48
	global_load_dwordx4 v[4:7], v[56:57], off offset:32
	;; [unrolled: 1-line block ×3, first 2 shown]
	global_load_dwordx4 v[12:15], v[56:57], off
	global_load_dwordx4 v[16:19], v[56:57], off offset:112
	global_load_dwordx4 v[20:23], v[56:57], off offset:96
	;; [unrolled: 1-line block ×12, first 2 shown]
	v_add_co_u32_e32 v56, vcc, s14, v56
	s_mov_b64 s[0:1], vcc
	v_addc_co_u32_e64 v57, s[0:1], 0, v57, s[0:1]
	s_waitcnt vmcnt(16)
	v_subrev_u32_e32 v47, s20, v47
	v_lshlrev_b32_e32 v104, 2, v47
	v_ashrrev_i32_e32 v105, 31, v104
	v_lshlrev_b64 v[104:105], 4, v[104:105]
	v_add_co_u32_e32 v120, vcc, s4, v104
	v_addc_co_u32_e32 v121, vcc, v45, v105, vcc
	global_load_dwordx4 v[104:107], v[120:121], off
	global_load_dwordx4 v[108:111], v[120:121], off offset:16
	global_load_dwordx4 v[112:115], v[120:121], off offset:32
	;; [unrolled: 1-line block ×3, first 2 shown]
	v_add_co_u32_e32 v52, vcc, 64, v52
	v_addc_co_u32_e32 v53, vcc, 0, v53, vcc
	v_add_co_u32_e32 v72, vcc, -4, v72
	v_addc_co_u32_e32 v73, vcc, -1, v73, vcc
	v_add_co_u32_e32 v74, vcc, 0x100, v74
	v_cmp_eq_u64_e64 s[0:1], 0, v[72:73]
	v_addc_co_u32_e32 v75, vcc, 0, v75, vcc
	s_or_b64 s[10:11], s[0:1], s[10:11]
	s_waitcnt vmcnt(3)
	v_fmac_f64_e32 v[68:69], v[12:13], v[104:105]
	v_fmac_f64_e32 v[60:61], v[14:15], v[104:105]
	v_fmac_f64_e32 v[66:67], v[8:9], v[104:105]
	v_fmac_f64_e32 v[58:59], v[10:11], v[104:105]
	v_fmac_f64_e32 v[64:65], v[4:5], v[104:105]
	v_fmac_f64_e32 v[50:51], v[6:7], v[104:105]
	v_fmac_f64_e32 v[62:63], v[0:1], v[104:105]
	v_fmac_f64_e32 v[48:49], v[2:3], v[104:105]
	v_fma_f64 v[14:15], -v[14:15], v[106:107], v[68:69]
	v_fmac_f64_e32 v[60:61], v[12:13], v[106:107]
	v_fma_f64 v[10:11], -v[10:11], v[106:107], v[66:67]
	v_fmac_f64_e32 v[58:59], v[8:9], v[106:107]
	v_fma_f64 v[6:7], -v[6:7], v[106:107], v[64:65]
	v_fmac_f64_e32 v[50:51], v[4:5], v[106:107]
	v_fma_f64 v[2:3], -v[2:3], v[106:107], v[62:63]
	v_fmac_f64_e32 v[48:49], v[0:1], v[106:107]
	s_waitcnt vmcnt(2)
	v_fmac_f64_e32 v[14:15], v[28:29], v[108:109]
	v_fmac_f64_e32 v[60:61], v[30:31], v[108:109]
	v_fmac_f64_e32 v[10:11], v[24:25], v[108:109]
	v_fmac_f64_e32 v[58:59], v[26:27], v[108:109]
	v_fmac_f64_e32 v[6:7], v[20:21], v[108:109]
	v_fmac_f64_e32 v[50:51], v[22:23], v[108:109]
	v_fmac_f64_e32 v[2:3], v[16:17], v[108:109]
	v_fmac_f64_e32 v[48:49], v[18:19], v[108:109]
	v_fma_f64 v[0:1], -v[30:31], v[110:111], v[14:15]
	v_fmac_f64_e32 v[60:61], v[28:29], v[110:111]
	v_fma_f64 v[4:5], -v[26:27], v[110:111], v[10:11]
	v_fmac_f64_e32 v[58:59], v[24:25], v[110:111]
	v_fma_f64 v[6:7], -v[22:23], v[110:111], v[6:7]
	v_fmac_f64_e32 v[50:51], v[20:21], v[110:111]
	v_fma_f64 v[2:3], -v[18:19], v[110:111], v[2:3]
	v_fmac_f64_e32 v[48:49], v[16:17], v[110:111]
	;; [unrolled: 17-line block ×4, first 2 shown]
	s_andn2_b64 exec, exec, s[10:11]
	s_cbranch_execnz .LBB39_31
; %bb.32:
	s_or_b64 exec, exec, s[10:11]
.LBB39_33:
	s_or_b64 exec, exec, s[8:9]
	s_mov_b64 s[0:1], 0xbf
	v_cmp_lt_u64_e32 vcc, s[0:1], v[70:71]
	s_and_saveexec_b64 s[8:9], vcc
	s_cbranch_execz .LBB39_37
; %bb.34:
	v_lshlrev_b64 v[0:1], 2, v[52:53]
	v_mov_b32_e32 v2, s13
	v_add_co_u32_e32 v0, vcc, s12, v0
	v_addc_co_u32_e32 v1, vcc, v1, v2, vcc
	v_add_co_u32_e32 v8, vcc, 0x200, v0
	v_addc_co_u32_e32 v9, vcc, 0, v1, vcc
	s_mov_b64 s[10:11], 0
	v_mov_b32_e32 v12, s5
	s_movk_i32 s5, 0x4000
	s_mov_b32 s12, 0x8000
	s_mov_b32 s13, 0xc000
.LBB39_35:                              ; =>This Inner Loop Header: Depth=1
	global_load_dword v0, v[8:9], off offset:-512
	global_load_dwordx4 v[14:17], v[56:57], off offset:48
	global_load_dwordx4 v[18:21], v[56:57], off offset:32
	;; [unrolled: 1-line block ×3, first 2 shown]
	global_load_dwordx4 v[26:29], v[56:57], off
	s_waitcnt vmcnt(4)
	v_subrev_u32_e32 v0, s20, v0
	v_lshlrev_b32_e32 v0, 2, v0
	v_ashrrev_i32_e32 v1, 31, v0
	v_lshlrev_b64 v[0:1], 4, v[0:1]
	v_add_co_u32_e32 v10, vcc, s4, v0
	v_addc_co_u32_e32 v11, vcc, v12, v1, vcc
	global_load_dwordx4 v[0:3], v[10:11], off offset:48
	global_load_dwordx4 v[4:7], v[10:11], off offset:32
	;; [unrolled: 1-line block ×3, first 2 shown]
	global_load_dwordx4 v[70:73], v[10:11], off
	s_waitcnt vmcnt(0)
	v_fmac_f64_e32 v[68:69], v[26:27], v[70:71]
	v_fmac_f64_e32 v[60:61], v[28:29], v[70:71]
	;; [unrolled: 1-line block ×8, first 2 shown]
	v_fma_f64 v[10:11], -v[28:29], v[72:73], v[68:69]
	v_fmac_f64_e32 v[60:61], v[26:27], v[72:73]
	v_fma_f64 v[34:35], -v[24:25], v[72:73], v[66:67]
	v_fmac_f64_e32 v[58:59], v[22:23], v[72:73]
	;; [unrolled: 2-line block ×4, first 2 shown]
	global_load_dwordx4 v[14:17], v[56:57], off offset:112
	global_load_dwordx4 v[18:21], v[56:57], off offset:96
	;; [unrolled: 1-line block ×4, first 2 shown]
	v_add_co_u32_e32 v70, vcc, s5, v56
	v_addc_co_u32_e32 v71, vcc, 0, v57, vcc
	s_waitcnt vmcnt(3)
	v_fmac_f64_e32 v[62:63], v[14:15], v[30:31]
	s_waitcnt vmcnt(2)
	v_fmac_f64_e32 v[64:65], v[18:19], v[30:31]
	;; [unrolled: 2-line block ×4, first 2 shown]
	v_fmac_f64_e32 v[60:61], v[28:29], v[30:31]
	v_fmac_f64_e32 v[58:59], v[24:25], v[30:31]
	;; [unrolled: 1-line block ×4, first 2 shown]
	v_fma_f64 v[10:11], -v[28:29], v[32:33], v[10:11]
	v_fmac_f64_e32 v[60:61], v[26:27], v[32:33]
	v_fma_f64 v[34:35], -v[24:25], v[32:33], v[34:35]
	v_fmac_f64_e32 v[58:59], v[22:23], v[32:33]
	v_fma_f64 v[64:65], -v[20:21], v[32:33], v[64:65]
	v_fmac_f64_e32 v[50:51], v[18:19], v[32:33]
	v_fma_f64 v[62:63], -v[16:17], v[32:33], v[62:63]
	v_fmac_f64_e32 v[48:49], v[14:15], v[32:33]
	global_load_dwordx4 v[14:17], v[56:57], off offset:176
	global_load_dwordx4 v[18:21], v[56:57], off offset:160
	global_load_dwordx4 v[22:25], v[56:57], off offset:144
	global_load_dwordx4 v[26:29], v[56:57], off offset:128
	s_waitcnt vmcnt(3)
	v_fmac_f64_e32 v[62:63], v[14:15], v[4:5]
	s_waitcnt vmcnt(2)
	v_fmac_f64_e32 v[64:65], v[18:19], v[4:5]
	;; [unrolled: 2-line block ×4, first 2 shown]
	v_fmac_f64_e32 v[60:61], v[28:29], v[4:5]
	v_fmac_f64_e32 v[58:59], v[24:25], v[4:5]
	v_fmac_f64_e32 v[50:51], v[20:21], v[4:5]
	v_fmac_f64_e32 v[48:49], v[16:17], v[4:5]
	v_fma_f64 v[10:11], -v[28:29], v[6:7], v[10:11]
	v_fmac_f64_e32 v[60:61], v[26:27], v[6:7]
	v_fma_f64 v[26:27], -v[24:25], v[6:7], v[34:35]
	v_fmac_f64_e32 v[58:59], v[22:23], v[6:7]
	;; [unrolled: 2-line block ×4, first 2 shown]
	global_load_dwordx4 v[4:7], v[56:57], off offset:240
	global_load_dwordx4 v[14:17], v[56:57], off offset:224
	;; [unrolled: 1-line block ×4, first 2 shown]
	s_waitcnt vmcnt(3)
	v_fmac_f64_e32 v[30:31], v[4:5], v[0:1]
	s_waitcnt vmcnt(2)
	v_fmac_f64_e32 v[28:29], v[14:15], v[0:1]
	;; [unrolled: 2-line block ×4, first 2 shown]
	v_fmac_f64_e32 v[60:61], v[24:25], v[0:1]
	v_fmac_f64_e32 v[58:59], v[20:21], v[0:1]
	;; [unrolled: 1-line block ×4, first 2 shown]
	global_load_dword v0, v[8:9], off offset:-256
	v_fmac_f64_e32 v[60:61], v[22:23], v[2:3]
	v_fma_f64 v[10:11], -v[24:25], v[2:3], v[10:11]
	v_fma_f64 v[34:35], -v[20:21], v[2:3], v[26:27]
	v_fmac_f64_e32 v[58:59], v[18:19], v[2:3]
	v_fma_f64 v[66:67], -v[16:17], v[2:3], v[28:29]
	v_fmac_f64_e32 v[50:51], v[14:15], v[2:3]
	;; [unrolled: 2-line block ×3, first 2 shown]
	s_waitcnt vmcnt(0)
	v_subrev_u32_e32 v0, s20, v0
	v_lshlrev_b32_e32 v22, 2, v0
	v_ashrrev_i32_e32 v23, 31, v22
	v_lshlrev_b64 v[22:23], 4, v[22:23]
	v_add_co_u32_e32 v72, vcc, s4, v22
	v_addc_co_u32_e32 v73, vcc, v12, v23, vcc
	global_load_dwordx4 v[0:3], v[70:71], off
	global_load_dwordx4 v[4:7], v[70:71], off offset:48
	global_load_dwordx4 v[14:17], v[70:71], off offset:32
	;; [unrolled: 1-line block ×6, first 2 shown]
	global_load_dwordx4 v[62:65], v[72:73], off
	s_waitcnt vmcnt(0)
	v_fmac_f64_e32 v[10:11], v[0:1], v[62:63]
	v_fmac_f64_e32 v[60:61], v[2:3], v[62:63]
	;; [unrolled: 1-line block ×8, first 2 shown]
	v_fma_f64 v[10:11], -v[2:3], v[64:65], v[10:11]
	v_fmac_f64_e32 v[60:61], v[0:1], v[64:65]
	v_fma_f64 v[34:35], -v[20:21], v[64:65], v[34:35]
	v_fmac_f64_e32 v[58:59], v[18:19], v[64:65]
	;; [unrolled: 2-line block ×4, first 2 shown]
	global_load_dwordx4 v[0:3], v[70:71], off offset:112
	global_load_dwordx4 v[4:7], v[70:71], off offset:96
	;; [unrolled: 1-line block ×4, first 2 shown]
	s_waitcnt vmcnt(3)
	v_fmac_f64_e32 v[68:69], v[0:1], v[30:31]
	s_waitcnt vmcnt(2)
	v_fmac_f64_e32 v[66:67], v[4:5], v[30:31]
	;; [unrolled: 2-line block ×4, first 2 shown]
	v_fmac_f64_e32 v[60:61], v[20:21], v[30:31]
	v_fmac_f64_e32 v[58:59], v[16:17], v[30:31]
	;; [unrolled: 1-line block ×4, first 2 shown]
	v_fma_f64 v[10:11], -v[20:21], v[32:33], v[10:11]
	v_fmac_f64_e32 v[60:61], v[18:19], v[32:33]
	v_fma_f64 v[34:35], -v[16:17], v[32:33], v[34:35]
	v_fmac_f64_e32 v[58:59], v[14:15], v[32:33]
	;; [unrolled: 2-line block ×4, first 2 shown]
	global_load_dwordx4 v[0:3], v[70:71], off offset:176
	global_load_dwordx4 v[4:7], v[70:71], off offset:160
	;; [unrolled: 1-line block ×4, first 2 shown]
	s_waitcnt vmcnt(3)
	v_fmac_f64_e32 v[64:65], v[0:1], v[26:27]
	s_waitcnt vmcnt(2)
	v_fmac_f64_e32 v[62:63], v[4:5], v[26:27]
	;; [unrolled: 2-line block ×4, first 2 shown]
	v_fmac_f64_e32 v[60:61], v[20:21], v[26:27]
	v_fmac_f64_e32 v[58:59], v[16:17], v[26:27]
	;; [unrolled: 1-line block ×4, first 2 shown]
	v_fma_f64 v[10:11], -v[20:21], v[28:29], v[10:11]
	v_fmac_f64_e32 v[60:61], v[18:19], v[28:29]
	v_fma_f64 v[30:31], -v[16:17], v[28:29], v[34:35]
	v_fmac_f64_e32 v[58:59], v[14:15], v[28:29]
	;; [unrolled: 2-line block ×4, first 2 shown]
	global_load_dwordx4 v[14:17], v[70:71], off offset:240
	global_load_dwordx4 v[18:21], v[70:71], off offset:224
	;; [unrolled: 1-line block ×4, first 2 shown]
	s_waitcnt vmcnt(3)
	v_fmac_f64_e32 v[34:35], v[14:15], v[22:23]
	s_waitcnt vmcnt(2)
	v_fmac_f64_e32 v[32:33], v[18:19], v[22:23]
	;; [unrolled: 2-line block ×4, first 2 shown]
	v_fma_f64 v[0:1], -v[28:29], v[24:25], v[10:11]
	global_load_dword v10, v[8:9], off
	v_fma_f64 v[2:3], -v[6:7], v[24:25], v[30:31]
	v_fmac_f64_e32 v[58:59], v[6:7], v[22:23]
	v_fma_f64 v[6:7], -v[16:17], v[24:25], v[34:35]
	v_add_co_u32_e32 v34, vcc, s12, v56
	v_addc_co_u32_e32 v35, vcc, 0, v57, vcc
	v_fmac_f64_e32 v[60:61], v[28:29], v[22:23]
	v_fmac_f64_e32 v[50:51], v[20:21], v[22:23]
	;; [unrolled: 1-line block ×5, first 2 shown]
	v_fma_f64 v[4:5], -v[20:21], v[24:25], v[32:33]
	v_fmac_f64_e32 v[50:51], v[18:19], v[24:25]
	v_fmac_f64_e32 v[48:49], v[14:15], v[24:25]
	global_load_dwordx4 v[14:17], v[34:35], off
	global_load_dwordx4 v[18:21], v[34:35], off offset:48
	global_load_dwordx4 v[22:25], v[34:35], off offset:32
	;; [unrolled: 1-line block ×3, first 2 shown]
	s_waitcnt vmcnt(4)
	v_subrev_u32_e32 v10, s20, v10
	v_lshlrev_b32_e32 v10, 2, v10
	v_ashrrev_i32_e32 v11, 31, v10
	v_lshlrev_b64 v[10:11], 4, v[10:11]
	v_add_co_u32_e32 v10, vcc, s4, v10
	v_addc_co_u32_e32 v11, vcc, v12, v11, vcc
	global_load_dwordx4 v[30:33], v[10:11], off offset:48
	global_load_dwordx4 v[62:65], v[10:11], off offset:32
	;; [unrolled: 1-line block ×3, first 2 shown]
	global_load_dwordx4 v[70:73], v[10:11], off
	s_waitcnt vmcnt(0)
	v_fmac_f64_e32 v[0:1], v[14:15], v[70:71]
	v_fmac_f64_e32 v[60:61], v[16:17], v[70:71]
	;; [unrolled: 1-line block ×8, first 2 shown]
	v_fma_f64 v[10:11], -v[16:17], v[72:73], v[0:1]
	v_fmac_f64_e32 v[60:61], v[14:15], v[72:73]
	v_fma_f64 v[74:75], -v[28:29], v[72:73], v[2:3]
	v_fmac_f64_e32 v[58:59], v[26:27], v[72:73]
	;; [unrolled: 2-line block ×4, first 2 shown]
	global_load_dwordx4 v[0:3], v[34:35], off offset:112
	global_load_dwordx4 v[4:7], v[34:35], off offset:96
	;; [unrolled: 1-line block ×4, first 2 shown]
	s_waitcnt vmcnt(3)
	v_fmac_f64_e32 v[22:23], v[0:1], v[66:67]
	s_waitcnt vmcnt(2)
	v_fmac_f64_e32 v[26:27], v[4:5], v[66:67]
	;; [unrolled: 2-line block ×4, first 2 shown]
	v_fmac_f64_e32 v[60:61], v[20:21], v[66:67]
	v_fmac_f64_e32 v[58:59], v[16:17], v[66:67]
	;; [unrolled: 1-line block ×4, first 2 shown]
	v_fma_f64 v[10:11], -v[20:21], v[68:69], v[10:11]
	v_fmac_f64_e32 v[60:61], v[18:19], v[68:69]
	v_fma_f64 v[24:25], -v[16:17], v[68:69], v[74:75]
	v_fmac_f64_e32 v[58:59], v[14:15], v[68:69]
	;; [unrolled: 2-line block ×4, first 2 shown]
	global_load_dwordx4 v[0:3], v[34:35], off offset:176
	global_load_dwordx4 v[4:7], v[34:35], off offset:160
	;; [unrolled: 1-line block ×4, first 2 shown]
	s_waitcnt vmcnt(3)
	v_fmac_f64_e32 v[22:23], v[0:1], v[62:63]
	s_waitcnt vmcnt(2)
	v_fmac_f64_e32 v[26:27], v[4:5], v[62:63]
	;; [unrolled: 2-line block ×4, first 2 shown]
	v_fmac_f64_e32 v[60:61], v[20:21], v[62:63]
	v_fmac_f64_e32 v[58:59], v[16:17], v[62:63]
	;; [unrolled: 1-line block ×3, first 2 shown]
	v_fma_f64 v[10:11], -v[20:21], v[64:65], v[10:11]
	v_fmac_f64_e32 v[60:61], v[18:19], v[64:65]
	v_fma_f64 v[28:29], -v[16:17], v[64:65], v[24:25]
	v_fmac_f64_e32 v[58:59], v[14:15], v[64:65]
	v_fma_f64 v[26:27], -v[6:7], v[64:65], v[26:27]
	v_fmac_f64_e32 v[50:51], v[4:5], v[64:65]
	v_fma_f64 v[66:67], -v[2:3], v[64:65], v[22:23]
	global_load_dwordx4 v[14:17], v[34:35], off offset:240
	global_load_dwordx4 v[18:21], v[34:35], off offset:224
	;; [unrolled: 1-line block ×4, first 2 shown]
	v_fmac_f64_e32 v[48:49], v[2:3], v[62:63]
	v_fmac_f64_e32 v[48:49], v[0:1], v[64:65]
	v_add_co_u32_e32 v34, vcc, s13, v56
	v_addc_co_u32_e32 v35, vcc, 0, v57, vcc
	s_waitcnt vmcnt(3)
	v_fmac_f64_e32 v[66:67], v[14:15], v[30:31]
	s_waitcnt vmcnt(2)
	v_fmac_f64_e32 v[26:27], v[18:19], v[30:31]
	;; [unrolled: 2-line block ×4, first 2 shown]
	v_fma_f64 v[0:1], -v[24:25], v[32:33], v[10:11]
	global_load_dword v10, v[8:9], off offset:256
	v_fmac_f64_e32 v[60:61], v[24:25], v[30:31]
	v_fmac_f64_e32 v[58:59], v[6:7], v[30:31]
	;; [unrolled: 1-line block ×5, first 2 shown]
	v_fma_f64 v[2:3], -v[6:7], v[32:33], v[28:29]
	v_fmac_f64_e32 v[58:59], v[4:5], v[32:33]
	v_fma_f64 v[4:5], -v[20:21], v[32:33], v[26:27]
	v_fmac_f64_e32 v[50:51], v[18:19], v[32:33]
	;; [unrolled: 2-line block ×3, first 2 shown]
	global_load_dwordx4 v[14:17], v[34:35], off
	global_load_dwordx4 v[18:21], v[34:35], off offset:48
	global_load_dwordx4 v[22:25], v[34:35], off offset:32
	global_load_dwordx4 v[26:29], v[34:35], off offset:16
	s_waitcnt vmcnt(4)
	v_subrev_u32_e32 v10, s20, v10
	v_lshlrev_b32_e32 v10, 2, v10
	v_ashrrev_i32_e32 v11, 31, v10
	v_lshlrev_b64 v[10:11], 4, v[10:11]
	v_add_co_u32_e32 v10, vcc, s4, v10
	v_addc_co_u32_e32 v11, vcc, v12, v11, vcc
	global_load_dwordx4 v[30:33], v[10:11], off offset:48
	global_load_dwordx4 v[62:65], v[10:11], off offset:32
	global_load_dwordx4 v[66:69], v[10:11], off offset:16
	global_load_dwordx4 v[70:73], v[10:11], off
	v_add_co_u32_e32 v52, vcc, 0x100, v52
	v_addc_co_u32_e32 v53, vcc, 0, v53, vcc
	v_add_co_u32_e32 v8, vcc, 0x400, v8
	v_addc_co_u32_e32 v9, vcc, 0, v9, vcc
	v_cmp_ge_i64_e64 s[0:1], v[52:53], v[54:55]
	v_add_co_u32_e32 v56, vcc, 0x10000, v56
	v_addc_co_u32_e32 v57, vcc, 0, v57, vcc
	s_or_b64 s[10:11], s[0:1], s[10:11]
	s_waitcnt vmcnt(0)
	v_fmac_f64_e32 v[0:1], v[14:15], v[70:71]
	v_fmac_f64_e32 v[60:61], v[16:17], v[70:71]
	v_fmac_f64_e32 v[2:3], v[26:27], v[70:71]
	v_fmac_f64_e32 v[58:59], v[28:29], v[70:71]
	v_fmac_f64_e32 v[4:5], v[22:23], v[70:71]
	v_fmac_f64_e32 v[50:51], v[24:25], v[70:71]
	v_fmac_f64_e32 v[6:7], v[18:19], v[70:71]
	v_fmac_f64_e32 v[48:49], v[20:21], v[70:71]
	v_fma_f64 v[10:11], -v[16:17], v[72:73], v[0:1]
	v_fmac_f64_e32 v[60:61], v[14:15], v[72:73]
	v_fma_f64 v[74:75], -v[28:29], v[72:73], v[2:3]
	v_fmac_f64_e32 v[58:59], v[26:27], v[72:73]
	v_fma_f64 v[26:27], -v[24:25], v[72:73], v[4:5]
	v_fmac_f64_e32 v[50:51], v[22:23], v[72:73]
	v_fma_f64 v[22:23], -v[20:21], v[72:73], v[6:7]
	v_fmac_f64_e32 v[48:49], v[18:19], v[72:73]
	global_load_dwordx4 v[0:3], v[34:35], off offset:112
	global_load_dwordx4 v[4:7], v[34:35], off offset:96
	global_load_dwordx4 v[14:17], v[34:35], off offset:80
	global_load_dwordx4 v[18:21], v[34:35], off offset:64
	s_waitcnt vmcnt(3)
	v_fmac_f64_e32 v[22:23], v[0:1], v[66:67]
	s_waitcnt vmcnt(2)
	v_fmac_f64_e32 v[26:27], v[4:5], v[66:67]
	s_waitcnt vmcnt(1)
	v_fmac_f64_e32 v[74:75], v[14:15], v[66:67]
	s_waitcnt vmcnt(0)
	v_fmac_f64_e32 v[10:11], v[18:19], v[66:67]
	v_fmac_f64_e32 v[60:61], v[20:21], v[66:67]
	v_fmac_f64_e32 v[58:59], v[16:17], v[66:67]
	v_fmac_f64_e32 v[50:51], v[6:7], v[66:67]
	v_fmac_f64_e32 v[48:49], v[2:3], v[66:67]
	v_fma_f64 v[10:11], -v[20:21], v[68:69], v[10:11]
	v_fmac_f64_e32 v[60:61], v[18:19], v[68:69]
	v_fma_f64 v[24:25], -v[16:17], v[68:69], v[74:75]
	v_fmac_f64_e32 v[58:59], v[14:15], v[68:69]
	v_fma_f64 v[26:27], -v[6:7], v[68:69], v[26:27]
	v_fmac_f64_e32 v[50:51], v[4:5], v[68:69]
	v_fma_f64 v[22:23], -v[2:3], v[68:69], v[22:23]
	v_fmac_f64_e32 v[48:49], v[0:1], v[68:69]
	global_load_dwordx4 v[0:3], v[34:35], off offset:176
	global_load_dwordx4 v[4:7], v[34:35], off offset:160
	global_load_dwordx4 v[14:17], v[34:35], off offset:144
	global_load_dwordx4 v[18:21], v[34:35], off offset:128
	s_waitcnt vmcnt(3)
	v_fmac_f64_e32 v[22:23], v[0:1], v[62:63]
	s_waitcnt vmcnt(2)
	v_fmac_f64_e32 v[26:27], v[4:5], v[62:63]
	s_waitcnt vmcnt(1)
	v_fmac_f64_e32 v[24:25], v[14:15], v[62:63]
	s_waitcnt vmcnt(0)
	v_fmac_f64_e32 v[10:11], v[18:19], v[62:63]
	v_fmac_f64_e32 v[60:61], v[20:21], v[62:63]
	v_fmac_f64_e32 v[58:59], v[16:17], v[62:63]
	v_fmac_f64_e32 v[50:51], v[6:7], v[62:63]
	v_fmac_f64_e32 v[48:49], v[2:3], v[62:63]
	v_fma_f64 v[10:11], -v[20:21], v[64:65], v[10:11]
	v_fmac_f64_e32 v[60:61], v[18:19], v[64:65]
	v_fma_f64 v[24:25], -v[16:17], v[64:65], v[24:25]
	v_fmac_f64_e32 v[58:59], v[14:15], v[64:65]
	v_fma_f64 v[26:27], -v[6:7], v[64:65], v[26:27]
	v_fmac_f64_e32 v[50:51], v[4:5], v[64:65]
	v_fma_f64 v[22:23], -v[2:3], v[64:65], v[22:23]
	v_fmac_f64_e32 v[48:49], v[0:1], v[64:65]
	global_load_dwordx4 v[0:3], v[34:35], off offset:240
	global_load_dwordx4 v[4:7], v[34:35], off offset:224
	global_load_dwordx4 v[14:17], v[34:35], off offset:208
	global_load_dwordx4 v[18:21], v[34:35], off offset:192
	s_waitcnt vmcnt(3)
	v_fmac_f64_e32 v[22:23], v[0:1], v[30:31]
	s_waitcnt vmcnt(2)
	v_fmac_f64_e32 v[26:27], v[4:5], v[30:31]
	s_waitcnt vmcnt(1)
	v_fmac_f64_e32 v[24:25], v[14:15], v[30:31]
	s_waitcnt vmcnt(0)
	v_fmac_f64_e32 v[10:11], v[18:19], v[30:31]
	v_fmac_f64_e32 v[60:61], v[20:21], v[30:31]
	v_fmac_f64_e32 v[58:59], v[16:17], v[30:31]
	v_fmac_f64_e32 v[50:51], v[6:7], v[30:31]
	v_fmac_f64_e32 v[48:49], v[2:3], v[30:31]
	v_fma_f64 v[68:69], -v[20:21], v[32:33], v[10:11]
	v_fmac_f64_e32 v[60:61], v[18:19], v[32:33]
	v_fma_f64 v[66:67], -v[16:17], v[32:33], v[24:25]
	v_fmac_f64_e32 v[58:59], v[14:15], v[32:33]
	;; [unrolled: 2-line block ×4, first 2 shown]
	s_andn2_b64 exec, exec, s[10:11]
	s_cbranch_execnz .LBB39_35
; %bb.36:
	s_or_b64 exec, exec, s[10:11]
.LBB39_37:
	s_or_b64 exec, exec, s[8:9]
.LBB39_38:
	s_or_b64 exec, exec, s[2:3]
.LBB39_39:
	v_mov_b32_dpp v0, v68 row_shr:1 row_mask:0xf bank_mask:0xf
	v_mov_b32_dpp v1, v69 row_shr:1 row_mask:0xf bank_mask:0xf
	v_mov_b32_dpp v4, v60 row_shr:1 row_mask:0xf bank_mask:0xf
	v_mov_b32_dpp v5, v61 row_shr:1 row_mask:0xf bank_mask:0xf
	v_mov_b32_dpp v8, v66 row_shr:1 row_mask:0xf bank_mask:0xf
	v_mov_b32_dpp v9, v67 row_shr:1 row_mask:0xf bank_mask:0xf
	v_mov_b32_dpp v12, v58 row_shr:1 row_mask:0xf bank_mask:0xf
	v_mov_b32_dpp v13, v59 row_shr:1 row_mask:0xf bank_mask:0xf
	v_mov_b32_dpp v16, v64 row_shr:1 row_mask:0xf bank_mask:0xf
	v_mov_b32_dpp v17, v65 row_shr:1 row_mask:0xf bank_mask:0xf
	v_mov_b32_dpp v20, v50 row_shr:1 row_mask:0xf bank_mask:0xf
	v_mov_b32_dpp v21, v51 row_shr:1 row_mask:0xf bank_mask:0xf
	v_mov_b32_dpp v24, v62 row_shr:1 row_mask:0xf bank_mask:0xf
	v_mov_b32_dpp v25, v63 row_shr:1 row_mask:0xf bank_mask:0xf
	v_mov_b32_dpp v28, v48 row_shr:1 row_mask:0xf bank_mask:0xf
	v_mov_b32_dpp v29, v49 row_shr:1 row_mask:0xf bank_mask:0xf
	v_add_f64 v[0:1], v[68:69], v[0:1]
	v_add_f64 v[4:5], v[60:61], v[4:5]
	v_add_f64 v[8:9], v[66:67], v[8:9]
	v_add_f64 v[12:13], v[58:59], v[12:13]
	v_add_f64 v[16:17], v[64:65], v[16:17]
	v_add_f64 v[20:21], v[50:51], v[20:21]
	v_add_f64 v[24:25], v[62:63], v[24:25]
	v_add_f64 v[28:29], v[48:49], v[28:29]
	v_mov_b32_dpp v2, v0 row_shr:2 row_mask:0xf bank_mask:0xf
	v_mov_b32_dpp v3, v1 row_shr:2 row_mask:0xf bank_mask:0xf
	v_mov_b32_dpp v6, v4 row_shr:2 row_mask:0xf bank_mask:0xf
	v_mov_b32_dpp v7, v5 row_shr:2 row_mask:0xf bank_mask:0xf
	v_mov_b32_dpp v10, v8 row_shr:2 row_mask:0xf bank_mask:0xf
	v_mov_b32_dpp v11, v9 row_shr:2 row_mask:0xf bank_mask:0xf
	v_mov_b32_dpp v14, v12 row_shr:2 row_mask:0xf bank_mask:0xf
	v_mov_b32_dpp v15, v13 row_shr:2 row_mask:0xf bank_mask:0xf
	v_mov_b32_dpp v18, v16 row_shr:2 row_mask:0xf bank_mask:0xf
	v_mov_b32_dpp v19, v17 row_shr:2 row_mask:0xf bank_mask:0xf
	v_mov_b32_dpp v22, v20 row_shr:2 row_mask:0xf bank_mask:0xf
	v_mov_b32_dpp v23, v21 row_shr:2 row_mask:0xf bank_mask:0xf
	v_mov_b32_dpp v26, v24 row_shr:2 row_mask:0xf bank_mask:0xf
	v_mov_b32_dpp v27, v25 row_shr:2 row_mask:0xf bank_mask:0xf
	v_mov_b32_dpp v30, v28 row_shr:2 row_mask:0xf bank_mask:0xf
	v_mov_b32_dpp v31, v29 row_shr:2 row_mask:0xf bank_mask:0xf
	v_add_f64 v[0:1], v[0:1], v[2:3]
	v_add_f64 v[4:5], v[4:5], v[6:7]
	v_add_f64 v[8:9], v[8:9], v[10:11]
	v_add_f64 v[12:13], v[12:13], v[14:15]
	v_add_f64 v[16:17], v[16:17], v[18:19]
	v_add_f64 v[20:21], v[20:21], v[22:23]
	v_add_f64 v[24:25], v[24:25], v[26:27]
	v_add_f64 v[28:29], v[28:29], v[30:31]
	;; [unrolled: 24-line block ×4, first 2 shown]
	v_mov_b32_dpp v2, v0 row_bcast:15 row_mask:0xa bank_mask:0xf
	v_mov_b32_dpp v3, v1 row_bcast:15 row_mask:0xa bank_mask:0xf
	;; [unrolled: 1-line block ×16, first 2 shown]
	v_add_f64 v[0:1], v[0:1], v[2:3]
	v_add_f64 v[4:5], v[4:5], v[6:7]
	;; [unrolled: 1-line block ×8, first 2 shown]
	v_mov_b32_dpp v2, v0 row_bcast:31 row_mask:0xc bank_mask:0xf
	v_mov_b32_dpp v3, v1 row_bcast:31 row_mask:0xc bank_mask:0xf
	;; [unrolled: 1-line block ×16, first 2 shown]
	v_cmp_eq_u32_e32 vcc, 63, v46
	s_and_b64 exec, exec, vcc
	s_cbranch_execz .LBB39_12
; %bb.40:
	s_load_dwordx2 s[2:3], s[6:7], 0x60
	v_add_f64 v[32:33], v[0:1], v[2:3]
	v_add_f64 v[0:1], v[4:5], v[6:7]
	;; [unrolled: 1-line block ×8, first 2 shown]
	v_cmp_eq_f64_e32 vcc, 0, v[36:37]
	v_cmp_eq_f64_e64 s[0:1], 0, v[38:39]
	v_mul_f64 v[12:13], v[0:1], -v[42:43]
	v_mul_f64 v[14:15], v[40:41], v[0:1]
	v_mul_f64 v[8:9], v[2:3], -v[42:43]
	v_mul_f64 v[10:11], v[40:41], v[2:3]
	;; [unrolled: 2-line block ×4, first 2 shown]
	s_and_b64 s[0:1], vcc, s[0:1]
	v_fmac_f64_e32 v[12:13], v[40:41], v[32:33]
	v_fmac_f64_e32 v[14:15], v[42:43], v[32:33]
	v_lshlrev_b32_e32 v16, 2, v44
	v_fmac_f64_e32 v[8:9], v[40:41], v[34:35]
	v_fmac_f64_e32 v[10:11], v[42:43], v[34:35]
	;; [unrolled: 1-line block ×6, first 2 shown]
	s_and_saveexec_b64 s[4:5], s[0:1]
	s_xor_b64 s[0:1], exec, s[4:5]
	s_cbranch_execz .LBB39_42
; %bb.41:
	v_ashrrev_i32_e32 v17, 31, v16
	v_lshlrev_b64 v[16:17], 4, v[16:17]
	s_waitcnt lgkmcnt(0)
	v_mov_b32_e32 v18, s3
	v_add_co_u32_e32 v16, vcc, s2, v16
	v_addc_co_u32_e32 v17, vcc, v18, v17, vcc
	global_store_dwordx4 v[16:17], v[12:15], off
	global_store_dwordx4 v[16:17], v[8:11], off offset:16
	global_store_dwordx4 v[16:17], v[4:7], off offset:32
	;; [unrolled: 1-line block ×3, first 2 shown]
                                        ; implicit-def: $vgpr36_vgpr37
                                        ; implicit-def: $vgpr38_vgpr39
                                        ; implicit-def: $vgpr12_vgpr13
                                        ; implicit-def: $vgpr16
                                        ; implicit-def: $vgpr8_vgpr9
                                        ; implicit-def: $vgpr4_vgpr5
                                        ; implicit-def: $vgpr0_vgpr1
.LBB39_42:
	s_andn2_saveexec_b64 s[0:1], s[0:1]
	s_cbranch_execz .LBB39_12
; %bb.43:
	v_ashrrev_i32_e32 v17, 31, v16
	v_lshlrev_b64 v[16:17], 4, v[16:17]
	s_waitcnt lgkmcnt(0)
	v_mov_b32_e32 v18, s3
	v_add_co_u32_e32 v32, vcc, s2, v16
	v_addc_co_u32_e32 v33, vcc, v18, v17, vcc
	global_load_dwordx4 v[16:19], v[32:33], off
	global_load_dwordx4 v[20:23], v[32:33], off offset:16
	global_load_dwordx4 v[24:27], v[32:33], off offset:32
	;; [unrolled: 1-line block ×3, first 2 shown]
	s_waitcnt vmcnt(3)
	v_fmac_f64_e32 v[12:13], v[36:37], v[16:17]
	v_fmac_f64_e32 v[14:15], v[38:39], v[16:17]
	s_waitcnt vmcnt(2)
	v_fmac_f64_e32 v[8:9], v[36:37], v[20:21]
	v_fmac_f64_e32 v[10:11], v[38:39], v[20:21]
	;; [unrolled: 3-line block ×4, first 2 shown]
	v_fma_f64 v[12:13], -v[38:39], v[18:19], v[12:13]
	v_fmac_f64_e32 v[14:15], v[36:37], v[18:19]
	v_fma_f64 v[8:9], -v[38:39], v[22:23], v[8:9]
	v_fmac_f64_e32 v[10:11], v[36:37], v[22:23]
	;; [unrolled: 2-line block ×4, first 2 shown]
	global_store_dwordx4 v[32:33], v[12:15], off
	global_store_dwordx4 v[32:33], v[8:11], off offset:16
	global_store_dwordx4 v[32:33], v[4:7], off offset:32
	;; [unrolled: 1-line block ×3, first 2 shown]
	s_endpgm
	.section	.rodata,"a",@progbits
	.p2align	6, 0x0
	.amdhsa_kernel _ZN9rocsparseL18bsrxmvn_4x4_kernelILj128ELj64E21rocsparse_complex_numIdEliS2_S2_S2_EEvT3_20rocsparse_direction_NS_24const_host_device_scalarIT1_EES3_PKS3_PKT2_SC_S9_PKT4_PKT5_S7_PT6_21rocsparse_index_base_b
		.amdhsa_group_segment_fixed_size 2048
		.amdhsa_private_segment_fixed_size 0
		.amdhsa_kernarg_size 112
		.amdhsa_user_sgpr_count 8
		.amdhsa_user_sgpr_private_segment_buffer 1
		.amdhsa_user_sgpr_dispatch_ptr 1
		.amdhsa_user_sgpr_queue_ptr 0
		.amdhsa_user_sgpr_kernarg_segment_ptr 1
		.amdhsa_user_sgpr_dispatch_id 0
		.amdhsa_user_sgpr_flat_scratch_init 0
		.amdhsa_user_sgpr_kernarg_preload_length 0
		.amdhsa_user_sgpr_kernarg_preload_offset 0
		.amdhsa_user_sgpr_private_segment_size 0
		.amdhsa_uses_dynamic_stack 0
		.amdhsa_system_sgpr_private_segment_wavefront_offset 0
		.amdhsa_system_sgpr_workgroup_id_x 1
		.amdhsa_system_sgpr_workgroup_id_y 0
		.amdhsa_system_sgpr_workgroup_id_z 0
		.amdhsa_system_sgpr_workgroup_info 0
		.amdhsa_system_vgpr_workitem_id 2
		.amdhsa_next_free_vgpr 130
		.amdhsa_next_free_sgpr 23
		.amdhsa_accum_offset 132
		.amdhsa_reserve_vcc 1
		.amdhsa_reserve_flat_scratch 0
		.amdhsa_float_round_mode_32 0
		.amdhsa_float_round_mode_16_64 0
		.amdhsa_float_denorm_mode_32 3
		.amdhsa_float_denorm_mode_16_64 3
		.amdhsa_dx10_clamp 1
		.amdhsa_ieee_mode 1
		.amdhsa_fp16_overflow 0
		.amdhsa_tg_split 0
		.amdhsa_exception_fp_ieee_invalid_op 0
		.amdhsa_exception_fp_denorm_src 0
		.amdhsa_exception_fp_ieee_div_zero 0
		.amdhsa_exception_fp_ieee_overflow 0
		.amdhsa_exception_fp_ieee_underflow 0
		.amdhsa_exception_fp_ieee_inexact 0
		.amdhsa_exception_int_div_zero 0
	.end_amdhsa_kernel
	.section	.text._ZN9rocsparseL18bsrxmvn_4x4_kernelILj128ELj64E21rocsparse_complex_numIdEliS2_S2_S2_EEvT3_20rocsparse_direction_NS_24const_host_device_scalarIT1_EES3_PKS3_PKT2_SC_S9_PKT4_PKT5_S7_PT6_21rocsparse_index_base_b,"axG",@progbits,_ZN9rocsparseL18bsrxmvn_4x4_kernelILj128ELj64E21rocsparse_complex_numIdEliS2_S2_S2_EEvT3_20rocsparse_direction_NS_24const_host_device_scalarIT1_EES3_PKS3_PKT2_SC_S9_PKT4_PKT5_S7_PT6_21rocsparse_index_base_b,comdat
.Lfunc_end39:
	.size	_ZN9rocsparseL18bsrxmvn_4x4_kernelILj128ELj64E21rocsparse_complex_numIdEliS2_S2_S2_EEvT3_20rocsparse_direction_NS_24const_host_device_scalarIT1_EES3_PKS3_PKT2_SC_S9_PKT4_PKT5_S7_PT6_21rocsparse_index_base_b, .Lfunc_end39-_ZN9rocsparseL18bsrxmvn_4x4_kernelILj128ELj64E21rocsparse_complex_numIdEliS2_S2_S2_EEvT3_20rocsparse_direction_NS_24const_host_device_scalarIT1_EES3_PKS3_PKT2_SC_S9_PKT4_PKT5_S7_PT6_21rocsparse_index_base_b
                                        ; -- End function
	.section	.AMDGPU.csdata,"",@progbits
; Kernel info:
; codeLenInByte = 8948
; NumSgprs: 27
; NumVgprs: 130
; NumAgprs: 0
; TotalNumVgprs: 130
; ScratchSize: 0
; MemoryBound: 1
; FloatMode: 240
; IeeeMode: 1
; LDSByteSize: 2048 bytes/workgroup (compile time only)
; SGPRBlocks: 3
; VGPRBlocks: 16
; NumSGPRsForWavesPerEU: 27
; NumVGPRsForWavesPerEU: 130
; AccumOffset: 132
; Occupancy: 3
; WaveLimiterHint : 1
; COMPUTE_PGM_RSRC2:SCRATCH_EN: 0
; COMPUTE_PGM_RSRC2:USER_SGPR: 8
; COMPUTE_PGM_RSRC2:TRAP_HANDLER: 0
; COMPUTE_PGM_RSRC2:TGID_X_EN: 1
; COMPUTE_PGM_RSRC2:TGID_Y_EN: 0
; COMPUTE_PGM_RSRC2:TGID_Z_EN: 0
; COMPUTE_PGM_RSRC2:TIDIG_COMP_CNT: 2
; COMPUTE_PGM_RSRC3_GFX90A:ACCUM_OFFSET: 32
; COMPUTE_PGM_RSRC3_GFX90A:TG_SPLIT: 0
	.section	.text._ZN9rocsparseL18bsrxmvn_4x4_kernelILj128ELj4EfllfffEEvT3_20rocsparse_direction_NS_24const_host_device_scalarIT1_EES1_PKS1_PKT2_SA_S7_PKT4_PKT5_S5_PT6_21rocsparse_index_base_b,"axG",@progbits,_ZN9rocsparseL18bsrxmvn_4x4_kernelILj128ELj4EfllfffEEvT3_20rocsparse_direction_NS_24const_host_device_scalarIT1_EES1_PKS1_PKT2_SA_S7_PKT4_PKT5_S5_PT6_21rocsparse_index_base_b,comdat
	.globl	_ZN9rocsparseL18bsrxmvn_4x4_kernelILj128ELj4EfllfffEEvT3_20rocsparse_direction_NS_24const_host_device_scalarIT1_EES1_PKS1_PKT2_SA_S7_PKT4_PKT5_S5_PT6_21rocsparse_index_base_b ; -- Begin function _ZN9rocsparseL18bsrxmvn_4x4_kernelILj128ELj4EfllfffEEvT3_20rocsparse_direction_NS_24const_host_device_scalarIT1_EES1_PKS1_PKT2_SA_S7_PKT4_PKT5_S5_PT6_21rocsparse_index_base_b
	.p2align	8
	.type	_ZN9rocsparseL18bsrxmvn_4x4_kernelILj128ELj4EfllfffEEvT3_20rocsparse_direction_NS_24const_host_device_scalarIT1_EES1_PKS1_PKT2_SA_S7_PKT4_PKT5_S5_PT6_21rocsparse_index_base_b,@function
_ZN9rocsparseL18bsrxmvn_4x4_kernelILj128ELj4EfllfffEEvT3_20rocsparse_direction_NS_24const_host_device_scalarIT1_EES1_PKS1_PKT2_SA_S7_PKT4_PKT5_S5_PT6_21rocsparse_index_base_b: ; @_ZN9rocsparseL18bsrxmvn_4x4_kernelILj128ELj4EfllfffEEvT3_20rocsparse_direction_NS_24const_host_device_scalarIT1_EES1_PKS1_PKT2_SA_S7_PKT4_PKT5_S5_PT6_21rocsparse_index_base_b
; %bb.0:
	s_load_dwordx2 s[22:23], s[4:5], 0x60
	s_load_dwordx4 s[16:19], s[4:5], 0x10
	s_load_dwordx2 s[20:21], s[4:5], 0x50
	s_waitcnt lgkmcnt(0)
	s_bitcmp1_b32 s23, 0
	s_cselect_b64 s[2:3], -1, 0
	s_xor_b64 s[0:1], s[2:3], -1
	s_and_b64 vcc, exec, s[2:3]
	s_cbranch_vccnz .LBB40_2
; %bb.1:
	s_load_dword s16, s[16:17], 0x0
.LBB40_2:
	s_andn2_b64 vcc, exec, s[0:1]
	s_cbranch_vccnz .LBB40_4
; %bb.3:
	s_load_dword s20, s[20:21], 0x0
.LBB40_4:
	s_waitcnt lgkmcnt(0)
	v_cmp_neq_f32_e64 s[0:1], s16, 0
	v_cmp_neq_f32_e64 s[2:3], s20, 1.0
	s_or_b64 s[0:1], s[0:1], s[2:3]
	s_andn2_b64 vcc, exec, s[0:1]
	s_cbranch_vccnz .LBB40_10
; %bb.5:
	s_load_dwordx2 s[2:3], s[4:5], 0x20
	v_lshrrev_b32_e32 v1, 2, v0
	v_lshl_or_b32 v2, s6, 5, v1
	v_mov_b32_e32 v3, 0
	s_mov_b64 s[0:1], 0
	s_waitcnt lgkmcnt(0)
	s_cmp_lg_u64 s[2:3], 0
	s_cbranch_scc0 .LBB40_11
; %bb.6:
	v_cmp_gt_i64_e32 vcc, s[18:19], v[2:3]
                                        ; implicit-def: $vgpr32_vgpr33
	s_and_saveexec_b64 s[6:7], vcc
	s_xor_b64 s[6:7], exec, s[6:7]
                                        ; implicit-def: $sgpr18_sgpr19
	s_cbranch_execz .LBB40_8
; %bb.7:
	v_lshlrev_b64 v[4:5], 3, v[2:3]
	v_mov_b32_e32 v1, s3
	v_add_co_u32_e32 v4, vcc, s2, v4
	v_addc_co_u32_e32 v5, vcc, v1, v5, vcc
	global_load_dwordx2 v[4:5], v[4:5], off
	s_mov_b64 s[0:1], exec
	s_mov_b32 s19, 0
	s_waitcnt vmcnt(0)
	v_subrev_co_u32_e32 v32, vcc, s22, v4
	v_subbrev_co_u32_e32 v33, vcc, 0, v5, vcc
.LBB40_8:
	s_or_b64 exec, exec, s[6:7]
.LBB40_9:
	s_and_saveexec_b64 s[2:3], s[0:1]
	s_cbranch_execnz .LBB40_15
.LBB40_10:
	s_endpgm
.LBB40_11:
                                        ; implicit-def: $vgpr32_vgpr33
                                        ; implicit-def: $sgpr18_sgpr19
	s_cbranch_execz .LBB40_9
; %bb.12:
	s_load_dwordx2 s[2:3], s[4:5], 0x0
                                        ; implicit-def: $vgpr32_vgpr33
	s_waitcnt lgkmcnt(0)
	v_cmp_gt_i64_e32 vcc, s[2:3], v[2:3]
	s_and_saveexec_b64 s[2:3], vcc
                                        ; implicit-def: $sgpr18_sgpr19
; %bb.13:
	s_mov_b32 s19, 0
	s_or_b64 s[0:1], s[0:1], exec
	v_pk_mov_b32 v[32:33], v[2:3], v[2:3] op_sel:[0,1]
; %bb.14:
	s_or_b64 exec, exec, s[2:3]
	s_and_saveexec_b64 s[2:3], s[0:1]
	s_cbranch_execz .LBB40_10
.LBB40_15:
	s_load_dwordx8 s[8:15], s[4:5], 0x28
	v_lshlrev_b64 v[2:3], 3, v[32:33]
	v_and_b32_e32 v34, 3, v0
	v_mov_b32_e32 v0, s19
	v_mov_b32_e32 v43, 0
	s_waitcnt lgkmcnt(0)
	v_mov_b32_e32 v1, s9
	v_add_co_u32_e32 v4, vcc, s8, v2
	v_addc_co_u32_e32 v5, vcc, v1, v3, vcc
	v_add_co_u32_e32 v1, vcc, 8, v4
	global_load_dwordx2 v[46:47], v[4:5], off
	v_addc_co_u32_e32 v4, vcc, 0, v5, vcc
	v_mov_b32_e32 v5, s11
	v_add_co_u32_e32 v2, vcc, s10, v2
	s_cmp_eq_u64 s[10:11], 0
	v_addc_co_u32_e32 v3, vcc, v5, v3, vcc
	s_cselect_b64 vcc, -1, 0
	v_cndmask_b32_e32 v3, v3, v4, vcc
	v_cndmask_b32_e32 v2, v2, v1, vcc
	global_load_dwordx2 v[2:3], v[2:3], off
	s_load_dwordx2 s[6:7], s[4:5], 0x48
	s_load_dword s0, s[4:5], 0x8
	v_mov_b32_e32 v4, s15
	s_waitcnt lgkmcnt(0)
	s_cmp_eq_u32 s0, 1
	s_waitcnt vmcnt(1)
	v_subrev_co_u32_e32 v1, vcc, s22, v46
	v_subb_co_u32_e32 v5, vcc, v47, v0, vcc
	v_add_co_u32_e32 v36, vcc, v1, v34
	v_addc_co_u32_e32 v37, vcc, 0, v5, vcc
	s_waitcnt vmcnt(0)
	v_subrev_co_u32_e32 v38, vcc, s22, v2
	v_subb_co_u32_e32 v39, vcc, v3, v0, vcc
	v_lshlrev_b64 v[0:1], 6, v[36:37]
	v_add_co_u32_e32 v40, vcc, s14, v0
	v_addc_co_u32_e32 v41, vcc, v4, v1, vcc
	v_cmp_lt_i64_e64 s[0:1], v[36:37], v[38:39]
	s_cbranch_scc1 .LBB40_27
; %bb.16:
	v_mov_b32_e32 v42, 0
	v_mov_b32_e32 v45, 0
	;; [unrolled: 1-line block ×3, first 2 shown]
	s_and_saveexec_b64 s[8:9], s[0:1]
	s_cbranch_execz .LBB40_26
; %bb.17:
	v_or_b32_e32 v0, 4, v34
	v_mov_b32_e32 v1, s19
	v_subrev_co_u32_e32 v0, vcc, s22, v0
	v_subb_co_u32_e32 v1, vcc, 0, v1, vcc
	v_add_co_u32_e32 v0, vcc, v0, v46
	v_addc_co_u32_e32 v1, vcc, v1, v47, vcc
	v_cmp_gt_i64_e32 vcc, v[0:1], v[38:39]
	v_cndmask_b32_e32 v1, v39, v1, vcc
	v_cndmask_b32_e32 v0, v38, v0, vcc
	v_mov_b32_e32 v4, s19
	v_sub_co_u32_e32 v5, vcc, s22, v34
	v_not_b32_e32 v3, v46
	v_subbrev_co_u32_e32 v4, vcc, 0, v4, vcc
	v_not_b32_e32 v2, v47
	v_add_co_u32_e32 v3, vcc, v5, v3
	v_addc_co_u32_e32 v2, vcc, v4, v2, vcc
	v_add_co_u32_e32 v0, vcc, v3, v0
	v_addc_co_u32_e32 v1, vcc, v2, v1, vcc
	v_lshrrev_b32_e32 v2, 2, v0
	v_add_u32_e32 v2, 1, v2
	v_and_b32_e32 v2, 3, v2
	v_mov_b32_e32 v44, 0
	v_cmp_ne_u32_e32 vcc, 0, v2
	v_mov_b32_e32 v45, v44
	v_mov_b32_e32 v42, v44
	;; [unrolled: 1-line block ×3, first 2 shown]
	v_pk_mov_b32 v[48:49], v[36:37], v[36:37] op_sel:[0,1]
	v_pk_mov_b32 v[50:51], v[40:41], v[40:41] op_sel:[0,1]
	s_and_saveexec_b64 s[2:3], vcc
	s_cbranch_execz .LBB40_21
; %bb.18:
	v_lshlrev_b64 v[4:5], 3, v[36:37]
	v_mov_b32_e32 v3, 0
	v_mov_b32_e32 v6, s13
	v_add_co_u32_e32 v4, vcc, s12, v4
	v_addc_co_u32_e32 v5, vcc, v6, v5, vcc
	v_lshlrev_b32_e32 v2, 3, v2
	s_mov_b64 s[10:11], 0
	v_mov_b32_e32 v6, s19
	v_mov_b32_e32 v7, s7
	s_movk_i32 s14, 0x100
	v_pk_mov_b32 v[50:51], v[40:41], v[40:41] op_sel:[0,1]
	v_pk_mov_b32 v[48:49], v[36:37], v[36:37] op_sel:[0,1]
	v_mov_b32_e32 v44, v3
	v_mov_b32_e32 v45, v3
	;; [unrolled: 1-line block ×4, first 2 shown]
.LBB40_19:                              ; =>This Inner Loop Header: Depth=1
	global_load_dwordx2 v[24:25], v[4:5], off
	global_load_dwordx4 v[8:11], v[50:51], off offset:16
	global_load_dwordx4 v[12:15], v[50:51], off
	global_load_dwordx4 v[16:19], v[50:51], off offset:48
	global_load_dwordx4 v[20:23], v[50:51], off offset:32
	s_waitcnt vmcnt(4)
	v_subrev_co_u32_e32 v24, vcc, s22, v24
	v_subb_co_u32_e32 v25, vcc, v25, v6, vcc
	v_lshlrev_b64 v[24:25], 4, v[24:25]
	v_add_co_u32_e32 v24, vcc, s6, v24
	v_addc_co_u32_e32 v25, vcc, v7, v25, vcc
	global_load_dwordx4 v[24:27], v[24:25], off
	v_add_co_u32_e32 v50, vcc, s14, v50
	v_addc_co_u32_e32 v51, vcc, 0, v51, vcc
	v_add_co_u32_e32 v48, vcc, 4, v48
	v_addc_co_u32_e32 v49, vcc, 0, v49, vcc
	;; [unrolled: 2-line block ×3, first 2 shown]
	s_waitcnt vmcnt(3)
	v_mov_b32_e32 v28, v12
	v_mov_b32_e32 v29, v8
	;; [unrolled: 1-line block ×6, first 2 shown]
	s_waitcnt vmcnt(1)
	v_mov_b32_e32 v14, v20
	v_mov_b32_e32 v15, v16
	v_add_co_u32_e32 v2, vcc, -8, v2
	v_mov_b32_e32 v16, v21
	v_mov_b32_e32 v20, v22
	v_mov_b32_e32 v21, v18
	v_mov_b32_e32 v18, v23
	v_addc_co_u32_e32 v3, vcc, -1, v3, vcc
	v_cmp_eq_u64_e32 vcc, 0, v[2:3]
	s_or_b64 s[10:11], vcc, s[10:11]
	s_waitcnt vmcnt(0)
	v_pk_fma_f32 v[22:23], v[28:29], v[24:25], v[44:45] op_sel_hi:[1,0,1]
	v_pk_fma_f32 v[14:15], v[14:15], v[24:25], v[42:43] op_sel_hi:[1,0,1]
	v_pk_fma_f32 v[8:9], v[8:9], v[24:25], v[22:23] op_sel:[0,1,0]
	v_pk_fma_f32 v[14:15], v[16:17], v[24:25], v[14:15] op_sel:[0,1,0]
	v_mov_b32_e32 v28, v27
	v_pk_fma_f32 v[8:9], v[12:13], v[26:27], v[8:9] op_sel_hi:[1,0,1]
	v_pk_fma_f32 v[12:13], v[20:21], v[26:27], v[14:15] op_sel_hi:[1,0,1]
	;; [unrolled: 1-line block ×4, first 2 shown]
	s_andn2_b64 exec, exec, s[10:11]
	s_cbranch_execnz .LBB40_19
; %bb.20:
	s_or_b64 exec, exec, s[10:11]
.LBB40_21:
	s_or_b64 exec, exec, s[2:3]
	v_cmp_lt_u64_e32 vcc, 11, v[0:1]
	s_and_saveexec_b64 s[10:11], vcc
	s_cbranch_execz .LBB40_25
; %bb.22:
	v_lshlrev_b64 v[0:1], 3, v[48:49]
	v_mov_b32_e32 v2, s13
	v_add_co_u32_e32 v0, vcc, s12, v0
	v_addc_co_u32_e32 v1, vcc, v1, v2, vcc
	v_add_co_u32_e32 v52, vcc, 64, v0
	v_addc_co_u32_e32 v53, vcc, 0, v1, vcc
	s_mov_b64 s[14:15], 0
	v_mov_b32_e32 v35, s19
	v_mov_b32_e32 v60, s7
.LBB40_23:                              ; =>This Inner Loop Header: Depth=1
	global_load_dwordx4 v[62:65], v[50:51], off
	global_load_dwordx2 v[58:59], v[52:53], off offset:-64
	global_load_dwordx2 v[56:57], v[52:53], off offset:-32
	global_load_dwordx2 v[54:55], v[52:53], off
	global_load_dwordx2 v[94:95], v[52:53], off offset:32
	global_load_dwordx4 v[24:27], v[50:51], off offset:16
	global_load_dwordx4 v[20:23], v[50:51], off offset:48
	;; [unrolled: 1-line block ×15, first 2 shown]
	v_add_co_u32_e32 v52, vcc, 0x80, v52
	s_mov_b64 s[2:3], vcc
	v_add_co_u32_e32 v48, vcc, 16, v48
	v_addc_co_u32_e32 v49, vcc, 0, v49, vcc
	v_add_co_u32_e32 v50, vcc, 0x400, v50
	v_addc_co_u32_e32 v51, vcc, 0, v51, vcc
	v_addc_co_u32_e64 v53, s[2:3], 0, v53, s[2:3]
	v_cmp_ge_i64_e64 s[2:3], v[48:49], v[38:39]
	s_or_b64 s[14:15], s[2:3], s[14:15]
	s_waitcnt vmcnt(19)
	v_mov_b32_e32 v106, v62
	s_waitcnt vmcnt(18)
	v_subrev_co_u32_e32 v58, vcc, s22, v58
	v_subb_co_u32_e32 v59, vcc, v59, v35, vcc
	s_waitcnt vmcnt(17)
	v_subrev_co_u32_e32 v56, vcc, s22, v56
	v_subb_co_u32_e32 v57, vcc, v57, v35, vcc
	;; [unrolled: 3-line block ×4, first 2 shown]
	v_lshlrev_b64 v[58:59], 4, v[58:59]
	v_add_co_u32_e32 v58, vcc, s6, v58
	v_lshlrev_b64 v[56:57], 4, v[56:57]
	v_addc_co_u32_e32 v59, vcc, v60, v59, vcc
	v_add_co_u32_e32 v108, vcc, s6, v56
	v_lshlrev_b64 v[54:55], 4, v[54:55]
	v_addc_co_u32_e32 v109, vcc, v60, v57, vcc
	;; [unrolled: 3-line block ×3, first 2 shown]
	v_add_co_u32_e32 v112, vcc, s6, v94
	v_addc_co_u32_e32 v113, vcc, v60, v95, vcc
	global_load_dwordx4 v[54:57], v[58:59], off
	global_load_dwordx4 v[94:97], v[108:109], off
	;; [unrolled: 1-line block ×4, first 2 shown]
	s_waitcnt vmcnt(18)
	v_mov_b32_e32 v107, v24
	s_waitcnt vmcnt(16)
	v_mov_b32_e32 v58, v66
	v_mov_b32_e32 v59, v20
	;; [unrolled: 1-line block ×10, first 2 shown]
	s_waitcnt vmcnt(12)
	v_mov_b32_e32 v64, v74
	v_mov_b32_e32 v65, v16
	;; [unrolled: 1-line block ×11, first 2 shown]
	s_waitcnt vmcnt(8)
	v_mov_b32_e32 v68, v82
	v_mov_b32_e32 v14, v73
	s_waitcnt vmcnt(4)
	v_mov_b32_e32 v82, v90
	v_mov_b32_e32 v90, v80
	;; [unrolled: 1-line block ×23, first 2 shown]
	s_waitcnt vmcnt(3)
	v_pk_fma_f32 v[44:45], v[106:107], v[54:55], v[44:45] op_sel_hi:[1,0,1]
	v_pk_fma_f32 v[42:43], v[58:59], v[54:55], v[42:43] op_sel_hi:[1,0,1]
	v_pk_fma_f32 v[24:25], v[24:25], v[54:55], v[44:45] op_sel:[0,1,0]
	v_pk_fma_f32 v[20:21], v[20:21], v[54:55], v[42:43] op_sel:[0,1,0]
	v_mov_b32_e32 v58, v57
	v_pk_fma_f32 v[24:25], v[62:63], v[56:57], v[24:25] op_sel_hi:[1,0,1]
	v_pk_fma_f32 v[20:21], v[66:67], v[56:57], v[20:21] op_sel_hi:[1,0,1]
	v_pk_fma_f32 v[24:25], v[26:27], v[58:59], v[24:25] op_sel_hi:[1,0,1]
	v_pk_fma_f32 v[20:21], v[22:23], v[58:59], v[20:21] op_sel_hi:[1,0,1]
	s_waitcnt vmcnt(2)
	v_pk_fma_f32 v[22:23], v[64:65], v[94:95], v[24:25] op_sel_hi:[1,0,1]
	v_pk_fma_f32 v[20:21], v[76:77], v[94:95], v[20:21] op_sel_hi:[1,0,1]
	v_pk_fma_f32 v[16:17], v[16:17], v[94:95], v[22:23] op_sel:[0,1,0]
	v_pk_fma_f32 v[12:13], v[12:13], v[94:95], v[20:21] op_sel:[0,1,0]
	v_mov_b32_e32 v88, v97
	v_pk_fma_f32 v[16:17], v[74:75], v[96:97], v[16:17] op_sel_hi:[1,0,1]
	v_pk_fma_f32 v[12:13], v[70:71], v[96:97], v[12:13] op_sel_hi:[1,0,1]
	v_pk_fma_f32 v[16:17], v[18:19], v[88:89], v[16:17] op_sel_hi:[1,0,1]
	v_pk_fma_f32 v[12:13], v[14:15], v[88:89], v[12:13] op_sel_hi:[1,0,1]
	;; [unrolled: 10-line block ×4, first 2 shown]
	s_andn2_b64 exec, exec, s[14:15]
	s_cbranch_execnz .LBB40_23
; %bb.24:
	s_or_b64 exec, exec, s[14:15]
.LBB40_25:
	s_or_b64 exec, exec, s[10:11]
.LBB40_26:
	s_or_b64 exec, exec, s[8:9]
	s_cbranch_execz .LBB40_28
	s_branch .LBB40_39
.LBB40_27:
                                        ; implicit-def: $vgpr43
                                        ; implicit-def: $vgpr45
.LBB40_28:
	v_mov_b32_e32 v43, 0
	v_mov_b32_e32 v42, 0
	;; [unrolled: 1-line block ×4, first 2 shown]
	s_and_saveexec_b64 s[2:3], s[0:1]
	s_cbranch_execz .LBB40_38
; %bb.29:
	v_or_b32_e32 v0, 4, v34
	v_mov_b32_e32 v1, s19
	v_subrev_co_u32_e32 v0, vcc, s22, v0
	v_subb_co_u32_e32 v1, vcc, 0, v1, vcc
	v_add_co_u32_e32 v0, vcc, v0, v46
	v_addc_co_u32_e32 v1, vcc, v1, v47, vcc
	v_cmp_gt_i64_e32 vcc, v[0:1], v[38:39]
	v_cndmask_b32_e32 v1, v39, v1, vcc
	v_cndmask_b32_e32 v0, v38, v0, vcc
	v_mov_b32_e32 v4, s19
	v_sub_co_u32_e32 v5, vcc, s22, v34
	v_not_b32_e32 v3, v46
	v_subbrev_co_u32_e32 v4, vcc, 0, v4, vcc
	v_not_b32_e32 v2, v47
	v_add_co_u32_e32 v3, vcc, v5, v3
	v_addc_co_u32_e32 v2, vcc, v4, v2, vcc
	v_add_co_u32_e32 v0, vcc, v3, v0
	v_addc_co_u32_e32 v1, vcc, v2, v1, vcc
	v_lshrrev_b32_e32 v2, 2, v0
	v_add_u32_e32 v2, 1, v2
	v_and_b32_e32 v2, 3, v2
	v_mov_b32_e32 v44, 0
	v_cmp_ne_u32_e32 vcc, 0, v2
	v_mov_b32_e32 v45, v44
	v_mov_b32_e32 v42, v44
	;; [unrolled: 1-line block ×3, first 2 shown]
	s_and_saveexec_b64 s[0:1], vcc
	s_cbranch_execz .LBB40_33
; %bb.30:
	v_lshlrev_b64 v[4:5], 3, v[36:37]
	v_mov_b32_e32 v3, 0
	v_mov_b32_e32 v6, s13
	v_add_co_u32_e32 v4, vcc, s12, v4
	v_addc_co_u32_e32 v5, vcc, v6, v5, vcc
	v_lshlrev_b32_e32 v2, 3, v2
	s_mov_b64 s[8:9], 0
	v_mov_b32_e32 v6, s19
	v_mov_b32_e32 v7, s7
	s_movk_i32 s10, 0x100
	v_mov_b32_e32 v44, v3
	v_mov_b32_e32 v45, v3
	;; [unrolled: 1-line block ×4, first 2 shown]
.LBB40_31:                              ; =>This Inner Loop Header: Depth=1
	global_load_dwordx2 v[16:17], v[4:5], off
	global_load_dwordx4 v[8:11], v[40:41], off offset:16
	global_load_dwordx4 v[12:15], v[40:41], off
	s_waitcnt vmcnt(2)
	v_subrev_co_u32_e32 v16, vcc, s22, v16
	v_subb_co_u32_e32 v17, vcc, v17, v6, vcc
	v_lshlrev_b64 v[16:17], 4, v[16:17]
	v_add_co_u32_e32 v28, vcc, s6, v16
	v_addc_co_u32_e32 v29, vcc, v7, v17, vcc
	global_load_dwordx4 v[16:19], v[28:29], off
	global_load_dwordx4 v[20:23], v[40:41], off offset:32
	global_load_dwordx4 v[24:27], v[40:41], off offset:48
	v_add_co_u32_e32 v40, vcc, s10, v40
	v_addc_co_u32_e32 v41, vcc, 0, v41, vcc
	v_add_co_u32_e32 v36, vcc, 4, v36
	v_addc_co_u32_e32 v37, vcc, 0, v37, vcc
	;; [unrolled: 2-line block ×3, first 2 shown]
	v_add_co_u32_e32 v2, vcc, -8, v2
	v_addc_co_u32_e32 v3, vcc, -1, v3, vcc
	v_cmp_eq_u64_e32 vcc, 0, v[2:3]
	s_or_b64 s[8:9], vcc, s[8:9]
	s_waitcnt vmcnt(2)
	v_pk_fma_f32 v[12:13], v[12:13], v[16:17], v[44:45] op_sel_hi:[1,0,1]
	v_pk_fma_f32 v[14:15], v[14:15], v[16:17], v[42:43] op_sel_hi:[1,0,1]
	v_pk_fma_f32 v[8:9], v[8:9], v[16:17], v[12:13] op_sel:[0,1,0]
	v_pk_fma_f32 v[10:11], v[10:11], v[16:17], v[14:15] op_sel:[0,1,0]
	v_mov_b32_e32 v28, v19
	s_waitcnt vmcnt(1)
	v_pk_fma_f32 v[8:9], v[20:21], v[18:19], v[8:9] op_sel_hi:[1,0,1]
	v_pk_fma_f32 v[10:11], v[22:23], v[18:19], v[10:11] op_sel_hi:[1,0,1]
	s_waitcnt vmcnt(0)
	v_pk_fma_f32 v[44:45], v[24:25], v[28:29], v[8:9] op_sel_hi:[1,0,1]
	v_pk_fma_f32 v[42:43], v[26:27], v[28:29], v[10:11] op_sel_hi:[1,0,1]
	s_andn2_b64 exec, exec, s[8:9]
	s_cbranch_execnz .LBB40_31
; %bb.32:
	s_or_b64 exec, exec, s[8:9]
.LBB40_33:
	s_or_b64 exec, exec, s[0:1]
	v_cmp_lt_u64_e32 vcc, 11, v[0:1]
	s_and_saveexec_b64 s[8:9], vcc
	s_cbranch_execz .LBB40_37
; %bb.34:
	v_lshlrev_b64 v[0:1], 3, v[36:37]
	v_mov_b32_e32 v2, s13
	v_add_co_u32_e32 v0, vcc, s12, v0
	v_addc_co_u32_e32 v1, vcc, v1, v2, vcc
	v_add_co_u32_e32 v0, vcc, 64, v0
	v_addc_co_u32_e32 v1, vcc, 0, v1, vcc
	s_mov_b64 s[10:11], 0
	v_mov_b32_e32 v2, s19
	v_mov_b32_e32 v3, s7
.LBB40_35:                              ; =>This Inner Loop Header: Depth=1
	global_load_dwordx2 v[74:75], v[0:1], off offset:-64
	global_load_dwordx2 v[76:77], v[0:1], off offset:-32
	global_load_dwordx2 v[78:79], v[0:1], off
	global_load_dwordx2 v[80:81], v[0:1], off offset:32
	global_load_dwordx4 v[4:7], v[40:41], off offset:48
	global_load_dwordx4 v[8:11], v[40:41], off offset:32
	;; [unrolled: 1-line block ×3, first 2 shown]
	global_load_dwordx4 v[16:19], v[40:41], off
	global_load_dwordx4 v[20:23], v[40:41], off offset:304
	global_load_dwordx4 v[24:27], v[40:41], off offset:288
	;; [unrolled: 1-line block ×10, first 2 shown]
	s_waitcnt vmcnt(17)
	v_subrev_co_u32_e32 v74, vcc, s22, v74
	v_subb_co_u32_e32 v75, vcc, v75, v2, vcc
	s_waitcnt vmcnt(16)
	v_subrev_co_u32_e32 v76, vcc, s22, v76
	v_subb_co_u32_e32 v77, vcc, v77, v2, vcc
	;; [unrolled: 3-line block ×4, first 2 shown]
	v_lshlrev_b64 v[74:75], 4, v[74:75]
	v_add_co_u32_e32 v98, vcc, s6, v74
	v_lshlrev_b64 v[76:77], 4, v[76:77]
	v_addc_co_u32_e32 v99, vcc, v3, v75, vcc
	v_add_co_u32_e32 v100, vcc, s6, v76
	v_lshlrev_b64 v[78:79], 4, v[78:79]
	v_addc_co_u32_e32 v101, vcc, v3, v77, vcc
	;; [unrolled: 3-line block ×3, first 2 shown]
	v_add_co_u32_e32 v104, vcc, s6, v80
	v_addc_co_u32_e32 v105, vcc, v3, v81, vcc
	global_load_dwordx4 v[74:77], v[98:99], off
	global_load_dwordx4 v[78:81], v[100:101], off
	;; [unrolled: 1-line block ×4, first 2 shown]
	global_load_dwordx4 v[90:93], v[40:41], off offset:800
	global_load_dwordx4 v[94:97], v[40:41], off offset:816
	v_add_co_u32_e32 v36, vcc, 16, v36
	v_addc_co_u32_e32 v37, vcc, 0, v37, vcc
	v_add_co_u32_e32 v0, vcc, 0x80, v0
	v_addc_co_u32_e32 v1, vcc, 0, v1, vcc
	v_cmp_ge_i64_e64 s[0:1], v[36:37], v[38:39]
	v_add_co_u32_e32 v40, vcc, 0x400, v40
	v_addc_co_u32_e32 v41, vcc, 0, v41, vcc
	s_or_b64 s[10:11], s[0:1], s[10:11]
	s_waitcnt vmcnt(5)
	v_pk_fma_f32 v[16:17], v[16:17], v[74:75], v[44:45] op_sel_hi:[1,0,1]
	v_pk_fma_f32 v[18:19], v[18:19], v[74:75], v[42:43] op_sel_hi:[1,0,1]
	v_pk_fma_f32 v[12:13], v[12:13], v[74:75], v[16:17] op_sel:[0,1,0]
	v_pk_fma_f32 v[14:15], v[14:15], v[74:75], v[18:19] op_sel:[0,1,0]
	v_mov_b32_e32 v42, v77
	v_pk_fma_f32 v[8:9], v[8:9], v[76:77], v[12:13] op_sel_hi:[1,0,1]
	v_pk_fma_f32 v[10:11], v[10:11], v[76:77], v[14:15] op_sel_hi:[1,0,1]
	v_pk_fma_f32 v[4:5], v[4:5], v[42:43], v[8:9] op_sel_hi:[1,0,1]
	v_pk_fma_f32 v[6:7], v[6:7], v[42:43], v[10:11] op_sel_hi:[1,0,1]
	s_waitcnt vmcnt(4)
	v_pk_fma_f32 v[4:5], v[46:47], v[78:79], v[4:5] op_sel_hi:[1,0,1]
	v_pk_fma_f32 v[6:7], v[48:49], v[78:79], v[6:7] op_sel_hi:[1,0,1]
	v_pk_fma_f32 v[4:5], v[28:29], v[78:79], v[4:5] op_sel:[0,1,0]
	v_pk_fma_f32 v[6:7], v[30:31], v[78:79], v[6:7] op_sel:[0,1,0]
	v_mov_b32_e32 v44, v81
	v_pk_fma_f32 v[4:5], v[24:25], v[80:81], v[4:5] op_sel_hi:[1,0,1]
	v_pk_fma_f32 v[6:7], v[26:27], v[80:81], v[6:7] op_sel_hi:[1,0,1]
	v_pk_fma_f32 v[4:5], v[20:21], v[44:45], v[4:5] op_sel_hi:[1,0,1]
	v_pk_fma_f32 v[6:7], v[22:23], v[44:45], v[6:7] op_sel_hi:[1,0,1]
	;; [unrolled: 10-line block ×3, first 2 shown]
	s_waitcnt vmcnt(2)
	v_pk_fma_f32 v[4:5], v[70:71], v[86:87], v[4:5] op_sel_hi:[1,0,1]
	v_pk_fma_f32 v[6:7], v[72:73], v[86:87], v[6:7] op_sel_hi:[1,0,1]
	v_pk_fma_f32 v[4:5], v[66:67], v[86:87], v[4:5] op_sel:[0,1,0]
	v_pk_fma_f32 v[6:7], v[68:69], v[86:87], v[6:7] op_sel:[0,1,0]
	v_mov_b32_e32 v100, v89
	s_waitcnt vmcnt(1)
	v_pk_fma_f32 v[4:5], v[90:91], v[88:89], v[4:5] op_sel_hi:[1,0,1]
	v_pk_fma_f32 v[6:7], v[92:93], v[88:89], v[6:7] op_sel_hi:[1,0,1]
	s_waitcnt vmcnt(0)
	v_pk_fma_f32 v[44:45], v[94:95], v[100:101], v[4:5] op_sel_hi:[1,0,1]
	v_pk_fma_f32 v[42:43], v[96:97], v[100:101], v[6:7] op_sel_hi:[1,0,1]
	s_andn2_b64 exec, exec, s[10:11]
	s_cbranch_execnz .LBB40_35
; %bb.36:
	s_or_b64 exec, exec, s[10:11]
.LBB40_37:
	s_or_b64 exec, exec, s[8:9]
.LBB40_38:
	s_or_b64 exec, exec, s[2:3]
.LBB40_39:
	v_mov_b32_dpp v0, v44 row_shr:1 row_mask:0xf bank_mask:0xf
	v_mov_b32_dpp v1, v45 row_shr:1 row_mask:0xf bank_mask:0xf
	;; [unrolled: 1-line block ×4, first 2 shown]
	v_pk_add_f32 v[0:1], v[44:45], v[0:1]
	v_pk_add_f32 v[4:5], v[42:43], v[4:5]
	v_cmp_eq_u32_e32 vcc, 3, v34
	v_mov_b32_dpp v2, v0 row_shr:2 row_mask:0xf bank_mask:0xf
	v_mov_b32_dpp v3, v1 row_shr:2 row_mask:0xf bank_mask:0xf
	;; [unrolled: 1-line block ×4, first 2 shown]
	s_and_b64 exec, exec, vcc
	s_cbranch_execz .LBB40_10
; %bb.40:
	s_load_dwordx2 s[0:1], s[4:5], 0x58
	v_cmp_eq_f32_e64 s[2:3], s20, 0
	v_pk_add_f32 v[2:3], v[0:1], v[2:3]
	v_pk_add_f32 v[0:1], v[4:5], v[6:7]
	s_and_b64 vcc, exec, s[2:3]
	v_lshlrev_b64 v[4:5], 4, v[32:33]
	s_cbranch_vccz .LBB40_42
; %bb.41:
	s_waitcnt lgkmcnt(0)
	v_mov_b32_e32 v6, s1
	v_add_co_u32_e32 v10, vcc, s0, v4
	v_addc_co_u32_e32 v11, vcc, v6, v5, vcc
	v_pk_mul_f32 v[6:7], s[16:17], v[2:3] op_sel_hi:[0,1]
	v_pk_mul_f32 v[8:9], s[16:17], v[0:1] op_sel_hi:[0,1]
	global_store_dwordx4 v[10:11], v[6:9], off
	s_cbranch_execnz .LBB40_10
	s_branch .LBB40_43
.LBB40_42:
.LBB40_43:
	s_waitcnt lgkmcnt(0)
	v_mov_b32_e32 v6, s1
	v_add_co_u32_e32 v8, vcc, s0, v4
	v_addc_co_u32_e32 v9, vcc, v6, v5, vcc
	global_load_dwordx4 v[4:7], v[8:9], off
	v_pk_mul_f32 v[2:3], s[16:17], v[2:3] op_sel_hi:[0,1]
	v_pk_mul_f32 v[10:11], s[16:17], v[0:1] op_sel_hi:[0,1]
	s_waitcnt vmcnt(0)
	v_pk_fma_f32 v[0:1], s[20:21], v[4:5], v[2:3] op_sel_hi:[0,1,1]
	v_pk_fma_f32 v[2:3], s[20:21], v[6:7], v[10:11] op_sel_hi:[0,1,1]
	global_store_dwordx4 v[8:9], v[0:3], off
	s_endpgm
	.section	.rodata,"a",@progbits
	.p2align	6, 0x0
	.amdhsa_kernel _ZN9rocsparseL18bsrxmvn_4x4_kernelILj128ELj4EfllfffEEvT3_20rocsparse_direction_NS_24const_host_device_scalarIT1_EES1_PKS1_PKT2_SA_S7_PKT4_PKT5_S5_PT6_21rocsparse_index_base_b
		.amdhsa_group_segment_fixed_size 0
		.amdhsa_private_segment_fixed_size 0
		.amdhsa_kernarg_size 104
		.amdhsa_user_sgpr_count 6
		.amdhsa_user_sgpr_private_segment_buffer 1
		.amdhsa_user_sgpr_dispatch_ptr 0
		.amdhsa_user_sgpr_queue_ptr 0
		.amdhsa_user_sgpr_kernarg_segment_ptr 1
		.amdhsa_user_sgpr_dispatch_id 0
		.amdhsa_user_sgpr_flat_scratch_init 0
		.amdhsa_user_sgpr_kernarg_preload_length 0
		.amdhsa_user_sgpr_kernarg_preload_offset 0
		.amdhsa_user_sgpr_private_segment_size 0
		.amdhsa_uses_dynamic_stack 0
		.amdhsa_system_sgpr_private_segment_wavefront_offset 0
		.amdhsa_system_sgpr_workgroup_id_x 1
		.amdhsa_system_sgpr_workgroup_id_y 0
		.amdhsa_system_sgpr_workgroup_id_z 0
		.amdhsa_system_sgpr_workgroup_info 0
		.amdhsa_system_vgpr_workitem_id 0
		.amdhsa_next_free_vgpr 114
		.amdhsa_next_free_sgpr 24
		.amdhsa_accum_offset 116
		.amdhsa_reserve_vcc 1
		.amdhsa_reserve_flat_scratch 0
		.amdhsa_float_round_mode_32 0
		.amdhsa_float_round_mode_16_64 0
		.amdhsa_float_denorm_mode_32 3
		.amdhsa_float_denorm_mode_16_64 3
		.amdhsa_dx10_clamp 1
		.amdhsa_ieee_mode 1
		.amdhsa_fp16_overflow 0
		.amdhsa_tg_split 0
		.amdhsa_exception_fp_ieee_invalid_op 0
		.amdhsa_exception_fp_denorm_src 0
		.amdhsa_exception_fp_ieee_div_zero 0
		.amdhsa_exception_fp_ieee_overflow 0
		.amdhsa_exception_fp_ieee_underflow 0
		.amdhsa_exception_fp_ieee_inexact 0
		.amdhsa_exception_int_div_zero 0
	.end_amdhsa_kernel
	.section	.text._ZN9rocsparseL18bsrxmvn_4x4_kernelILj128ELj4EfllfffEEvT3_20rocsparse_direction_NS_24const_host_device_scalarIT1_EES1_PKS1_PKT2_SA_S7_PKT4_PKT5_S5_PT6_21rocsparse_index_base_b,"axG",@progbits,_ZN9rocsparseL18bsrxmvn_4x4_kernelILj128ELj4EfllfffEEvT3_20rocsparse_direction_NS_24const_host_device_scalarIT1_EES1_PKS1_PKT2_SA_S7_PKT4_PKT5_S5_PT6_21rocsparse_index_base_b,comdat
.Lfunc_end40:
	.size	_ZN9rocsparseL18bsrxmvn_4x4_kernelILj128ELj4EfllfffEEvT3_20rocsparse_direction_NS_24const_host_device_scalarIT1_EES1_PKS1_PKT2_SA_S7_PKT4_PKT5_S5_PT6_21rocsparse_index_base_b, .Lfunc_end40-_ZN9rocsparseL18bsrxmvn_4x4_kernelILj128ELj4EfllfffEEvT3_20rocsparse_direction_NS_24const_host_device_scalarIT1_EES1_PKS1_PKT2_SA_S7_PKT4_PKT5_S5_PT6_21rocsparse_index_base_b
                                        ; -- End function
	.section	.AMDGPU.csdata,"",@progbits
; Kernel info:
; codeLenInByte = 3268
; NumSgprs: 28
; NumVgprs: 114
; NumAgprs: 0
; TotalNumVgprs: 114
; ScratchSize: 0
; MemoryBound: 1
; FloatMode: 240
; IeeeMode: 1
; LDSByteSize: 0 bytes/workgroup (compile time only)
; SGPRBlocks: 3
; VGPRBlocks: 14
; NumSGPRsForWavesPerEU: 28
; NumVGPRsForWavesPerEU: 114
; AccumOffset: 116
; Occupancy: 4
; WaveLimiterHint : 1
; COMPUTE_PGM_RSRC2:SCRATCH_EN: 0
; COMPUTE_PGM_RSRC2:USER_SGPR: 6
; COMPUTE_PGM_RSRC2:TRAP_HANDLER: 0
; COMPUTE_PGM_RSRC2:TGID_X_EN: 1
; COMPUTE_PGM_RSRC2:TGID_Y_EN: 0
; COMPUTE_PGM_RSRC2:TGID_Z_EN: 0
; COMPUTE_PGM_RSRC2:TIDIG_COMP_CNT: 0
; COMPUTE_PGM_RSRC3_GFX90A:ACCUM_OFFSET: 28
; COMPUTE_PGM_RSRC3_GFX90A:TG_SPLIT: 0
	.section	.text._ZN9rocsparseL18bsrxmvn_4x4_kernelILj128ELj8EfllfffEEvT3_20rocsparse_direction_NS_24const_host_device_scalarIT1_EES1_PKS1_PKT2_SA_S7_PKT4_PKT5_S5_PT6_21rocsparse_index_base_b,"axG",@progbits,_ZN9rocsparseL18bsrxmvn_4x4_kernelILj128ELj8EfllfffEEvT3_20rocsparse_direction_NS_24const_host_device_scalarIT1_EES1_PKS1_PKT2_SA_S7_PKT4_PKT5_S5_PT6_21rocsparse_index_base_b,comdat
	.globl	_ZN9rocsparseL18bsrxmvn_4x4_kernelILj128ELj8EfllfffEEvT3_20rocsparse_direction_NS_24const_host_device_scalarIT1_EES1_PKS1_PKT2_SA_S7_PKT4_PKT5_S5_PT6_21rocsparse_index_base_b ; -- Begin function _ZN9rocsparseL18bsrxmvn_4x4_kernelILj128ELj8EfllfffEEvT3_20rocsparse_direction_NS_24const_host_device_scalarIT1_EES1_PKS1_PKT2_SA_S7_PKT4_PKT5_S5_PT6_21rocsparse_index_base_b
	.p2align	8
	.type	_ZN9rocsparseL18bsrxmvn_4x4_kernelILj128ELj8EfllfffEEvT3_20rocsparse_direction_NS_24const_host_device_scalarIT1_EES1_PKS1_PKT2_SA_S7_PKT4_PKT5_S5_PT6_21rocsparse_index_base_b,@function
_ZN9rocsparseL18bsrxmvn_4x4_kernelILj128ELj8EfllfffEEvT3_20rocsparse_direction_NS_24const_host_device_scalarIT1_EES1_PKS1_PKT2_SA_S7_PKT4_PKT5_S5_PT6_21rocsparse_index_base_b: ; @_ZN9rocsparseL18bsrxmvn_4x4_kernelILj128ELj8EfllfffEEvT3_20rocsparse_direction_NS_24const_host_device_scalarIT1_EES1_PKS1_PKT2_SA_S7_PKT4_PKT5_S5_PT6_21rocsparse_index_base_b
; %bb.0:
	s_load_dwordx2 s[22:23], s[4:5], 0x60
	s_load_dwordx4 s[16:19], s[4:5], 0x10
	s_load_dwordx2 s[20:21], s[4:5], 0x50
	s_waitcnt lgkmcnt(0)
	s_bitcmp1_b32 s23, 0
	s_cselect_b64 s[2:3], -1, 0
	s_xor_b64 s[0:1], s[2:3], -1
	s_and_b64 vcc, exec, s[2:3]
	s_cbranch_vccnz .LBB41_2
; %bb.1:
	s_load_dword s16, s[16:17], 0x0
.LBB41_2:
	s_andn2_b64 vcc, exec, s[0:1]
	s_cbranch_vccnz .LBB41_4
; %bb.3:
	s_load_dword s20, s[20:21], 0x0
.LBB41_4:
	s_waitcnt lgkmcnt(0)
	v_cmp_neq_f32_e64 s[0:1], s16, 0
	v_cmp_neq_f32_e64 s[2:3], s20, 1.0
	s_or_b64 s[0:1], s[0:1], s[2:3]
	s_andn2_b64 vcc, exec, s[0:1]
	s_cbranch_vccnz .LBB41_10
; %bb.5:
	s_load_dwordx2 s[2:3], s[4:5], 0x20
	v_lshrrev_b32_e32 v1, 3, v0
	v_lshl_or_b32 v2, s6, 4, v1
	v_mov_b32_e32 v3, 0
	s_mov_b64 s[0:1], 0
	s_waitcnt lgkmcnt(0)
	s_cmp_lg_u64 s[2:3], 0
	s_cbranch_scc0 .LBB41_11
; %bb.6:
	v_cmp_gt_i64_e32 vcc, s[18:19], v[2:3]
                                        ; implicit-def: $vgpr32_vgpr33
	s_and_saveexec_b64 s[6:7], vcc
	s_xor_b64 s[6:7], exec, s[6:7]
                                        ; implicit-def: $sgpr18_sgpr19
	s_cbranch_execz .LBB41_8
; %bb.7:
	v_lshlrev_b64 v[4:5], 3, v[2:3]
	v_mov_b32_e32 v1, s3
	v_add_co_u32_e32 v4, vcc, s2, v4
	v_addc_co_u32_e32 v5, vcc, v1, v5, vcc
	global_load_dwordx2 v[4:5], v[4:5], off
	s_mov_b64 s[0:1], exec
	s_mov_b32 s19, 0
	s_waitcnt vmcnt(0)
	v_subrev_co_u32_e32 v32, vcc, s22, v4
	v_subbrev_co_u32_e32 v33, vcc, 0, v5, vcc
.LBB41_8:
	s_or_b64 exec, exec, s[6:7]
.LBB41_9:
	s_and_saveexec_b64 s[2:3], s[0:1]
	s_cbranch_execnz .LBB41_15
.LBB41_10:
	s_endpgm
.LBB41_11:
                                        ; implicit-def: $vgpr32_vgpr33
                                        ; implicit-def: $sgpr18_sgpr19
	s_cbranch_execz .LBB41_9
; %bb.12:
	s_load_dwordx2 s[2:3], s[4:5], 0x0
                                        ; implicit-def: $vgpr32_vgpr33
	s_waitcnt lgkmcnt(0)
	v_cmp_gt_i64_e32 vcc, s[2:3], v[2:3]
	s_and_saveexec_b64 s[2:3], vcc
                                        ; implicit-def: $sgpr18_sgpr19
; %bb.13:
	s_mov_b32 s19, 0
	s_or_b64 s[0:1], s[0:1], exec
	v_pk_mov_b32 v[32:33], v[2:3], v[2:3] op_sel:[0,1]
; %bb.14:
	s_or_b64 exec, exec, s[2:3]
	s_and_saveexec_b64 s[2:3], s[0:1]
	s_cbranch_execz .LBB41_10
.LBB41_15:
	s_load_dwordx8 s[8:15], s[4:5], 0x28
	v_lshlrev_b64 v[2:3], 3, v[32:33]
	v_and_b32_e32 v34, 7, v0
	v_mov_b32_e32 v0, s19
	v_mov_b32_e32 v43, 0
	s_waitcnt lgkmcnt(0)
	v_mov_b32_e32 v1, s9
	v_add_co_u32_e32 v4, vcc, s8, v2
	v_addc_co_u32_e32 v5, vcc, v1, v3, vcc
	v_add_co_u32_e32 v1, vcc, 8, v4
	global_load_dwordx2 v[46:47], v[4:5], off
	v_addc_co_u32_e32 v4, vcc, 0, v5, vcc
	v_mov_b32_e32 v5, s11
	v_add_co_u32_e32 v2, vcc, s10, v2
	s_cmp_eq_u64 s[10:11], 0
	v_addc_co_u32_e32 v3, vcc, v5, v3, vcc
	s_cselect_b64 vcc, -1, 0
	v_cndmask_b32_e32 v3, v3, v4, vcc
	v_cndmask_b32_e32 v2, v2, v1, vcc
	global_load_dwordx2 v[2:3], v[2:3], off
	s_load_dwordx2 s[6:7], s[4:5], 0x48
	s_load_dword s0, s[4:5], 0x8
	v_mov_b32_e32 v4, s15
	s_waitcnt lgkmcnt(0)
	s_cmp_eq_u32 s0, 1
	s_waitcnt vmcnt(1)
	v_subrev_co_u32_e32 v1, vcc, s22, v46
	v_subb_co_u32_e32 v5, vcc, v47, v0, vcc
	v_add_co_u32_e32 v36, vcc, v1, v34
	v_addc_co_u32_e32 v37, vcc, 0, v5, vcc
	s_waitcnt vmcnt(0)
	v_subrev_co_u32_e32 v38, vcc, s22, v2
	v_subb_co_u32_e32 v39, vcc, v3, v0, vcc
	v_lshlrev_b64 v[0:1], 6, v[36:37]
	v_add_co_u32_e32 v40, vcc, s14, v0
	v_addc_co_u32_e32 v41, vcc, v4, v1, vcc
	v_cmp_lt_i64_e64 s[0:1], v[36:37], v[38:39]
	s_cbranch_scc1 .LBB41_27
; %bb.16:
	v_mov_b32_e32 v42, 0
	v_mov_b32_e32 v45, 0
	;; [unrolled: 1-line block ×3, first 2 shown]
	s_and_saveexec_b64 s[8:9], s[0:1]
	s_cbranch_execz .LBB41_26
; %bb.17:
	v_or_b32_e32 v0, 8, v34
	v_mov_b32_e32 v1, s19
	v_subrev_co_u32_e32 v0, vcc, s22, v0
	v_subb_co_u32_e32 v1, vcc, 0, v1, vcc
	v_add_co_u32_e32 v0, vcc, v0, v46
	v_addc_co_u32_e32 v1, vcc, v1, v47, vcc
	v_cmp_gt_i64_e32 vcc, v[0:1], v[38:39]
	v_cndmask_b32_e32 v1, v39, v1, vcc
	v_cndmask_b32_e32 v0, v38, v0, vcc
	v_mov_b32_e32 v4, s19
	v_sub_co_u32_e32 v5, vcc, s22, v34
	v_not_b32_e32 v3, v46
	v_subbrev_co_u32_e32 v4, vcc, 0, v4, vcc
	v_not_b32_e32 v2, v47
	v_add_co_u32_e32 v3, vcc, v5, v3
	v_addc_co_u32_e32 v2, vcc, v4, v2, vcc
	v_add_co_u32_e32 v0, vcc, v3, v0
	v_addc_co_u32_e32 v1, vcc, v2, v1, vcc
	v_lshrrev_b32_e32 v2, 3, v0
	v_add_u32_e32 v2, 1, v2
	v_and_b32_e32 v2, 3, v2
	v_mov_b32_e32 v44, 0
	v_cmp_ne_u32_e32 vcc, 0, v2
	v_mov_b32_e32 v45, v44
	v_mov_b32_e32 v42, v44
	;; [unrolled: 1-line block ×3, first 2 shown]
	v_pk_mov_b32 v[48:49], v[36:37], v[36:37] op_sel:[0,1]
	v_pk_mov_b32 v[50:51], v[40:41], v[40:41] op_sel:[0,1]
	s_and_saveexec_b64 s[2:3], vcc
	s_cbranch_execz .LBB41_21
; %bb.18:
	v_lshlrev_b64 v[4:5], 3, v[36:37]
	v_mov_b32_e32 v3, 0
	v_mov_b32_e32 v6, s13
	v_add_co_u32_e32 v4, vcc, s12, v4
	v_addc_co_u32_e32 v5, vcc, v6, v5, vcc
	v_lshlrev_b32_e32 v2, 3, v2
	s_mov_b64 s[10:11], 0
	v_mov_b32_e32 v6, s19
	v_mov_b32_e32 v7, s7
	s_movk_i32 s14, 0x200
	v_pk_mov_b32 v[50:51], v[40:41], v[40:41] op_sel:[0,1]
	v_pk_mov_b32 v[48:49], v[36:37], v[36:37] op_sel:[0,1]
	v_mov_b32_e32 v43, v3
	v_mov_b32_e32 v42, v3
	;; [unrolled: 1-line block ×4, first 2 shown]
.LBB41_19:                              ; =>This Inner Loop Header: Depth=1
	global_load_dwordx2 v[24:25], v[4:5], off
	global_load_dwordx4 v[8:11], v[50:51], off offset:16
	global_load_dwordx4 v[12:15], v[50:51], off
	global_load_dwordx4 v[16:19], v[50:51], off offset:48
	global_load_dwordx4 v[20:23], v[50:51], off offset:32
	s_waitcnt vmcnt(4)
	v_subrev_co_u32_e32 v24, vcc, s22, v24
	v_subb_co_u32_e32 v25, vcc, v25, v6, vcc
	v_lshlrev_b64 v[24:25], 4, v[24:25]
	v_add_co_u32_e32 v24, vcc, s6, v24
	v_addc_co_u32_e32 v25, vcc, v7, v25, vcc
	global_load_dwordx4 v[24:27], v[24:25], off
	v_add_co_u32_e32 v50, vcc, s14, v50
	v_addc_co_u32_e32 v51, vcc, 0, v51, vcc
	v_add_co_u32_e32 v48, vcc, 8, v48
	v_addc_co_u32_e32 v49, vcc, 0, v49, vcc
	;; [unrolled: 2-line block ×3, first 2 shown]
	s_waitcnt vmcnt(3)
	v_mov_b32_e32 v28, v12
	v_mov_b32_e32 v29, v8
	;; [unrolled: 1-line block ×6, first 2 shown]
	s_waitcnt vmcnt(1)
	v_mov_b32_e32 v14, v20
	v_mov_b32_e32 v15, v16
	v_add_co_u32_e32 v2, vcc, -8, v2
	v_mov_b32_e32 v16, v21
	v_mov_b32_e32 v20, v22
	;; [unrolled: 1-line block ×4, first 2 shown]
	v_addc_co_u32_e32 v3, vcc, -1, v3, vcc
	v_cmp_eq_u64_e32 vcc, 0, v[2:3]
	s_or_b64 s[10:11], vcc, s[10:11]
	s_waitcnt vmcnt(0)
	v_pk_fma_f32 v[22:23], v[28:29], v[24:25], v[44:45] op_sel_hi:[1,0,1]
	v_pk_fma_f32 v[14:15], v[14:15], v[24:25], v[42:43] op_sel_hi:[1,0,1]
	v_pk_fma_f32 v[8:9], v[8:9], v[24:25], v[22:23] op_sel:[0,1,0]
	v_pk_fma_f32 v[14:15], v[16:17], v[24:25], v[14:15] op_sel:[0,1,0]
	v_mov_b32_e32 v28, v27
	v_pk_fma_f32 v[8:9], v[12:13], v[26:27], v[8:9] op_sel_hi:[1,0,1]
	v_pk_fma_f32 v[12:13], v[20:21], v[26:27], v[14:15] op_sel_hi:[1,0,1]
	;; [unrolled: 1-line block ×4, first 2 shown]
	s_andn2_b64 exec, exec, s[10:11]
	s_cbranch_execnz .LBB41_19
; %bb.20:
	s_or_b64 exec, exec, s[10:11]
.LBB41_21:
	s_or_b64 exec, exec, s[2:3]
	v_cmp_lt_u64_e32 vcc, 23, v[0:1]
	s_and_saveexec_b64 s[10:11], vcc
	s_cbranch_execz .LBB41_25
; %bb.22:
	v_lshlrev_b64 v[0:1], 3, v[48:49]
	v_mov_b32_e32 v2, s13
	v_add_co_u32_e32 v0, vcc, s12, v0
	v_addc_co_u32_e32 v1, vcc, v1, v2, vcc
	v_add_co_u32_e32 v52, vcc, 0x80, v0
	v_addc_co_u32_e32 v53, vcc, 0, v1, vcc
	s_mov_b64 s[14:15], 0
	v_mov_b32_e32 v35, s19
	v_mov_b32_e32 v60, s7
.LBB41_23:                              ; =>This Inner Loop Header: Depth=1
	global_load_dwordx4 v[62:65], v[50:51], off
	global_load_dwordx2 v[58:59], v[52:53], off offset:-128
	global_load_dwordx2 v[56:57], v[52:53], off offset:-64
	global_load_dwordx2 v[54:55], v[52:53], off
	global_load_dwordx2 v[94:95], v[52:53], off offset:64
	global_load_dwordx4 v[24:27], v[50:51], off offset:16
	global_load_dwordx4 v[20:23], v[50:51], off offset:48
	;; [unrolled: 1-line block ×15, first 2 shown]
	v_add_co_u32_e32 v52, vcc, 0x100, v52
	s_mov_b64 s[2:3], vcc
	v_add_co_u32_e32 v48, vcc, 32, v48
	v_addc_co_u32_e32 v49, vcc, 0, v49, vcc
	v_add_co_u32_e32 v50, vcc, 0x800, v50
	v_addc_co_u32_e32 v51, vcc, 0, v51, vcc
	v_addc_co_u32_e64 v53, s[2:3], 0, v53, s[2:3]
	v_cmp_ge_i64_e64 s[2:3], v[48:49], v[38:39]
	s_or_b64 s[14:15], s[2:3], s[14:15]
	s_waitcnt vmcnt(19)
	v_mov_b32_e32 v106, v62
	s_waitcnt vmcnt(18)
	v_subrev_co_u32_e32 v58, vcc, s22, v58
	v_subb_co_u32_e32 v59, vcc, v59, v35, vcc
	s_waitcnt vmcnt(17)
	v_subrev_co_u32_e32 v56, vcc, s22, v56
	v_subb_co_u32_e32 v57, vcc, v57, v35, vcc
	s_waitcnt vmcnt(16)
	v_subrev_co_u32_e32 v54, vcc, s22, v54
	v_subb_co_u32_e32 v55, vcc, v55, v35, vcc
	s_waitcnt vmcnt(15)
	v_subrev_co_u32_e32 v94, vcc, s22, v94
	v_subb_co_u32_e32 v95, vcc, v95, v35, vcc
	v_lshlrev_b64 v[58:59], 4, v[58:59]
	v_add_co_u32_e32 v58, vcc, s6, v58
	v_lshlrev_b64 v[56:57], 4, v[56:57]
	v_addc_co_u32_e32 v59, vcc, v60, v59, vcc
	v_add_co_u32_e32 v108, vcc, s6, v56
	v_lshlrev_b64 v[54:55], 4, v[54:55]
	v_addc_co_u32_e32 v109, vcc, v60, v57, vcc
	;; [unrolled: 3-line block ×3, first 2 shown]
	v_add_co_u32_e32 v112, vcc, s6, v94
	v_addc_co_u32_e32 v113, vcc, v60, v95, vcc
	global_load_dwordx4 v[54:57], v[58:59], off
	global_load_dwordx4 v[94:97], v[108:109], off
	;; [unrolled: 1-line block ×4, first 2 shown]
	s_waitcnt vmcnt(18)
	v_mov_b32_e32 v107, v24
	s_waitcnt vmcnt(16)
	v_mov_b32_e32 v58, v66
	v_mov_b32_e32 v59, v20
	v_mov_b32_e32 v24, v63
	v_mov_b32_e32 v20, v67
	v_mov_b32_e32 v62, v64
	v_mov_b32_e32 v63, v26
	v_mov_b32_e32 v66, v68
	v_mov_b32_e32 v67, v22
	v_mov_b32_e32 v26, v65
	v_mov_b32_e32 v22, v69
	s_waitcnt vmcnt(12)
	v_mov_b32_e32 v64, v74
	v_mov_b32_e32 v65, v16
	s_waitcnt vmcnt(8)
	v_mov_b32_e32 v68, v82
	v_mov_b32_e32 v69, v8
	;; [unrolled: 1-line block ×15, first 2 shown]
	s_waitcnt vmcnt(6)
	v_mov_b32_e32 v80, v86
	v_mov_b32_e32 v86, v88
	v_mov_b32_e32 v73, v0
	v_mov_b32_e32 v0, v79
	v_mov_b32_e32 v76, v84
	v_mov_b32_e32 v77, v10
	v_mov_b32_e32 v79, v2
	v_mov_b32_e32 v10, v85
	s_waitcnt vmcnt(4)
	v_mov_b32_e32 v84, v90
	v_mov_b32_e32 v90, v92
	;; [unrolled: 1-line block ×11, first 2 shown]
	s_waitcnt vmcnt(3)
	v_pk_fma_f32 v[44:45], v[106:107], v[54:55], v[44:45] op_sel_hi:[1,0,1]
	v_pk_fma_f32 v[42:43], v[58:59], v[54:55], v[42:43] op_sel_hi:[1,0,1]
	v_pk_fma_f32 v[24:25], v[24:25], v[54:55], v[44:45] op_sel:[0,1,0]
	v_pk_fma_f32 v[20:21], v[20:21], v[54:55], v[42:43] op_sel:[0,1,0]
	v_mov_b32_e32 v58, v57
	v_pk_fma_f32 v[24:25], v[62:63], v[56:57], v[24:25] op_sel_hi:[1,0,1]
	v_pk_fma_f32 v[20:21], v[66:67], v[56:57], v[20:21] op_sel_hi:[1,0,1]
	v_pk_fma_f32 v[24:25], v[26:27], v[58:59], v[24:25] op_sel_hi:[1,0,1]
	v_pk_fma_f32 v[20:21], v[22:23], v[58:59], v[20:21] op_sel_hi:[1,0,1]
	s_waitcnt vmcnt(2)
	v_pk_fma_f32 v[22:23], v[64:65], v[94:95], v[24:25] op_sel_hi:[1,0,1]
	v_pk_fma_f32 v[20:21], v[82:83], v[94:95], v[20:21] op_sel_hi:[1,0,1]
	v_pk_fma_f32 v[16:17], v[16:17], v[94:95], v[22:23] op_sel:[0,1,0]
	v_pk_fma_f32 v[12:13], v[12:13], v[94:95], v[20:21] op_sel:[0,1,0]
	v_mov_b32_e32 v88, v97
	v_pk_fma_f32 v[16:17], v[74:75], v[96:97], v[16:17] op_sel_hi:[1,0,1]
	v_pk_fma_f32 v[12:13], v[70:71], v[96:97], v[12:13] op_sel_hi:[1,0,1]
	v_pk_fma_f32 v[16:17], v[18:19], v[88:89], v[16:17] op_sel_hi:[1,0,1]
	v_pk_fma_f32 v[12:13], v[14:15], v[88:89], v[12:13] op_sel_hi:[1,0,1]
	;; [unrolled: 10-line block ×4, first 2 shown]
	s_andn2_b64 exec, exec, s[14:15]
	s_cbranch_execnz .LBB41_23
; %bb.24:
	s_or_b64 exec, exec, s[14:15]
.LBB41_25:
	s_or_b64 exec, exec, s[10:11]
.LBB41_26:
	s_or_b64 exec, exec, s[8:9]
	s_cbranch_execz .LBB41_28
	s_branch .LBB41_39
.LBB41_27:
                                        ; implicit-def: $vgpr43
                                        ; implicit-def: $vgpr45
.LBB41_28:
	v_mov_b32_e32 v43, 0
	v_mov_b32_e32 v42, 0
	;; [unrolled: 1-line block ×4, first 2 shown]
	s_and_saveexec_b64 s[2:3], s[0:1]
	s_cbranch_execz .LBB41_38
; %bb.29:
	v_or_b32_e32 v0, 8, v34
	v_mov_b32_e32 v1, s19
	v_subrev_co_u32_e32 v0, vcc, s22, v0
	v_subb_co_u32_e32 v1, vcc, 0, v1, vcc
	v_add_co_u32_e32 v0, vcc, v0, v46
	v_addc_co_u32_e32 v1, vcc, v1, v47, vcc
	v_cmp_gt_i64_e32 vcc, v[0:1], v[38:39]
	v_cndmask_b32_e32 v1, v39, v1, vcc
	v_cndmask_b32_e32 v0, v38, v0, vcc
	v_mov_b32_e32 v4, s19
	v_sub_co_u32_e32 v5, vcc, s22, v34
	v_not_b32_e32 v3, v46
	v_subbrev_co_u32_e32 v4, vcc, 0, v4, vcc
	v_not_b32_e32 v2, v47
	v_add_co_u32_e32 v3, vcc, v5, v3
	v_addc_co_u32_e32 v2, vcc, v4, v2, vcc
	v_add_co_u32_e32 v0, vcc, v3, v0
	v_addc_co_u32_e32 v1, vcc, v2, v1, vcc
	v_lshrrev_b32_e32 v2, 3, v0
	v_add_u32_e32 v2, 1, v2
	v_and_b32_e32 v2, 3, v2
	v_mov_b32_e32 v44, 0
	v_cmp_ne_u32_e32 vcc, 0, v2
	v_mov_b32_e32 v45, v44
	v_mov_b32_e32 v42, v44
	v_mov_b32_e32 v43, v44
	s_and_saveexec_b64 s[0:1], vcc
	s_cbranch_execz .LBB41_33
; %bb.30:
	v_lshlrev_b64 v[4:5], 3, v[36:37]
	v_mov_b32_e32 v3, 0
	v_mov_b32_e32 v6, s13
	v_add_co_u32_e32 v4, vcc, s12, v4
	v_addc_co_u32_e32 v5, vcc, v6, v5, vcc
	v_lshlrev_b32_e32 v2, 3, v2
	s_mov_b64 s[8:9], 0
	v_mov_b32_e32 v6, s19
	v_mov_b32_e32 v7, s7
	s_movk_i32 s10, 0x200
	v_mov_b32_e32 v43, v3
	v_mov_b32_e32 v42, v3
	;; [unrolled: 1-line block ×4, first 2 shown]
.LBB41_31:                              ; =>This Inner Loop Header: Depth=1
	global_load_dwordx2 v[16:17], v[4:5], off
	global_load_dwordx4 v[8:11], v[40:41], off offset:16
	global_load_dwordx4 v[12:15], v[40:41], off
	s_waitcnt vmcnt(2)
	v_subrev_co_u32_e32 v16, vcc, s22, v16
	v_subb_co_u32_e32 v17, vcc, v17, v6, vcc
	v_lshlrev_b64 v[16:17], 4, v[16:17]
	v_add_co_u32_e32 v28, vcc, s6, v16
	v_addc_co_u32_e32 v29, vcc, v7, v17, vcc
	global_load_dwordx4 v[16:19], v[28:29], off
	global_load_dwordx4 v[20:23], v[40:41], off offset:32
	global_load_dwordx4 v[24:27], v[40:41], off offset:48
	v_add_co_u32_e32 v40, vcc, s10, v40
	v_addc_co_u32_e32 v41, vcc, 0, v41, vcc
	v_add_co_u32_e32 v36, vcc, 8, v36
	v_addc_co_u32_e32 v37, vcc, 0, v37, vcc
	v_add_co_u32_e32 v4, vcc, 64, v4
	v_addc_co_u32_e32 v5, vcc, 0, v5, vcc
	v_add_co_u32_e32 v2, vcc, -8, v2
	v_addc_co_u32_e32 v3, vcc, -1, v3, vcc
	v_cmp_eq_u64_e32 vcc, 0, v[2:3]
	s_or_b64 s[8:9], vcc, s[8:9]
	s_waitcnt vmcnt(2)
	v_pk_fma_f32 v[12:13], v[12:13], v[16:17], v[44:45] op_sel_hi:[1,0,1]
	v_pk_fma_f32 v[14:15], v[14:15], v[16:17], v[42:43] op_sel_hi:[1,0,1]
	v_pk_fma_f32 v[8:9], v[8:9], v[16:17], v[12:13] op_sel:[0,1,0]
	v_pk_fma_f32 v[10:11], v[10:11], v[16:17], v[14:15] op_sel:[0,1,0]
	v_mov_b32_e32 v28, v19
	s_waitcnt vmcnt(1)
	v_pk_fma_f32 v[8:9], v[20:21], v[18:19], v[8:9] op_sel_hi:[1,0,1]
	v_pk_fma_f32 v[10:11], v[22:23], v[18:19], v[10:11] op_sel_hi:[1,0,1]
	s_waitcnt vmcnt(0)
	v_pk_fma_f32 v[44:45], v[24:25], v[28:29], v[8:9] op_sel_hi:[1,0,1]
	v_pk_fma_f32 v[42:43], v[26:27], v[28:29], v[10:11] op_sel_hi:[1,0,1]
	s_andn2_b64 exec, exec, s[8:9]
	s_cbranch_execnz .LBB41_31
; %bb.32:
	s_or_b64 exec, exec, s[8:9]
.LBB41_33:
	s_or_b64 exec, exec, s[0:1]
	v_cmp_lt_u64_e32 vcc, 23, v[0:1]
	s_and_saveexec_b64 s[8:9], vcc
	s_cbranch_execz .LBB41_37
; %bb.34:
	v_lshlrev_b64 v[0:1], 3, v[36:37]
	v_mov_b32_e32 v2, s13
	v_add_co_u32_e32 v0, vcc, s12, v0
	v_addc_co_u32_e32 v1, vcc, v1, v2, vcc
	v_add_co_u32_e32 v0, vcc, 0x80, v0
	v_addc_co_u32_e32 v1, vcc, 0, v1, vcc
	s_mov_b64 s[10:11], 0
	v_mov_b32_e32 v2, s19
	v_mov_b32_e32 v3, s7
.LBB41_35:                              ; =>This Inner Loop Header: Depth=1
	global_load_dwordx2 v[74:75], v[0:1], off offset:-128
	global_load_dwordx2 v[76:77], v[0:1], off offset:-64
	global_load_dwordx2 v[78:79], v[0:1], off
	global_load_dwordx2 v[80:81], v[0:1], off offset:64
	global_load_dwordx4 v[4:7], v[40:41], off offset:48
	global_load_dwordx4 v[8:11], v[40:41], off offset:32
	;; [unrolled: 1-line block ×3, first 2 shown]
	global_load_dwordx4 v[16:19], v[40:41], off
	global_load_dwordx4 v[20:23], v[40:41], off offset:560
	global_load_dwordx4 v[24:27], v[40:41], off offset:544
	;; [unrolled: 1-line block ×10, first 2 shown]
	s_waitcnt vmcnt(17)
	v_subrev_co_u32_e32 v74, vcc, s22, v74
	v_subb_co_u32_e32 v75, vcc, v75, v2, vcc
	s_waitcnt vmcnt(16)
	v_subrev_co_u32_e32 v76, vcc, s22, v76
	v_subb_co_u32_e32 v77, vcc, v77, v2, vcc
	;; [unrolled: 3-line block ×4, first 2 shown]
	v_lshlrev_b64 v[74:75], 4, v[74:75]
	v_add_co_u32_e32 v98, vcc, s6, v74
	v_lshlrev_b64 v[76:77], 4, v[76:77]
	v_addc_co_u32_e32 v99, vcc, v3, v75, vcc
	v_add_co_u32_e32 v100, vcc, s6, v76
	v_lshlrev_b64 v[78:79], 4, v[78:79]
	v_addc_co_u32_e32 v101, vcc, v3, v77, vcc
	;; [unrolled: 3-line block ×3, first 2 shown]
	v_add_co_u32_e32 v104, vcc, s6, v80
	v_addc_co_u32_e32 v105, vcc, v3, v81, vcc
	global_load_dwordx4 v[74:77], v[98:99], off
	global_load_dwordx4 v[78:81], v[100:101], off
	;; [unrolled: 1-line block ×4, first 2 shown]
	global_load_dwordx4 v[90:93], v[40:41], off offset:1568
	global_load_dwordx4 v[94:97], v[40:41], off offset:1584
	v_add_co_u32_e32 v36, vcc, 32, v36
	v_addc_co_u32_e32 v37, vcc, 0, v37, vcc
	v_add_co_u32_e32 v0, vcc, 0x100, v0
	v_addc_co_u32_e32 v1, vcc, 0, v1, vcc
	v_cmp_ge_i64_e64 s[0:1], v[36:37], v[38:39]
	v_add_co_u32_e32 v40, vcc, 0x800, v40
	v_addc_co_u32_e32 v41, vcc, 0, v41, vcc
	s_or_b64 s[10:11], s[0:1], s[10:11]
	s_waitcnt vmcnt(5)
	v_pk_fma_f32 v[16:17], v[16:17], v[74:75], v[44:45] op_sel_hi:[1,0,1]
	v_pk_fma_f32 v[18:19], v[18:19], v[74:75], v[42:43] op_sel_hi:[1,0,1]
	v_pk_fma_f32 v[12:13], v[12:13], v[74:75], v[16:17] op_sel:[0,1,0]
	v_pk_fma_f32 v[14:15], v[14:15], v[74:75], v[18:19] op_sel:[0,1,0]
	v_mov_b32_e32 v42, v77
	v_pk_fma_f32 v[8:9], v[8:9], v[76:77], v[12:13] op_sel_hi:[1,0,1]
	v_pk_fma_f32 v[10:11], v[10:11], v[76:77], v[14:15] op_sel_hi:[1,0,1]
	v_pk_fma_f32 v[4:5], v[4:5], v[42:43], v[8:9] op_sel_hi:[1,0,1]
	v_pk_fma_f32 v[6:7], v[6:7], v[42:43], v[10:11] op_sel_hi:[1,0,1]
	s_waitcnt vmcnt(4)
	v_pk_fma_f32 v[4:5], v[46:47], v[78:79], v[4:5] op_sel_hi:[1,0,1]
	v_pk_fma_f32 v[6:7], v[48:49], v[78:79], v[6:7] op_sel_hi:[1,0,1]
	v_pk_fma_f32 v[4:5], v[28:29], v[78:79], v[4:5] op_sel:[0,1,0]
	v_pk_fma_f32 v[6:7], v[30:31], v[78:79], v[6:7] op_sel:[0,1,0]
	v_mov_b32_e32 v44, v81
	v_pk_fma_f32 v[4:5], v[24:25], v[80:81], v[4:5] op_sel_hi:[1,0,1]
	v_pk_fma_f32 v[6:7], v[26:27], v[80:81], v[6:7] op_sel_hi:[1,0,1]
	v_pk_fma_f32 v[4:5], v[20:21], v[44:45], v[4:5] op_sel_hi:[1,0,1]
	v_pk_fma_f32 v[6:7], v[22:23], v[44:45], v[6:7] op_sel_hi:[1,0,1]
	s_waitcnt vmcnt(3)
	v_pk_fma_f32 v[4:5], v[62:63], v[82:83], v[4:5] op_sel_hi:[1,0,1]
	v_pk_fma_f32 v[6:7], v[64:65], v[82:83], v[6:7] op_sel_hi:[1,0,1]
	v_pk_fma_f32 v[4:5], v[58:59], v[82:83], v[4:5] op_sel:[0,1,0]
	v_pk_fma_f32 v[6:7], v[60:61], v[82:83], v[6:7] op_sel:[0,1,0]
	v_mov_b32_e32 v98, v85
	v_pk_fma_f32 v[4:5], v[54:55], v[84:85], v[4:5] op_sel_hi:[1,0,1]
	v_pk_fma_f32 v[6:7], v[56:57], v[84:85], v[6:7] op_sel_hi:[1,0,1]
	v_pk_fma_f32 v[4:5], v[50:51], v[98:99], v[4:5] op_sel_hi:[1,0,1]
	v_pk_fma_f32 v[6:7], v[52:53], v[98:99], v[6:7] op_sel_hi:[1,0,1]
	s_waitcnt vmcnt(2)
	v_pk_fma_f32 v[4:5], v[70:71], v[86:87], v[4:5] op_sel_hi:[1,0,1]
	v_pk_fma_f32 v[6:7], v[72:73], v[86:87], v[6:7] op_sel_hi:[1,0,1]
	v_pk_fma_f32 v[4:5], v[66:67], v[86:87], v[4:5] op_sel:[0,1,0]
	v_pk_fma_f32 v[6:7], v[68:69], v[86:87], v[6:7] op_sel:[0,1,0]
	v_mov_b32_e32 v100, v89
	s_waitcnt vmcnt(1)
	v_pk_fma_f32 v[4:5], v[90:91], v[88:89], v[4:5] op_sel_hi:[1,0,1]
	v_pk_fma_f32 v[6:7], v[92:93], v[88:89], v[6:7] op_sel_hi:[1,0,1]
	s_waitcnt vmcnt(0)
	v_pk_fma_f32 v[44:45], v[94:95], v[100:101], v[4:5] op_sel_hi:[1,0,1]
	v_pk_fma_f32 v[42:43], v[96:97], v[100:101], v[6:7] op_sel_hi:[1,0,1]
	s_andn2_b64 exec, exec, s[10:11]
	s_cbranch_execnz .LBB41_35
; %bb.36:
	s_or_b64 exec, exec, s[10:11]
.LBB41_37:
	s_or_b64 exec, exec, s[8:9]
.LBB41_38:
	s_or_b64 exec, exec, s[2:3]
.LBB41_39:
	v_mov_b32_dpp v0, v44 row_shr:1 row_mask:0xf bank_mask:0xf
	v_mov_b32_dpp v1, v45 row_shr:1 row_mask:0xf bank_mask:0xf
	;; [unrolled: 1-line block ×4, first 2 shown]
	v_pk_add_f32 v[0:1], v[44:45], v[0:1]
	v_pk_add_f32 v[4:5], v[42:43], v[4:5]
	v_cmp_eq_u32_e32 vcc, 7, v34
	v_mov_b32_dpp v2, v0 row_shr:2 row_mask:0xf bank_mask:0xf
	v_mov_b32_dpp v3, v1 row_shr:2 row_mask:0xf bank_mask:0xf
	;; [unrolled: 1-line block ×4, first 2 shown]
	v_pk_add_f32 v[0:1], v[0:1], v[2:3]
	v_pk_add_f32 v[4:5], v[4:5], v[6:7]
	s_nop 0
	v_mov_b32_dpp v2, v0 row_shr:4 row_mask:0xf bank_mask:0xe
	v_mov_b32_dpp v3, v1 row_shr:4 row_mask:0xf bank_mask:0xe
	;; [unrolled: 1-line block ×4, first 2 shown]
	s_and_b64 exec, exec, vcc
	s_cbranch_execz .LBB41_10
; %bb.40:
	s_load_dwordx2 s[0:1], s[4:5], 0x58
	v_cmp_eq_f32_e64 s[2:3], s20, 0
	v_pk_add_f32 v[2:3], v[0:1], v[2:3]
	v_pk_add_f32 v[0:1], v[4:5], v[6:7]
	s_and_b64 vcc, exec, s[2:3]
	v_lshlrev_b64 v[4:5], 4, v[32:33]
	s_cbranch_vccz .LBB41_42
; %bb.41:
	s_waitcnt lgkmcnt(0)
	v_mov_b32_e32 v6, s1
	v_add_co_u32_e32 v10, vcc, s0, v4
	v_addc_co_u32_e32 v11, vcc, v6, v5, vcc
	v_pk_mul_f32 v[6:7], s[16:17], v[2:3] op_sel_hi:[0,1]
	v_pk_mul_f32 v[8:9], s[16:17], v[0:1] op_sel_hi:[0,1]
	global_store_dwordx4 v[10:11], v[6:9], off
	s_cbranch_execnz .LBB41_10
	s_branch .LBB41_43
.LBB41_42:
.LBB41_43:
	s_waitcnt lgkmcnt(0)
	v_mov_b32_e32 v6, s1
	v_add_co_u32_e32 v8, vcc, s0, v4
	v_addc_co_u32_e32 v9, vcc, v6, v5, vcc
	global_load_dwordx4 v[4:7], v[8:9], off
	v_pk_mul_f32 v[2:3], s[16:17], v[2:3] op_sel_hi:[0,1]
	v_pk_mul_f32 v[10:11], s[16:17], v[0:1] op_sel_hi:[0,1]
	s_waitcnt vmcnt(0)
	v_pk_fma_f32 v[0:1], s[20:21], v[4:5], v[2:3] op_sel_hi:[0,1,1]
	v_pk_fma_f32 v[2:3], s[20:21], v[6:7], v[10:11] op_sel_hi:[0,1,1]
	global_store_dwordx4 v[8:9], v[0:3], off
	s_endpgm
	.section	.rodata,"a",@progbits
	.p2align	6, 0x0
	.amdhsa_kernel _ZN9rocsparseL18bsrxmvn_4x4_kernelILj128ELj8EfllfffEEvT3_20rocsparse_direction_NS_24const_host_device_scalarIT1_EES1_PKS1_PKT2_SA_S7_PKT4_PKT5_S5_PT6_21rocsparse_index_base_b
		.amdhsa_group_segment_fixed_size 0
		.amdhsa_private_segment_fixed_size 0
		.amdhsa_kernarg_size 104
		.amdhsa_user_sgpr_count 6
		.amdhsa_user_sgpr_private_segment_buffer 1
		.amdhsa_user_sgpr_dispatch_ptr 0
		.amdhsa_user_sgpr_queue_ptr 0
		.amdhsa_user_sgpr_kernarg_segment_ptr 1
		.amdhsa_user_sgpr_dispatch_id 0
		.amdhsa_user_sgpr_flat_scratch_init 0
		.amdhsa_user_sgpr_kernarg_preload_length 0
		.amdhsa_user_sgpr_kernarg_preload_offset 0
		.amdhsa_user_sgpr_private_segment_size 0
		.amdhsa_uses_dynamic_stack 0
		.amdhsa_system_sgpr_private_segment_wavefront_offset 0
		.amdhsa_system_sgpr_workgroup_id_x 1
		.amdhsa_system_sgpr_workgroup_id_y 0
		.amdhsa_system_sgpr_workgroup_id_z 0
		.amdhsa_system_sgpr_workgroup_info 0
		.amdhsa_system_vgpr_workitem_id 0
		.amdhsa_next_free_vgpr 114
		.amdhsa_next_free_sgpr 24
		.amdhsa_accum_offset 116
		.amdhsa_reserve_vcc 1
		.amdhsa_reserve_flat_scratch 0
		.amdhsa_float_round_mode_32 0
		.amdhsa_float_round_mode_16_64 0
		.amdhsa_float_denorm_mode_32 3
		.amdhsa_float_denorm_mode_16_64 3
		.amdhsa_dx10_clamp 1
		.amdhsa_ieee_mode 1
		.amdhsa_fp16_overflow 0
		.amdhsa_tg_split 0
		.amdhsa_exception_fp_ieee_invalid_op 0
		.amdhsa_exception_fp_denorm_src 0
		.amdhsa_exception_fp_ieee_div_zero 0
		.amdhsa_exception_fp_ieee_overflow 0
		.amdhsa_exception_fp_ieee_underflow 0
		.amdhsa_exception_fp_ieee_inexact 0
		.amdhsa_exception_int_div_zero 0
	.end_amdhsa_kernel
	.section	.text._ZN9rocsparseL18bsrxmvn_4x4_kernelILj128ELj8EfllfffEEvT3_20rocsparse_direction_NS_24const_host_device_scalarIT1_EES1_PKS1_PKT2_SA_S7_PKT4_PKT5_S5_PT6_21rocsparse_index_base_b,"axG",@progbits,_ZN9rocsparseL18bsrxmvn_4x4_kernelILj128ELj8EfllfffEEvT3_20rocsparse_direction_NS_24const_host_device_scalarIT1_EES1_PKS1_PKT2_SA_S7_PKT4_PKT5_S5_PT6_21rocsparse_index_base_b,comdat
.Lfunc_end41:
	.size	_ZN9rocsparseL18bsrxmvn_4x4_kernelILj128ELj8EfllfffEEvT3_20rocsparse_direction_NS_24const_host_device_scalarIT1_EES1_PKS1_PKT2_SA_S7_PKT4_PKT5_S5_PT6_21rocsparse_index_base_b, .Lfunc_end41-_ZN9rocsparseL18bsrxmvn_4x4_kernelILj128ELj8EfllfffEEvT3_20rocsparse_direction_NS_24const_host_device_scalarIT1_EES1_PKS1_PKT2_SA_S7_PKT4_PKT5_S5_PT6_21rocsparse_index_base_b
                                        ; -- End function
	.section	.AMDGPU.csdata,"",@progbits
; Kernel info:
; codeLenInByte = 3332
; NumSgprs: 28
; NumVgprs: 114
; NumAgprs: 0
; TotalNumVgprs: 114
; ScratchSize: 0
; MemoryBound: 1
; FloatMode: 240
; IeeeMode: 1
; LDSByteSize: 0 bytes/workgroup (compile time only)
; SGPRBlocks: 3
; VGPRBlocks: 14
; NumSGPRsForWavesPerEU: 28
; NumVGPRsForWavesPerEU: 114
; AccumOffset: 116
; Occupancy: 4
; WaveLimiterHint : 1
; COMPUTE_PGM_RSRC2:SCRATCH_EN: 0
; COMPUTE_PGM_RSRC2:USER_SGPR: 6
; COMPUTE_PGM_RSRC2:TRAP_HANDLER: 0
; COMPUTE_PGM_RSRC2:TGID_X_EN: 1
; COMPUTE_PGM_RSRC2:TGID_Y_EN: 0
; COMPUTE_PGM_RSRC2:TGID_Z_EN: 0
; COMPUTE_PGM_RSRC2:TIDIG_COMP_CNT: 0
; COMPUTE_PGM_RSRC3_GFX90A:ACCUM_OFFSET: 28
; COMPUTE_PGM_RSRC3_GFX90A:TG_SPLIT: 0
	.section	.text._ZN9rocsparseL18bsrxmvn_4x4_kernelILj128ELj16EfllfffEEvT3_20rocsparse_direction_NS_24const_host_device_scalarIT1_EES1_PKS1_PKT2_SA_S7_PKT4_PKT5_S5_PT6_21rocsparse_index_base_b,"axG",@progbits,_ZN9rocsparseL18bsrxmvn_4x4_kernelILj128ELj16EfllfffEEvT3_20rocsparse_direction_NS_24const_host_device_scalarIT1_EES1_PKS1_PKT2_SA_S7_PKT4_PKT5_S5_PT6_21rocsparse_index_base_b,comdat
	.globl	_ZN9rocsparseL18bsrxmvn_4x4_kernelILj128ELj16EfllfffEEvT3_20rocsparse_direction_NS_24const_host_device_scalarIT1_EES1_PKS1_PKT2_SA_S7_PKT4_PKT5_S5_PT6_21rocsparse_index_base_b ; -- Begin function _ZN9rocsparseL18bsrxmvn_4x4_kernelILj128ELj16EfllfffEEvT3_20rocsparse_direction_NS_24const_host_device_scalarIT1_EES1_PKS1_PKT2_SA_S7_PKT4_PKT5_S5_PT6_21rocsparse_index_base_b
	.p2align	8
	.type	_ZN9rocsparseL18bsrxmvn_4x4_kernelILj128ELj16EfllfffEEvT3_20rocsparse_direction_NS_24const_host_device_scalarIT1_EES1_PKS1_PKT2_SA_S7_PKT4_PKT5_S5_PT6_21rocsparse_index_base_b,@function
_ZN9rocsparseL18bsrxmvn_4x4_kernelILj128ELj16EfllfffEEvT3_20rocsparse_direction_NS_24const_host_device_scalarIT1_EES1_PKS1_PKT2_SA_S7_PKT4_PKT5_S5_PT6_21rocsparse_index_base_b: ; @_ZN9rocsparseL18bsrxmvn_4x4_kernelILj128ELj16EfllfffEEvT3_20rocsparse_direction_NS_24const_host_device_scalarIT1_EES1_PKS1_PKT2_SA_S7_PKT4_PKT5_S5_PT6_21rocsparse_index_base_b
; %bb.0:
	s_load_dwordx2 s[22:23], s[4:5], 0x60
	s_load_dwordx4 s[16:19], s[4:5], 0x10
	s_load_dwordx2 s[20:21], s[4:5], 0x50
	s_waitcnt lgkmcnt(0)
	s_bitcmp1_b32 s23, 0
	s_cselect_b64 s[2:3], -1, 0
	s_xor_b64 s[0:1], s[2:3], -1
	s_and_b64 vcc, exec, s[2:3]
	s_cbranch_vccnz .LBB42_2
; %bb.1:
	s_load_dword s16, s[16:17], 0x0
.LBB42_2:
	s_andn2_b64 vcc, exec, s[0:1]
	s_cbranch_vccnz .LBB42_4
; %bb.3:
	s_load_dword s20, s[20:21], 0x0
.LBB42_4:
	s_waitcnt lgkmcnt(0)
	v_cmp_neq_f32_e64 s[0:1], s16, 0
	v_cmp_neq_f32_e64 s[2:3], s20, 1.0
	s_or_b64 s[0:1], s[0:1], s[2:3]
	s_andn2_b64 vcc, exec, s[0:1]
	s_cbranch_vccnz .LBB42_10
; %bb.5:
	s_load_dwordx2 s[2:3], s[4:5], 0x20
	v_lshrrev_b32_e32 v1, 4, v0
	v_lshl_or_b32 v2, s6, 3, v1
	v_mov_b32_e32 v3, 0
	s_mov_b64 s[0:1], 0
	s_waitcnt lgkmcnt(0)
	s_cmp_lg_u64 s[2:3], 0
	s_cbranch_scc0 .LBB42_11
; %bb.6:
	v_cmp_gt_i64_e32 vcc, s[18:19], v[2:3]
                                        ; implicit-def: $vgpr16_vgpr17
	s_and_saveexec_b64 s[6:7], vcc
	s_xor_b64 s[6:7], exec, s[6:7]
                                        ; implicit-def: $sgpr18_sgpr19
	s_cbranch_execz .LBB42_8
; %bb.7:
	v_lshlrev_b64 v[4:5], 3, v[2:3]
	v_mov_b32_e32 v1, s3
	v_add_co_u32_e32 v4, vcc, s2, v4
	v_addc_co_u32_e32 v5, vcc, v1, v5, vcc
	global_load_dwordx2 v[4:5], v[4:5], off
	s_mov_b64 s[0:1], exec
	s_mov_b32 s19, 0
	s_waitcnt vmcnt(0)
	v_subrev_co_u32_e32 v16, vcc, s22, v4
	v_subbrev_co_u32_e32 v17, vcc, 0, v5, vcc
.LBB42_8:
	s_or_b64 exec, exec, s[6:7]
.LBB42_9:
	s_and_saveexec_b64 s[2:3], s[0:1]
	s_cbranch_execnz .LBB42_15
.LBB42_10:
	s_endpgm
.LBB42_11:
                                        ; implicit-def: $vgpr16_vgpr17
                                        ; implicit-def: $sgpr18_sgpr19
	s_cbranch_execz .LBB42_9
; %bb.12:
	s_load_dwordx2 s[2:3], s[4:5], 0x0
                                        ; implicit-def: $vgpr16_vgpr17
	s_waitcnt lgkmcnt(0)
	v_cmp_gt_i64_e32 vcc, s[2:3], v[2:3]
	s_and_saveexec_b64 s[2:3], vcc
                                        ; implicit-def: $sgpr18_sgpr19
; %bb.13:
	s_mov_b32 s19, 0
	s_or_b64 s[0:1], s[0:1], exec
	v_pk_mov_b32 v[16:17], v[2:3], v[2:3] op_sel:[0,1]
; %bb.14:
	s_or_b64 exec, exec, s[2:3]
	s_and_saveexec_b64 s[2:3], s[0:1]
	s_cbranch_execz .LBB42_10
.LBB42_15:
	s_load_dwordx8 s[8:15], s[4:5], 0x28
	v_lshlrev_b64 v[2:3], 3, v[16:17]
	v_and_b32_e32 v18, 15, v0
	v_mov_b32_e32 v0, s19
	v_mov_b32_e32 v27, 0
	s_waitcnt lgkmcnt(0)
	v_mov_b32_e32 v1, s9
	v_add_co_u32_e32 v4, vcc, s8, v2
	v_addc_co_u32_e32 v5, vcc, v1, v3, vcc
	v_add_co_u32_e32 v1, vcc, 8, v4
	global_load_dwordx2 v[30:31], v[4:5], off
	v_addc_co_u32_e32 v4, vcc, 0, v5, vcc
	v_mov_b32_e32 v5, s11
	v_add_co_u32_e32 v2, vcc, s10, v2
	s_cmp_eq_u64 s[10:11], 0
	v_addc_co_u32_e32 v3, vcc, v5, v3, vcc
	s_cselect_b64 vcc, -1, 0
	v_cndmask_b32_e32 v3, v3, v4, vcc
	v_cndmask_b32_e32 v2, v2, v1, vcc
	global_load_dwordx2 v[2:3], v[2:3], off
	s_load_dwordx2 s[6:7], s[4:5], 0x48
	s_load_dword s0, s[4:5], 0x8
	v_mov_b32_e32 v4, s15
	s_waitcnt lgkmcnt(0)
	s_cmp_eq_u32 s0, 1
	s_waitcnt vmcnt(1)
	v_subrev_co_u32_e32 v1, vcc, s22, v30
	v_subb_co_u32_e32 v5, vcc, v31, v0, vcc
	v_add_co_u32_e32 v20, vcc, v1, v18
	v_addc_co_u32_e32 v21, vcc, 0, v5, vcc
	s_waitcnt vmcnt(0)
	v_subrev_co_u32_e32 v22, vcc, s22, v2
	v_subb_co_u32_e32 v23, vcc, v3, v0, vcc
	v_lshlrev_b64 v[0:1], 6, v[20:21]
	v_add_co_u32_e32 v24, vcc, s14, v0
	v_addc_co_u32_e32 v25, vcc, v4, v1, vcc
	v_cmp_lt_i64_e64 s[0:1], v[20:21], v[22:23]
	s_cbranch_scc1 .LBB42_27
; %bb.16:
	s_mov_b32 s2, 0
	v_mov_b32_e32 v26, 0
	v_mov_b32_e32 v29, 0
	;; [unrolled: 1-line block ×3, first 2 shown]
	s_and_saveexec_b64 s[8:9], s[0:1]
	s_cbranch_execz .LBB42_26
; %bb.17:
	v_or_b32_e32 v0, 16, v18
	v_mov_b32_e32 v1, s19
	v_subrev_co_u32_e32 v0, vcc, s22, v0
	v_subb_co_u32_e32 v1, vcc, 0, v1, vcc
	v_add_co_u32_e32 v0, vcc, v0, v30
	v_addc_co_u32_e32 v1, vcc, v1, v31, vcc
	v_cmp_gt_i64_e32 vcc, v[0:1], v[22:23]
	v_cndmask_b32_e32 v1, v23, v1, vcc
	v_cndmask_b32_e32 v0, v22, v0, vcc
	v_mov_b32_e32 v4, s19
	v_sub_co_u32_e32 v5, vcc, s22, v18
	v_not_b32_e32 v3, v30
	v_subbrev_co_u32_e32 v4, vcc, 0, v4, vcc
	v_not_b32_e32 v2, v31
	v_add_co_u32_e32 v3, vcc, v5, v3
	v_addc_co_u32_e32 v2, vcc, v4, v2, vcc
	v_add_co_u32_e32 v0, vcc, v3, v0
	v_addc_co_u32_e32 v1, vcc, v2, v1, vcc
	v_lshrrev_b32_e32 v2, 4, v0
	v_add_u32_e32 v2, 1, v2
	v_and_b32_e32 v2, 3, v2
	s_mov_b32 s3, s2
	v_cmp_ne_u32_e32 vcc, 0, v2
	v_pk_mov_b32 v[28:29], s[2:3], s[2:3] op_sel:[0,1]
	v_pk_mov_b32 v[26:27], s[2:3], s[2:3] op_sel:[0,1]
	;; [unrolled: 1-line block ×4, first 2 shown]
	s_and_saveexec_b64 s[10:11], vcc
	s_cbranch_execz .LBB42_21
; %bb.18:
	v_lshlrev_b64 v[4:5], 3, v[20:21]
	v_mov_b32_e32 v3, 0
	v_mov_b32_e32 v6, s13
	v_add_co_u32_e32 v4, vcc, s12, v4
	v_addc_co_u32_e32 v5, vcc, v6, v5, vcc
	v_lshlrev_b32_e32 v2, 3, v2
	s_mov_b64 s[14:15], 0
	v_mov_b32_e32 v6, s19
	v_mov_b32_e32 v7, s7
	s_movk_i32 s17, 0x400
	v_pk_mov_b32 v[34:35], v[24:25], v[24:25] op_sel:[0,1]
	v_pk_mov_b32 v[32:33], v[20:21], v[20:21] op_sel:[0,1]
	v_mov_b32_e32 v26, v3
	v_mov_b32_e32 v27, v3
	;; [unrolled: 1-line block ×4, first 2 shown]
.LBB42_19:                              ; =>This Inner Loop Header: Depth=1
	global_load_dwordx2 v[44:45], v[4:5], off
	global_load_dwordx4 v[8:11], v[34:35], off offset:16
	global_load_dwordx4 v[12:15], v[34:35], off
	global_load_dwordx4 v[36:39], v[34:35], off offset:48
	global_load_dwordx4 v[40:43], v[34:35], off offset:32
	v_add_co_u32_e64 v32, s[2:3], 16, v32
	v_addc_co_u32_e64 v33, s[2:3], 0, v33, s[2:3]
	v_add_co_u32_e64 v2, s[2:3], -8, v2
	v_addc_co_u32_e64 v3, s[2:3], -1, v3, s[2:3]
	v_cmp_eq_u64_e64 s[2:3], 0, v[2:3]
	s_or_b64 s[14:15], s[2:3], s[14:15]
	s_waitcnt vmcnt(4)
	v_subrev_co_u32_e32 v44, vcc, s22, v44
	v_subb_co_u32_e32 v45, vcc, v45, v6, vcc
	v_lshlrev_b64 v[44:45], 4, v[44:45]
	v_add_co_u32_e32 v44, vcc, s6, v44
	v_addc_co_u32_e32 v45, vcc, v7, v45, vcc
	global_load_dwordx4 v[44:47], v[44:45], off
	s_waitcnt vmcnt(3)
	v_mov_b32_e32 v48, v12
	v_mov_b32_e32 v49, v8
	;; [unrolled: 1-line block ×6, first 2 shown]
	s_waitcnt vmcnt(1)
	v_mov_b32_e32 v14, v40
	v_mov_b32_e32 v15, v36
	v_add_co_u32_e32 v34, vcc, s17, v34
	v_mov_b32_e32 v36, v41
	v_addc_co_u32_e32 v35, vcc, 0, v35, vcc
	v_mov_b32_e32 v40, v42
	v_mov_b32_e32 v41, v38
	v_add_co_u32_e32 v4, vcc, 0x80, v4
	v_mov_b32_e32 v38, v43
	v_addc_co_u32_e32 v5, vcc, 0, v5, vcc
	s_waitcnt vmcnt(0)
	v_pk_fma_f32 v[28:29], v[48:49], v[44:45], v[28:29] op_sel_hi:[1,0,1]
	v_pk_fma_f32 v[14:15], v[14:15], v[44:45], v[26:27] op_sel_hi:[1,0,1]
	v_pk_fma_f32 v[8:9], v[8:9], v[44:45], v[28:29] op_sel:[0,1,0]
	v_pk_fma_f32 v[14:15], v[36:37], v[44:45], v[14:15] op_sel:[0,1,0]
	v_mov_b32_e32 v42, v47
	v_pk_fma_f32 v[8:9], v[12:13], v[46:47], v[8:9] op_sel_hi:[1,0,1]
	v_pk_fma_f32 v[12:13], v[40:41], v[46:47], v[14:15] op_sel_hi:[1,0,1]
	;; [unrolled: 1-line block ×4, first 2 shown]
	s_andn2_b64 exec, exec, s[14:15]
	s_cbranch_execnz .LBB42_19
; %bb.20:
	s_or_b64 exec, exec, s[14:15]
.LBB42_21:
	s_or_b64 exec, exec, s[10:11]
	v_cmp_lt_u64_e32 vcc, 47, v[0:1]
	s_and_saveexec_b64 s[10:11], vcc
	s_cbranch_execz .LBB42_25
; %bb.22:
	v_lshlrev_b64 v[0:1], 3, v[32:33]
	v_mov_b32_e32 v2, s13
	v_add_co_u32_e32 v0, vcc, s12, v0
	v_addc_co_u32_e32 v1, vcc, v1, v2, vcc
	v_add_co_u32_e32 v36, vcc, 0x100, v0
	v_addc_co_u32_e32 v37, vcc, 0, v1, vcc
	s_mov_b64 s[14:15], 0
	v_mov_b32_e32 v19, s19
	v_mov_b32_e32 v42, s7
	s_movk_i32 s17, 0x1000
.LBB42_23:                              ; =>This Inner Loop Header: Depth=1
	global_load_dwordx4 v[44:47], v[34:35], off
	global_load_dwordx2 v[38:39], v[36:37], off offset:-256
	global_load_dwordx2 v[40:41], v[36:37], off offset:-128
	global_load_dwordx2 v[92:93], v[36:37], off
	global_load_dwordx2 v[94:95], v[36:37], off offset:128
	global_load_dwordx4 v[48:51], v[34:35], off offset:16
	global_load_dwordx4 v[52:55], v[34:35], off offset:48
	global_load_dwordx4 v[56:59], v[34:35], off offset:32
	global_load_dwordx4 v[12:15], v[34:35], off offset:1072
	global_load_dwordx4 v[60:63], v[34:35], off offset:1056
	global_load_dwordx4 v[64:67], v[34:35], off offset:1040
	global_load_dwordx4 v[68:71], v[34:35], off offset:1024
	global_load_dwordx4 v[0:3], v[34:35], off offset:2096
	global_load_dwordx4 v[72:75], v[34:35], off offset:2080
	global_load_dwordx4 v[8:11], v[34:35], off offset:2064
	global_load_dwordx4 v[76:79], v[34:35], off offset:2048
	global_load_dwordx4 v[4:7], v[34:35], off offset:3120
	global_load_dwordx4 v[80:83], v[34:35], off offset:3104
	global_load_dwordx4 v[84:87], v[34:35], off offset:3088
	global_load_dwordx4 v[88:91], v[34:35], off offset:3072
	v_add_co_u32_e32 v34, vcc, s17, v34
	s_mov_b64 s[2:3], vcc
	v_add_co_u32_e32 v32, vcc, 64, v32
	v_addc_co_u32_e32 v33, vcc, 0, v33, vcc
	v_add_co_u32_e32 v36, vcc, 0x200, v36
	v_addc_co_u32_e32 v37, vcc, 0, v37, vcc
	v_addc_co_u32_e64 v35, s[2:3], 0, v35, s[2:3]
	v_cmp_ge_i64_e64 s[2:3], v[32:33], v[22:23]
	s_or_b64 s[14:15], s[2:3], s[14:15]
	s_waitcnt vmcnt(19)
	v_mov_b32_e32 v104, v44
	s_waitcnt vmcnt(18)
	v_subrev_co_u32_e32 v38, vcc, s22, v38
	v_subb_co_u32_e32 v39, vcc, v39, v19, vcc
	s_waitcnt vmcnt(17)
	v_subrev_co_u32_e32 v40, vcc, s22, v40
	v_subb_co_u32_e32 v41, vcc, v41, v19, vcc
	;; [unrolled: 3-line block ×4, first 2 shown]
	v_lshlrev_b64 v[38:39], 4, v[38:39]
	v_add_co_u32_e32 v106, vcc, s6, v38
	v_lshlrev_b64 v[40:41], 4, v[40:41]
	v_addc_co_u32_e32 v107, vcc, v42, v39, vcc
	v_add_co_u32_e32 v108, vcc, s6, v40
	v_lshlrev_b64 v[92:93], 4, v[92:93]
	v_addc_co_u32_e32 v109, vcc, v42, v41, vcc
	;; [unrolled: 3-line block ×3, first 2 shown]
	v_add_co_u32_e32 v112, vcc, s6, v94
	v_addc_co_u32_e32 v113, vcc, v42, v95, vcc
	global_load_dwordx4 v[38:41], v[106:107], off
	global_load_dwordx4 v[92:95], v[108:109], off
	;; [unrolled: 1-line block ×4, first 2 shown]
	s_waitcnt vmcnt(18)
	v_mov_b32_e32 v105, v48
	s_waitcnt vmcnt(16)
	v_mov_b32_e32 v106, v56
	v_mov_b32_e32 v107, v52
	;; [unrolled: 1-line block ×10, first 2 shown]
	s_waitcnt vmcnt(8)
	v_mov_b32_e32 v58, v76
	v_mov_b32_e32 v76, v60
	;; [unrolled: 1-line block ×5, first 2 shown]
	s_waitcnt vmcnt(4)
	v_mov_b32_e32 v74, v88
	v_mov_b32_e32 v88, v80
	;; [unrolled: 1-line block ×31, first 2 shown]
	s_waitcnt vmcnt(3)
	v_pk_fma_f32 v[28:29], v[104:105], v[38:39], v[28:29] op_sel_hi:[1,0,1]
	v_pk_fma_f32 v[26:27], v[106:107], v[38:39], v[26:27] op_sel_hi:[1,0,1]
	v_pk_fma_f32 v[28:29], v[48:49], v[38:39], v[28:29] op_sel:[0,1,0]
	v_pk_fma_f32 v[26:27], v[52:53], v[38:39], v[26:27] op_sel:[0,1,0]
	v_mov_b32_e32 v82, v41
	v_pk_fma_f32 v[28:29], v[44:45], v[40:41], v[28:29] op_sel_hi:[1,0,1]
	v_pk_fma_f32 v[26:27], v[56:57], v[40:41], v[26:27] op_sel_hi:[1,0,1]
	v_pk_fma_f32 v[28:29], v[50:51], v[82:83], v[28:29] op_sel_hi:[1,0,1]
	v_pk_fma_f32 v[26:27], v[54:55], v[82:83], v[26:27] op_sel_hi:[1,0,1]
	s_waitcnt vmcnt(2)
	v_pk_fma_f32 v[28:29], v[46:47], v[92:93], v[28:29] op_sel_hi:[1,0,1]
	v_pk_fma_f32 v[26:27], v[76:77], v[92:93], v[26:27] op_sel_hi:[1,0,1]
	v_pk_fma_f32 v[28:29], v[64:65], v[92:93], v[28:29] op_sel:[0,1,0]
	v_pk_fma_f32 v[12:13], v[12:13], v[92:93], v[26:27] op_sel:[0,1,0]
	v_mov_b32_e32 v90, v95
	v_pk_fma_f32 v[26:27], v[68:69], v[94:95], v[28:29] op_sel_hi:[1,0,1]
	v_pk_fma_f32 v[12:13], v[60:61], v[94:95], v[12:13] op_sel_hi:[1,0,1]
	v_pk_fma_f32 v[26:27], v[66:67], v[90:91], v[26:27] op_sel_hi:[1,0,1]
	v_pk_fma_f32 v[12:13], v[14:15], v[90:91], v[12:13] op_sel_hi:[1,0,1]
	;; [unrolled: 10-line block ×4, first 2 shown]
	s_andn2_b64 exec, exec, s[14:15]
	s_cbranch_execnz .LBB42_23
; %bb.24:
	s_or_b64 exec, exec, s[14:15]
.LBB42_25:
	s_or_b64 exec, exec, s[10:11]
.LBB42_26:
	s_or_b64 exec, exec, s[8:9]
	s_cbranch_execz .LBB42_28
	s_branch .LBB42_39
.LBB42_27:
                                        ; implicit-def: $vgpr27
                                        ; implicit-def: $vgpr29
.LBB42_28:
	s_mov_b32 s8, 0
	v_mov_b32_e32 v27, 0
	v_mov_b32_e32 v26, 0
	;; [unrolled: 1-line block ×4, first 2 shown]
	s_and_saveexec_b64 s[2:3], s[0:1]
	s_cbranch_execz .LBB42_38
; %bb.29:
	v_or_b32_e32 v0, 16, v18
	v_mov_b32_e32 v1, s19
	v_subrev_co_u32_e32 v0, vcc, s22, v0
	v_subb_co_u32_e32 v1, vcc, 0, v1, vcc
	v_add_co_u32_e32 v0, vcc, v0, v30
	v_addc_co_u32_e32 v1, vcc, v1, v31, vcc
	v_cmp_gt_i64_e32 vcc, v[0:1], v[22:23]
	v_cndmask_b32_e32 v1, v23, v1, vcc
	v_cndmask_b32_e32 v0, v22, v0, vcc
	v_mov_b32_e32 v4, s19
	v_sub_co_u32_e32 v5, vcc, s22, v18
	v_not_b32_e32 v3, v30
	v_subbrev_co_u32_e32 v4, vcc, 0, v4, vcc
	v_not_b32_e32 v2, v31
	v_add_co_u32_e32 v3, vcc, v5, v3
	v_addc_co_u32_e32 v2, vcc, v4, v2, vcc
	v_add_co_u32_e32 v0, vcc, v3, v0
	v_addc_co_u32_e32 v1, vcc, v2, v1, vcc
	v_lshrrev_b32_e32 v2, 4, v0
	v_add_u32_e32 v2, 1, v2
	v_and_b32_e32 v2, 3, v2
	s_mov_b32 s9, s8
	v_cmp_ne_u32_e32 vcc, 0, v2
	v_pk_mov_b32 v[28:29], s[8:9], s[8:9] op_sel:[0,1]
	v_pk_mov_b32 v[26:27], s[8:9], s[8:9] op_sel:[0,1]
	s_and_saveexec_b64 s[8:9], vcc
	s_cbranch_execz .LBB42_33
; %bb.30:
	v_lshlrev_b64 v[4:5], 3, v[20:21]
	v_mov_b32_e32 v3, 0
	v_mov_b32_e32 v6, s13
	v_add_co_u32_e32 v4, vcc, s12, v4
	v_addc_co_u32_e32 v5, vcc, v6, v5, vcc
	v_lshlrev_b32_e32 v2, 3, v2
	s_mov_b64 s[10:11], 0
	v_mov_b32_e32 v6, s19
	v_mov_b32_e32 v7, s7
	s_movk_i32 s14, 0x400
	v_mov_b32_e32 v26, v3
	v_mov_b32_e32 v27, v3
	;; [unrolled: 1-line block ×4, first 2 shown]
.LBB42_31:                              ; =>This Inner Loop Header: Depth=1
	global_load_dwordx2 v[30:31], v[4:5], off
	global_load_dwordx4 v[8:11], v[24:25], off offset:16
	global_load_dwordx4 v[12:15], v[24:25], off
	v_add_co_u32_e64 v20, s[0:1], 16, v20
	v_addc_co_u32_e64 v21, s[0:1], 0, v21, s[0:1]
	v_add_co_u32_e64 v2, s[0:1], -8, v2
	v_addc_co_u32_e64 v3, s[0:1], -1, v3, s[0:1]
	v_cmp_eq_u64_e64 s[0:1], 0, v[2:3]
	s_or_b64 s[10:11], s[0:1], s[10:11]
	s_waitcnt vmcnt(2)
	v_subrev_co_u32_e32 v30, vcc, s22, v30
	v_subb_co_u32_e32 v31, vcc, v31, v6, vcc
	v_lshlrev_b64 v[30:31], 4, v[30:31]
	v_add_co_u32_e32 v42, vcc, s6, v30
	v_addc_co_u32_e32 v43, vcc, v7, v31, vcc
	global_load_dwordx4 v[30:33], v[42:43], off
	global_load_dwordx4 v[34:37], v[24:25], off offset:32
	global_load_dwordx4 v[38:41], v[24:25], off offset:48
	v_add_co_u32_e32 v24, vcc, s14, v24
	v_addc_co_u32_e32 v25, vcc, 0, v25, vcc
	v_add_co_u32_e32 v4, vcc, 0x80, v4
	v_addc_co_u32_e32 v5, vcc, 0, v5, vcc
	s_waitcnt vmcnt(2)
	v_pk_fma_f32 v[12:13], v[12:13], v[30:31], v[28:29] op_sel_hi:[1,0,1]
	v_pk_fma_f32 v[14:15], v[14:15], v[30:31], v[26:27] op_sel_hi:[1,0,1]
	v_pk_fma_f32 v[8:9], v[8:9], v[30:31], v[12:13] op_sel:[0,1,0]
	v_pk_fma_f32 v[10:11], v[10:11], v[30:31], v[14:15] op_sel:[0,1,0]
	v_mov_b32_e32 v26, v33
	s_waitcnt vmcnt(1)
	v_pk_fma_f32 v[8:9], v[34:35], v[32:33], v[8:9] op_sel_hi:[1,0,1]
	v_pk_fma_f32 v[10:11], v[36:37], v[32:33], v[10:11] op_sel_hi:[1,0,1]
	s_waitcnt vmcnt(0)
	v_pk_fma_f32 v[28:29], v[38:39], v[26:27], v[8:9] op_sel_hi:[1,0,1]
	v_pk_fma_f32 v[26:27], v[40:41], v[26:27], v[10:11] op_sel_hi:[1,0,1]
	s_andn2_b64 exec, exec, s[10:11]
	s_cbranch_execnz .LBB42_31
; %bb.32:
	s_or_b64 exec, exec, s[10:11]
.LBB42_33:
	s_or_b64 exec, exec, s[8:9]
	v_cmp_lt_u64_e32 vcc, 47, v[0:1]
	s_and_saveexec_b64 s[8:9], vcc
	s_cbranch_execz .LBB42_37
; %bb.34:
	v_lshlrev_b64 v[0:1], 3, v[20:21]
	v_mov_b32_e32 v2, s13
	v_add_co_u32_e32 v0, vcc, s12, v0
	v_addc_co_u32_e32 v1, vcc, v1, v2, vcc
	v_add_co_u32_e32 v0, vcc, 0x100, v0
	v_addc_co_u32_e32 v1, vcc, 0, v1, vcc
	s_mov_b64 s[10:11], 0
	v_mov_b32_e32 v2, s19
	v_mov_b32_e32 v3, s7
	s_movk_i32 s7, 0x1000
.LBB42_35:                              ; =>This Inner Loop Header: Depth=1
	global_load_dwordx2 v[74:75], v[0:1], off offset:-256
	global_load_dwordx2 v[76:77], v[0:1], off offset:-128
	global_load_dwordx2 v[78:79], v[0:1], off
	global_load_dwordx2 v[80:81], v[0:1], off offset:128
	global_load_dwordx4 v[4:7], v[24:25], off offset:48
	global_load_dwordx4 v[8:11], v[24:25], off offset:32
	;; [unrolled: 1-line block ×3, first 2 shown]
	global_load_dwordx4 v[30:33], v[24:25], off
	global_load_dwordx4 v[34:37], v[24:25], off offset:1072
	global_load_dwordx4 v[38:41], v[24:25], off offset:1056
	;; [unrolled: 1-line block ×10, first 2 shown]
	v_add_co_u32_e64 v20, s[0:1], 64, v20
	v_addc_co_u32_e64 v21, s[0:1], 0, v21, s[0:1]
	v_cmp_ge_i64_e64 s[0:1], v[20:21], v[22:23]
	s_or_b64 s[10:11], s[0:1], s[10:11]
	s_waitcnt vmcnt(17)
	v_subrev_co_u32_e32 v74, vcc, s22, v74
	v_subb_co_u32_e32 v75, vcc, v75, v2, vcc
	s_waitcnt vmcnt(16)
	v_subrev_co_u32_e32 v76, vcc, s22, v76
	v_subb_co_u32_e32 v77, vcc, v77, v2, vcc
	;; [unrolled: 3-line block ×4, first 2 shown]
	v_lshlrev_b64 v[74:75], 4, v[74:75]
	v_add_co_u32_e32 v98, vcc, s6, v74
	v_lshlrev_b64 v[76:77], 4, v[76:77]
	v_addc_co_u32_e32 v99, vcc, v3, v75, vcc
	v_add_co_u32_e32 v100, vcc, s6, v76
	v_lshlrev_b64 v[78:79], 4, v[78:79]
	v_addc_co_u32_e32 v101, vcc, v3, v77, vcc
	;; [unrolled: 3-line block ×3, first 2 shown]
	v_add_co_u32_e32 v104, vcc, s6, v80
	v_addc_co_u32_e32 v105, vcc, v3, v81, vcc
	global_load_dwordx4 v[74:77], v[98:99], off
	global_load_dwordx4 v[78:81], v[100:101], off
	;; [unrolled: 1-line block ×4, first 2 shown]
	global_load_dwordx4 v[90:93], v[24:25], off offset:3104
	global_load_dwordx4 v[94:97], v[24:25], off offset:3120
	v_add_co_u32_e32 v24, vcc, s7, v24
	v_addc_co_u32_e32 v25, vcc, 0, v25, vcc
	v_add_co_u32_e32 v0, vcc, 0x200, v0
	v_addc_co_u32_e32 v1, vcc, 0, v1, vcc
	s_waitcnt vmcnt(5)
	v_pk_fma_f32 v[28:29], v[30:31], v[74:75], v[28:29] op_sel_hi:[1,0,1]
	v_pk_fma_f32 v[26:27], v[32:33], v[74:75], v[26:27] op_sel_hi:[1,0,1]
	v_pk_fma_f32 v[12:13], v[12:13], v[74:75], v[28:29] op_sel:[0,1,0]
	v_pk_fma_f32 v[14:15], v[14:15], v[74:75], v[26:27] op_sel:[0,1,0]
	v_mov_b32_e32 v30, v77
	v_pk_fma_f32 v[8:9], v[8:9], v[76:77], v[12:13] op_sel_hi:[1,0,1]
	v_pk_fma_f32 v[10:11], v[10:11], v[76:77], v[14:15] op_sel_hi:[1,0,1]
	v_pk_fma_f32 v[4:5], v[4:5], v[30:31], v[8:9] op_sel_hi:[1,0,1]
	v_pk_fma_f32 v[6:7], v[6:7], v[30:31], v[10:11] op_sel_hi:[1,0,1]
	s_waitcnt vmcnt(4)
	v_pk_fma_f32 v[4:5], v[46:47], v[78:79], v[4:5] op_sel_hi:[1,0,1]
	v_pk_fma_f32 v[6:7], v[48:49], v[78:79], v[6:7] op_sel_hi:[1,0,1]
	v_pk_fma_f32 v[4:5], v[42:43], v[78:79], v[4:5] op_sel:[0,1,0]
	v_pk_fma_f32 v[6:7], v[44:45], v[78:79], v[6:7] op_sel:[0,1,0]
	v_mov_b32_e32 v32, v81
	v_pk_fma_f32 v[4:5], v[38:39], v[80:81], v[4:5] op_sel_hi:[1,0,1]
	v_pk_fma_f32 v[6:7], v[40:41], v[80:81], v[6:7] op_sel_hi:[1,0,1]
	v_pk_fma_f32 v[4:5], v[34:35], v[32:33], v[4:5] op_sel_hi:[1,0,1]
	v_pk_fma_f32 v[6:7], v[36:37], v[32:33], v[6:7] op_sel_hi:[1,0,1]
	;; [unrolled: 10-line block ×3, first 2 shown]
	s_waitcnt vmcnt(2)
	v_pk_fma_f32 v[4:5], v[70:71], v[86:87], v[4:5] op_sel_hi:[1,0,1]
	v_pk_fma_f32 v[6:7], v[72:73], v[86:87], v[6:7] op_sel_hi:[1,0,1]
	v_pk_fma_f32 v[4:5], v[66:67], v[86:87], v[4:5] op_sel:[0,1,0]
	v_pk_fma_f32 v[6:7], v[68:69], v[86:87], v[6:7] op_sel:[0,1,0]
	v_mov_b32_e32 v100, v89
	s_waitcnt vmcnt(1)
	v_pk_fma_f32 v[4:5], v[90:91], v[88:89], v[4:5] op_sel_hi:[1,0,1]
	v_pk_fma_f32 v[6:7], v[92:93], v[88:89], v[6:7] op_sel_hi:[1,0,1]
	s_waitcnt vmcnt(0)
	v_pk_fma_f32 v[28:29], v[94:95], v[100:101], v[4:5] op_sel_hi:[1,0,1]
	v_pk_fma_f32 v[26:27], v[96:97], v[100:101], v[6:7] op_sel_hi:[1,0,1]
	s_andn2_b64 exec, exec, s[10:11]
	s_cbranch_execnz .LBB42_35
; %bb.36:
	s_or_b64 exec, exec, s[10:11]
.LBB42_37:
	s_or_b64 exec, exec, s[8:9]
.LBB42_38:
	s_or_b64 exec, exec, s[2:3]
.LBB42_39:
	v_mov_b32_dpp v0, v28 row_shr:1 row_mask:0xf bank_mask:0xf
	v_mov_b32_dpp v1, v29 row_shr:1 row_mask:0xf bank_mask:0xf
	v_mov_b32_dpp v4, v26 row_shr:1 row_mask:0xf bank_mask:0xf
	v_mov_b32_dpp v5, v27 row_shr:1 row_mask:0xf bank_mask:0xf
	v_pk_add_f32 v[0:1], v[28:29], v[0:1]
	v_pk_add_f32 v[4:5], v[26:27], v[4:5]
	v_cmp_eq_u32_e32 vcc, 15, v18
	v_mov_b32_dpp v2, v0 row_shr:2 row_mask:0xf bank_mask:0xf
	v_mov_b32_dpp v3, v1 row_shr:2 row_mask:0xf bank_mask:0xf
	;; [unrolled: 1-line block ×4, first 2 shown]
	v_pk_add_f32 v[0:1], v[0:1], v[2:3]
	v_pk_add_f32 v[4:5], v[4:5], v[6:7]
	s_nop 0
	v_mov_b32_dpp v2, v0 row_shr:4 row_mask:0xf bank_mask:0xe
	v_mov_b32_dpp v3, v1 row_shr:4 row_mask:0xf bank_mask:0xe
	;; [unrolled: 1-line block ×4, first 2 shown]
	v_pk_add_f32 v[0:1], v[0:1], v[2:3]
	v_pk_add_f32 v[4:5], v[4:5], v[6:7]
	s_nop 0
	v_mov_b32_dpp v2, v0 row_shr:8 row_mask:0xf bank_mask:0xc
	v_mov_b32_dpp v3, v1 row_shr:8 row_mask:0xf bank_mask:0xc
	;; [unrolled: 1-line block ×4, first 2 shown]
	s_and_b64 exec, exec, vcc
	s_cbranch_execz .LBB42_10
; %bb.40:
	s_load_dwordx2 s[0:1], s[4:5], 0x58
	v_cmp_eq_f32_e64 s[2:3], s20, 0
	v_pk_add_f32 v[2:3], v[0:1], v[2:3]
	v_pk_add_f32 v[0:1], v[4:5], v[6:7]
	s_and_b64 vcc, exec, s[2:3]
	v_lshlrev_b64 v[4:5], 4, v[16:17]
	s_cbranch_vccz .LBB42_42
; %bb.41:
	s_waitcnt lgkmcnt(0)
	v_mov_b32_e32 v6, s1
	v_add_co_u32_e32 v10, vcc, s0, v4
	v_addc_co_u32_e32 v11, vcc, v6, v5, vcc
	v_pk_mul_f32 v[6:7], s[16:17], v[2:3] op_sel_hi:[0,1]
	v_pk_mul_f32 v[8:9], s[16:17], v[0:1] op_sel_hi:[0,1]
	global_store_dwordx4 v[10:11], v[6:9], off
	s_cbranch_execnz .LBB42_10
	s_branch .LBB42_43
.LBB42_42:
.LBB42_43:
	s_waitcnt lgkmcnt(0)
	v_mov_b32_e32 v6, s1
	v_add_co_u32_e32 v8, vcc, s0, v4
	v_addc_co_u32_e32 v9, vcc, v6, v5, vcc
	global_load_dwordx4 v[4:7], v[8:9], off
	v_pk_mul_f32 v[2:3], s[16:17], v[2:3] op_sel_hi:[0,1]
	v_pk_mul_f32 v[10:11], s[16:17], v[0:1] op_sel_hi:[0,1]
	s_waitcnt vmcnt(0)
	v_pk_fma_f32 v[0:1], s[20:21], v[4:5], v[2:3] op_sel_hi:[0,1,1]
	v_pk_fma_f32 v[2:3], s[20:21], v[6:7], v[10:11] op_sel_hi:[0,1,1]
	global_store_dwordx4 v[8:9], v[0:3], off
	s_endpgm
	.section	.rodata,"a",@progbits
	.p2align	6, 0x0
	.amdhsa_kernel _ZN9rocsparseL18bsrxmvn_4x4_kernelILj128ELj16EfllfffEEvT3_20rocsparse_direction_NS_24const_host_device_scalarIT1_EES1_PKS1_PKT2_SA_S7_PKT4_PKT5_S5_PT6_21rocsparse_index_base_b
		.amdhsa_group_segment_fixed_size 0
		.amdhsa_private_segment_fixed_size 0
		.amdhsa_kernarg_size 104
		.amdhsa_user_sgpr_count 6
		.amdhsa_user_sgpr_private_segment_buffer 1
		.amdhsa_user_sgpr_dispatch_ptr 0
		.amdhsa_user_sgpr_queue_ptr 0
		.amdhsa_user_sgpr_kernarg_segment_ptr 1
		.amdhsa_user_sgpr_dispatch_id 0
		.amdhsa_user_sgpr_flat_scratch_init 0
		.amdhsa_user_sgpr_kernarg_preload_length 0
		.amdhsa_user_sgpr_kernarg_preload_offset 0
		.amdhsa_user_sgpr_private_segment_size 0
		.amdhsa_uses_dynamic_stack 0
		.amdhsa_system_sgpr_private_segment_wavefront_offset 0
		.amdhsa_system_sgpr_workgroup_id_x 1
		.amdhsa_system_sgpr_workgroup_id_y 0
		.amdhsa_system_sgpr_workgroup_id_z 0
		.amdhsa_system_sgpr_workgroup_info 0
		.amdhsa_system_vgpr_workitem_id 0
		.amdhsa_next_free_vgpr 114
		.amdhsa_next_free_sgpr 24
		.amdhsa_accum_offset 116
		.amdhsa_reserve_vcc 1
		.amdhsa_reserve_flat_scratch 0
		.amdhsa_float_round_mode_32 0
		.amdhsa_float_round_mode_16_64 0
		.amdhsa_float_denorm_mode_32 3
		.amdhsa_float_denorm_mode_16_64 3
		.amdhsa_dx10_clamp 1
		.amdhsa_ieee_mode 1
		.amdhsa_fp16_overflow 0
		.amdhsa_tg_split 0
		.amdhsa_exception_fp_ieee_invalid_op 0
		.amdhsa_exception_fp_denorm_src 0
		.amdhsa_exception_fp_ieee_div_zero 0
		.amdhsa_exception_fp_ieee_overflow 0
		.amdhsa_exception_fp_ieee_underflow 0
		.amdhsa_exception_fp_ieee_inexact 0
		.amdhsa_exception_int_div_zero 0
	.end_amdhsa_kernel
	.section	.text._ZN9rocsparseL18bsrxmvn_4x4_kernelILj128ELj16EfllfffEEvT3_20rocsparse_direction_NS_24const_host_device_scalarIT1_EES1_PKS1_PKT2_SA_S7_PKT4_PKT5_S5_PT6_21rocsparse_index_base_b,"axG",@progbits,_ZN9rocsparseL18bsrxmvn_4x4_kernelILj128ELj16EfllfffEEvT3_20rocsparse_direction_NS_24const_host_device_scalarIT1_EES1_PKS1_PKT2_SA_S7_PKT4_PKT5_S5_PT6_21rocsparse_index_base_b,comdat
.Lfunc_end42:
	.size	_ZN9rocsparseL18bsrxmvn_4x4_kernelILj128ELj16EfllfffEEvT3_20rocsparse_direction_NS_24const_host_device_scalarIT1_EES1_PKS1_PKT2_SA_S7_PKT4_PKT5_S5_PT6_21rocsparse_index_base_b, .Lfunc_end42-_ZN9rocsparseL18bsrxmvn_4x4_kernelILj128ELj16EfllfffEEvT3_20rocsparse_direction_NS_24const_host_device_scalarIT1_EES1_PKS1_PKT2_SA_S7_PKT4_PKT5_S5_PT6_21rocsparse_index_base_b
                                        ; -- End function
	.section	.AMDGPU.csdata,"",@progbits
; Kernel info:
; codeLenInByte = 3448
; NumSgprs: 28
; NumVgprs: 114
; NumAgprs: 0
; TotalNumVgprs: 114
; ScratchSize: 0
; MemoryBound: 1
; FloatMode: 240
; IeeeMode: 1
; LDSByteSize: 0 bytes/workgroup (compile time only)
; SGPRBlocks: 3
; VGPRBlocks: 14
; NumSGPRsForWavesPerEU: 28
; NumVGPRsForWavesPerEU: 114
; AccumOffset: 116
; Occupancy: 4
; WaveLimiterHint : 1
; COMPUTE_PGM_RSRC2:SCRATCH_EN: 0
; COMPUTE_PGM_RSRC2:USER_SGPR: 6
; COMPUTE_PGM_RSRC2:TRAP_HANDLER: 0
; COMPUTE_PGM_RSRC2:TGID_X_EN: 1
; COMPUTE_PGM_RSRC2:TGID_Y_EN: 0
; COMPUTE_PGM_RSRC2:TGID_Z_EN: 0
; COMPUTE_PGM_RSRC2:TIDIG_COMP_CNT: 0
; COMPUTE_PGM_RSRC3_GFX90A:ACCUM_OFFSET: 28
; COMPUTE_PGM_RSRC3_GFX90A:TG_SPLIT: 0
	.section	.text._ZN9rocsparseL18bsrxmvn_4x4_kernelILj128ELj32EfllfffEEvT3_20rocsparse_direction_NS_24const_host_device_scalarIT1_EES1_PKS1_PKT2_SA_S7_PKT4_PKT5_S5_PT6_21rocsparse_index_base_b,"axG",@progbits,_ZN9rocsparseL18bsrxmvn_4x4_kernelILj128ELj32EfllfffEEvT3_20rocsparse_direction_NS_24const_host_device_scalarIT1_EES1_PKS1_PKT2_SA_S7_PKT4_PKT5_S5_PT6_21rocsparse_index_base_b,comdat
	.globl	_ZN9rocsparseL18bsrxmvn_4x4_kernelILj128ELj32EfllfffEEvT3_20rocsparse_direction_NS_24const_host_device_scalarIT1_EES1_PKS1_PKT2_SA_S7_PKT4_PKT5_S5_PT6_21rocsparse_index_base_b ; -- Begin function _ZN9rocsparseL18bsrxmvn_4x4_kernelILj128ELj32EfllfffEEvT3_20rocsparse_direction_NS_24const_host_device_scalarIT1_EES1_PKS1_PKT2_SA_S7_PKT4_PKT5_S5_PT6_21rocsparse_index_base_b
	.p2align	8
	.type	_ZN9rocsparseL18bsrxmvn_4x4_kernelILj128ELj32EfllfffEEvT3_20rocsparse_direction_NS_24const_host_device_scalarIT1_EES1_PKS1_PKT2_SA_S7_PKT4_PKT5_S5_PT6_21rocsparse_index_base_b,@function
_ZN9rocsparseL18bsrxmvn_4x4_kernelILj128ELj32EfllfffEEvT3_20rocsparse_direction_NS_24const_host_device_scalarIT1_EES1_PKS1_PKT2_SA_S7_PKT4_PKT5_S5_PT6_21rocsparse_index_base_b: ; @_ZN9rocsparseL18bsrxmvn_4x4_kernelILj128ELj32EfllfffEEvT3_20rocsparse_direction_NS_24const_host_device_scalarIT1_EES1_PKS1_PKT2_SA_S7_PKT4_PKT5_S5_PT6_21rocsparse_index_base_b
; %bb.0:
	s_load_dwordx2 s[22:23], s[4:5], 0x60
	s_load_dwordx4 s[16:19], s[4:5], 0x10
	s_load_dwordx2 s[20:21], s[4:5], 0x50
	s_waitcnt lgkmcnt(0)
	s_bitcmp1_b32 s23, 0
	s_cselect_b64 s[2:3], -1, 0
	s_xor_b64 s[0:1], s[2:3], -1
	s_and_b64 vcc, exec, s[2:3]
	s_cbranch_vccnz .LBB43_2
; %bb.1:
	s_load_dword s16, s[16:17], 0x0
.LBB43_2:
	s_andn2_b64 vcc, exec, s[0:1]
	s_cbranch_vccnz .LBB43_4
; %bb.3:
	s_load_dword s20, s[20:21], 0x0
.LBB43_4:
	s_waitcnt lgkmcnt(0)
	v_cmp_neq_f32_e64 s[0:1], s16, 0
	v_cmp_neq_f32_e64 s[2:3], s20, 1.0
	s_or_b64 s[0:1], s[0:1], s[2:3]
	s_andn2_b64 vcc, exec, s[0:1]
	s_cbranch_vccnz .LBB43_10
; %bb.5:
	s_load_dwordx2 s[2:3], s[4:5], 0x20
	v_lshrrev_b32_e32 v1, 5, v0
	v_lshl_or_b32 v2, s6, 2, v1
	v_mov_b32_e32 v3, 0
	s_mov_b64 s[0:1], 0
	s_waitcnt lgkmcnt(0)
	s_cmp_lg_u64 s[2:3], 0
	s_cbranch_scc0 .LBB43_11
; %bb.6:
	v_cmp_gt_i64_e32 vcc, s[18:19], v[2:3]
                                        ; implicit-def: $vgpr16_vgpr17
	s_and_saveexec_b64 s[6:7], vcc
	s_xor_b64 s[6:7], exec, s[6:7]
                                        ; implicit-def: $sgpr18_sgpr19
	s_cbranch_execz .LBB43_8
; %bb.7:
	v_lshlrev_b64 v[4:5], 3, v[2:3]
	v_mov_b32_e32 v1, s3
	v_add_co_u32_e32 v4, vcc, s2, v4
	v_addc_co_u32_e32 v5, vcc, v1, v5, vcc
	global_load_dwordx2 v[4:5], v[4:5], off
	s_mov_b64 s[0:1], exec
	s_mov_b32 s19, 0
	s_waitcnt vmcnt(0)
	v_subrev_co_u32_e32 v16, vcc, s22, v4
	v_subbrev_co_u32_e32 v17, vcc, 0, v5, vcc
.LBB43_8:
	s_or_b64 exec, exec, s[6:7]
.LBB43_9:
	s_and_saveexec_b64 s[2:3], s[0:1]
	s_cbranch_execnz .LBB43_15
.LBB43_10:
	s_endpgm
.LBB43_11:
                                        ; implicit-def: $vgpr16_vgpr17
                                        ; implicit-def: $sgpr18_sgpr19
	s_cbranch_execz .LBB43_9
; %bb.12:
	s_load_dwordx2 s[2:3], s[4:5], 0x0
                                        ; implicit-def: $vgpr16_vgpr17
	s_waitcnt lgkmcnt(0)
	v_cmp_gt_i64_e32 vcc, s[2:3], v[2:3]
	s_and_saveexec_b64 s[2:3], vcc
                                        ; implicit-def: $sgpr18_sgpr19
; %bb.13:
	s_mov_b32 s19, 0
	s_or_b64 s[0:1], s[0:1], exec
	v_pk_mov_b32 v[16:17], v[2:3], v[2:3] op_sel:[0,1]
; %bb.14:
	s_or_b64 exec, exec, s[2:3]
	s_and_saveexec_b64 s[2:3], s[0:1]
	s_cbranch_execz .LBB43_10
.LBB43_15:
	s_load_dwordx8 s[8:15], s[4:5], 0x28
	v_lshlrev_b64 v[2:3], 3, v[16:17]
	v_and_b32_e32 v18, 31, v0
	v_mov_b32_e32 v0, s19
	v_mov_b32_e32 v27, 0
	s_waitcnt lgkmcnt(0)
	v_mov_b32_e32 v1, s9
	v_add_co_u32_e32 v4, vcc, s8, v2
	v_addc_co_u32_e32 v5, vcc, v1, v3, vcc
	v_add_co_u32_e32 v1, vcc, 8, v4
	global_load_dwordx2 v[30:31], v[4:5], off
	v_addc_co_u32_e32 v4, vcc, 0, v5, vcc
	v_mov_b32_e32 v5, s11
	v_add_co_u32_e32 v2, vcc, s10, v2
	s_cmp_eq_u64 s[10:11], 0
	v_addc_co_u32_e32 v3, vcc, v5, v3, vcc
	s_cselect_b64 vcc, -1, 0
	v_cndmask_b32_e32 v3, v3, v4, vcc
	v_cndmask_b32_e32 v2, v2, v1, vcc
	global_load_dwordx2 v[2:3], v[2:3], off
	s_load_dwordx2 s[8:9], s[4:5], 0x48
	s_load_dword s0, s[4:5], 0x8
	v_mov_b32_e32 v4, s15
	s_waitcnt lgkmcnt(0)
	s_cmp_eq_u32 s0, 1
	s_waitcnt vmcnt(1)
	v_subrev_co_u32_e32 v1, vcc, s22, v30
	v_subb_co_u32_e32 v5, vcc, v31, v0, vcc
	v_add_co_u32_e32 v20, vcc, v1, v18
	v_addc_co_u32_e32 v21, vcc, 0, v5, vcc
	s_waitcnt vmcnt(0)
	v_subrev_co_u32_e32 v22, vcc, s22, v2
	v_subb_co_u32_e32 v23, vcc, v3, v0, vcc
	v_lshlrev_b64 v[0:1], 6, v[20:21]
	v_add_co_u32_e32 v24, vcc, s14, v0
	v_addc_co_u32_e32 v25, vcc, v4, v1, vcc
	v_cmp_lt_i64_e64 s[0:1], v[20:21], v[22:23]
	s_cbranch_scc1 .LBB43_27
; %bb.16:
	s_mov_b32 s2, 0
	v_mov_b32_e32 v26, 0
	v_mov_b32_e32 v29, 0
	;; [unrolled: 1-line block ×3, first 2 shown]
	s_and_saveexec_b64 s[10:11], s[0:1]
	s_cbranch_execz .LBB43_26
; %bb.17:
	v_or_b32_e32 v0, 32, v18
	v_mov_b32_e32 v1, s19
	v_subrev_co_u32_e32 v0, vcc, s22, v0
	v_subb_co_u32_e32 v1, vcc, 0, v1, vcc
	v_add_co_u32_e32 v0, vcc, v0, v30
	v_addc_co_u32_e32 v1, vcc, v1, v31, vcc
	v_cmp_gt_i64_e32 vcc, v[0:1], v[22:23]
	v_cndmask_b32_e32 v1, v23, v1, vcc
	v_cndmask_b32_e32 v0, v22, v0, vcc
	v_mov_b32_e32 v4, s19
	v_sub_co_u32_e32 v5, vcc, s22, v18
	v_not_b32_e32 v3, v30
	v_subbrev_co_u32_e32 v4, vcc, 0, v4, vcc
	v_not_b32_e32 v2, v31
	v_add_co_u32_e32 v3, vcc, v5, v3
	v_addc_co_u32_e32 v2, vcc, v4, v2, vcc
	v_add_co_u32_e32 v0, vcc, v3, v0
	v_addc_co_u32_e32 v1, vcc, v2, v1, vcc
	v_lshrrev_b32_e32 v2, 5, v0
	v_add_u32_e32 v2, 1, v2
	v_and_b32_e32 v2, 3, v2
	s_mov_b32 s3, s2
	v_cmp_ne_u32_e32 vcc, 0, v2
	v_pk_mov_b32 v[28:29], s[2:3], s[2:3] op_sel:[0,1]
	v_pk_mov_b32 v[26:27], s[2:3], s[2:3] op_sel:[0,1]
	;; [unrolled: 1-line block ×4, first 2 shown]
	s_and_saveexec_b64 s[6:7], vcc
	s_cbranch_execz .LBB43_21
; %bb.18:
	v_lshlrev_b64 v[4:5], 3, v[20:21]
	v_mov_b32_e32 v3, 0
	v_mov_b32_e32 v6, s13
	v_add_co_u32_e32 v4, vcc, s12, v4
	v_addc_co_u32_e32 v5, vcc, v6, v5, vcc
	v_lshlrev_b32_e32 v2, 3, v2
	s_mov_b64 s[14:15], 0
	v_mov_b32_e32 v6, s19
	v_mov_b32_e32 v7, s9
	s_movk_i32 s17, 0x800
	v_pk_mov_b32 v[34:35], v[24:25], v[24:25] op_sel:[0,1]
	v_pk_mov_b32 v[32:33], v[20:21], v[20:21] op_sel:[0,1]
	v_mov_b32_e32 v26, v3
	v_mov_b32_e32 v27, v3
	;; [unrolled: 1-line block ×4, first 2 shown]
.LBB43_19:                              ; =>This Inner Loop Header: Depth=1
	global_load_dwordx2 v[44:45], v[4:5], off
	global_load_dwordx4 v[8:11], v[34:35], off offset:16
	global_load_dwordx4 v[12:15], v[34:35], off
	global_load_dwordx4 v[36:39], v[34:35], off offset:48
	global_load_dwordx4 v[40:43], v[34:35], off offset:32
	v_add_co_u32_e64 v32, s[2:3], 32, v32
	v_addc_co_u32_e64 v33, s[2:3], 0, v33, s[2:3]
	v_add_co_u32_e64 v2, s[2:3], -8, v2
	v_addc_co_u32_e64 v3, s[2:3], -1, v3, s[2:3]
	v_cmp_eq_u64_e64 s[2:3], 0, v[2:3]
	s_or_b64 s[14:15], s[2:3], s[14:15]
	s_waitcnt vmcnt(4)
	v_subrev_co_u32_e32 v44, vcc, s22, v44
	v_subb_co_u32_e32 v45, vcc, v45, v6, vcc
	v_lshlrev_b64 v[44:45], 4, v[44:45]
	v_add_co_u32_e32 v44, vcc, s8, v44
	v_addc_co_u32_e32 v45, vcc, v7, v45, vcc
	global_load_dwordx4 v[44:47], v[44:45], off
	s_waitcnt vmcnt(3)
	v_mov_b32_e32 v48, v12
	v_mov_b32_e32 v49, v8
	;; [unrolled: 1-line block ×6, first 2 shown]
	s_waitcnt vmcnt(1)
	v_mov_b32_e32 v14, v40
	v_mov_b32_e32 v15, v36
	v_add_co_u32_e32 v34, vcc, s17, v34
	v_mov_b32_e32 v36, v41
	v_addc_co_u32_e32 v35, vcc, 0, v35, vcc
	v_mov_b32_e32 v40, v42
	v_mov_b32_e32 v41, v38
	v_add_co_u32_e32 v4, vcc, 0x100, v4
	v_mov_b32_e32 v38, v43
	v_addc_co_u32_e32 v5, vcc, 0, v5, vcc
	s_waitcnt vmcnt(0)
	v_pk_fma_f32 v[28:29], v[48:49], v[44:45], v[28:29] op_sel_hi:[1,0,1]
	v_pk_fma_f32 v[14:15], v[14:15], v[44:45], v[26:27] op_sel_hi:[1,0,1]
	v_pk_fma_f32 v[8:9], v[8:9], v[44:45], v[28:29] op_sel:[0,1,0]
	v_pk_fma_f32 v[14:15], v[36:37], v[44:45], v[14:15] op_sel:[0,1,0]
	v_mov_b32_e32 v42, v47
	v_pk_fma_f32 v[8:9], v[12:13], v[46:47], v[8:9] op_sel_hi:[1,0,1]
	v_pk_fma_f32 v[12:13], v[40:41], v[46:47], v[14:15] op_sel_hi:[1,0,1]
	v_pk_fma_f32 v[28:29], v[10:11], v[42:43], v[8:9] op_sel_hi:[1,0,1]
	v_pk_fma_f32 v[26:27], v[38:39], v[42:43], v[12:13] op_sel_hi:[1,0,1]
	s_andn2_b64 exec, exec, s[14:15]
	s_cbranch_execnz .LBB43_19
; %bb.20:
	s_or_b64 exec, exec, s[14:15]
.LBB43_21:
	s_or_b64 exec, exec, s[6:7]
	s_mov_b64 s[2:3], 0x5f
	v_cmp_lt_u64_e32 vcc, s[2:3], v[0:1]
	s_and_saveexec_b64 s[14:15], vcc
	s_cbranch_execz .LBB43_25
; %bb.22:
	v_lshlrev_b64 v[0:1], 3, v[32:33]
	v_mov_b32_e32 v2, s13
	v_add_co_u32_e32 v0, vcc, s12, v0
	v_addc_co_u32_e32 v1, vcc, v1, v2, vcc
	v_add_co_u32_e32 v36, vcc, 0x200, v0
	v_addc_co_u32_e32 v37, vcc, 0, v1, vcc
	s_mov_b64 s[24:25], 0
	v_mov_b32_e32 v19, s19
	v_mov_b32_e32 v42, s9
	s_movk_i32 s17, 0x1000
.LBB43_23:                              ; =>This Inner Loop Header: Depth=1
	global_load_dwordx4 v[44:47], v[34:35], off
	global_load_dwordx2 v[38:39], v[36:37], off offset:-512
	global_load_dwordx2 v[40:41], v[36:37], off offset:-256
	global_load_dwordx2 v[92:93], v[36:37], off
	global_load_dwordx2 v[94:95], v[36:37], off offset:256
	global_load_dwordx4 v[12:15], v[34:35], off offset:16
	global_load_dwordx4 v[8:11], v[34:35], off offset:48
	;; [unrolled: 1-line block ×7, first 2 shown]
	v_add_co_u32_e32 v32, vcc, 0x80, v32
	s_mov_b64 s[2:3], vcc
	v_add_co_u32_e32 v96, vcc, s17, v34
	v_addc_co_u32_e32 v97, vcc, 0, v35, vcc
	v_add_co_u32_e32 v36, vcc, 0x400, v36
	s_mov_b64 s[6:7], vcc
	v_addc_co_u32_e64 v33, vcc, 0, v33, s[2:3]
	v_add_co_u32_e32 v34, vcc, 0x2000, v34
	v_addc_co_u32_e32 v35, vcc, 0, v35, vcc
	global_load_dwordx4 v[60:63], v[96:97], off offset:48
	global_load_dwordx4 v[64:67], v[96:97], off offset:32
	global_load_dwordx4 v[68:71], v[96:97], off
	global_load_dwordx4 v[72:75], v[96:97], off offset:16
	global_load_dwordx4 v[76:79], v[96:97], off offset:2096
	global_load_dwordx4 v[80:83], v[96:97], off offset:2080
	global_load_dwordx4 v[84:87], v[96:97], off offset:2064
	global_load_dwordx4 v[88:91], v[96:97], off offset:2048
	v_addc_co_u32_e64 v37, s[2:3], 0, v37, s[6:7]
	v_cmp_ge_i64_e64 s[2:3], v[32:33], v[22:23]
	s_or_b64 s[24:25], s[2:3], s[24:25]
	s_waitcnt vmcnt(19)
	v_mov_b32_e32 v104, v44
	s_waitcnt vmcnt(18)
	v_subrev_co_u32_e32 v38, vcc, s22, v38
	v_subb_co_u32_e32 v39, vcc, v39, v19, vcc
	s_waitcnt vmcnt(17)
	v_subrev_co_u32_e32 v40, vcc, s22, v40
	v_subb_co_u32_e32 v41, vcc, v41, v19, vcc
	;; [unrolled: 3-line block ×4, first 2 shown]
	v_lshlrev_b64 v[38:39], 4, v[38:39]
	v_add_co_u32_e32 v106, vcc, s8, v38
	v_lshlrev_b64 v[40:41], 4, v[40:41]
	v_addc_co_u32_e32 v107, vcc, v42, v39, vcc
	v_add_co_u32_e32 v108, vcc, s8, v40
	v_lshlrev_b64 v[92:93], 4, v[92:93]
	v_addc_co_u32_e32 v109, vcc, v42, v41, vcc
	;; [unrolled: 3-line block ×3, first 2 shown]
	v_add_co_u32_e32 v112, vcc, s8, v94
	v_addc_co_u32_e32 v113, vcc, v42, v95, vcc
	global_load_dwordx4 v[38:41], v[106:107], off
	global_load_dwordx4 v[92:95], v[108:109], off
	;; [unrolled: 1-line block ×4, first 2 shown]
	s_waitcnt vmcnt(18)
	v_mov_b32_e32 v105, v12
	v_mov_b32_e32 v12, v45
	s_waitcnt vmcnt(16)
	v_mov_b32_e32 v44, v48
	v_mov_b32_e32 v45, v8
	;; [unrolled: 1-line block ×6, first 2 shown]
	s_waitcnt vmcnt(12)
	v_mov_b32_e32 v46, v56
	v_mov_b32_e32 v47, v4
	;; [unrolled: 1-line block ×15, first 2 shown]
	s_waitcnt vmcnt(9)
	v_mov_b32_e32 v54, v68
	v_mov_b32_e32 v68, v70
	s_waitcnt vmcnt(4)
	v_mov_b32_e32 v70, v88
	v_mov_b32_e32 v88, v90
	;; [unrolled: 1-line block ×22, first 2 shown]
	s_waitcnt vmcnt(3)
	v_pk_fma_f32 v[28:29], v[104:105], v[38:39], v[28:29] op_sel_hi:[1,0,1]
	v_pk_fma_f32 v[26:27], v[44:45], v[38:39], v[26:27] op_sel_hi:[1,0,1]
	v_pk_fma_f32 v[12:13], v[12:13], v[38:39], v[28:29] op_sel:[0,1,0]
	v_pk_fma_f32 v[8:9], v[8:9], v[38:39], v[26:27] op_sel:[0,1,0]
	v_mov_b32_e32 v44, v41
	v_pk_fma_f32 v[12:13], v[48:49], v[40:41], v[12:13] op_sel_hi:[1,0,1]
	v_pk_fma_f32 v[8:9], v[58:59], v[40:41], v[8:9] op_sel_hi:[1,0,1]
	v_pk_fma_f32 v[12:13], v[14:15], v[44:45], v[12:13] op_sel_hi:[1,0,1]
	v_pk_fma_f32 v[8:9], v[10:11], v[44:45], v[8:9] op_sel_hi:[1,0,1]
	s_waitcnt vmcnt(2)
	v_pk_fma_f32 v[10:11], v[46:47], v[92:93], v[12:13] op_sel_hi:[1,0,1]
	v_pk_fma_f32 v[8:9], v[50:51], v[92:93], v[8:9] op_sel_hi:[1,0,1]
	v_pk_fma_f32 v[4:5], v[4:5], v[92:93], v[10:11] op_sel:[0,1,0]
	v_pk_fma_f32 v[0:1], v[0:1], v[92:93], v[8:9] op_sel:[0,1,0]
	v_mov_b32_e32 v82, v95
	v_pk_fma_f32 v[4:5], v[56:57], v[94:95], v[4:5] op_sel_hi:[1,0,1]
	v_pk_fma_f32 v[0:1], v[52:53], v[94:95], v[0:1] op_sel_hi:[1,0,1]
	v_pk_fma_f32 v[4:5], v[6:7], v[82:83], v[4:5] op_sel_hi:[1,0,1]
	v_pk_fma_f32 v[0:1], v[2:3], v[82:83], v[0:1] op_sel_hi:[1,0,1]
	;; [unrolled: 10-line block ×4, first 2 shown]
	s_andn2_b64 exec, exec, s[24:25]
	s_cbranch_execnz .LBB43_23
; %bb.24:
	s_or_b64 exec, exec, s[24:25]
.LBB43_25:
	s_or_b64 exec, exec, s[14:15]
.LBB43_26:
	s_or_b64 exec, exec, s[10:11]
	s_cbranch_execz .LBB43_28
	s_branch .LBB43_39
.LBB43_27:
                                        ; implicit-def: $vgpr27
                                        ; implicit-def: $vgpr29
.LBB43_28:
	s_mov_b32 s6, 0
	v_mov_b32_e32 v27, 0
	v_mov_b32_e32 v26, 0
	v_mov_b32_e32 v29, 0
	v_mov_b32_e32 v28, 0
	s_and_saveexec_b64 s[2:3], s[0:1]
	s_cbranch_execz .LBB43_38
; %bb.29:
	v_or_b32_e32 v0, 32, v18
	v_mov_b32_e32 v1, s19
	v_subrev_co_u32_e32 v0, vcc, s22, v0
	v_subb_co_u32_e32 v1, vcc, 0, v1, vcc
	v_add_co_u32_e32 v0, vcc, v0, v30
	v_addc_co_u32_e32 v1, vcc, v1, v31, vcc
	v_cmp_gt_i64_e32 vcc, v[0:1], v[22:23]
	v_cndmask_b32_e32 v1, v23, v1, vcc
	v_cndmask_b32_e32 v0, v22, v0, vcc
	v_mov_b32_e32 v4, s19
	v_sub_co_u32_e32 v5, vcc, s22, v18
	v_not_b32_e32 v3, v30
	v_subbrev_co_u32_e32 v4, vcc, 0, v4, vcc
	v_not_b32_e32 v2, v31
	v_add_co_u32_e32 v3, vcc, v5, v3
	v_addc_co_u32_e32 v2, vcc, v4, v2, vcc
	v_add_co_u32_e32 v0, vcc, v3, v0
	v_addc_co_u32_e32 v1, vcc, v2, v1, vcc
	v_lshrrev_b32_e32 v2, 5, v0
	v_add_u32_e32 v2, 1, v2
	v_and_b32_e32 v2, 3, v2
	s_mov_b32 s7, s6
	v_cmp_ne_u32_e32 vcc, 0, v2
	v_pk_mov_b32 v[28:29], s[6:7], s[6:7] op_sel:[0,1]
	v_pk_mov_b32 v[26:27], s[6:7], s[6:7] op_sel:[0,1]
	s_and_saveexec_b64 s[6:7], vcc
	s_cbranch_execz .LBB43_33
; %bb.30:
	v_lshlrev_b64 v[4:5], 3, v[20:21]
	v_mov_b32_e32 v3, 0
	v_mov_b32_e32 v6, s13
	v_add_co_u32_e32 v4, vcc, s12, v4
	v_addc_co_u32_e32 v5, vcc, v6, v5, vcc
	v_lshlrev_b32_e32 v2, 3, v2
	s_mov_b64 s[10:11], 0
	v_mov_b32_e32 v6, s19
	v_mov_b32_e32 v7, s9
	s_movk_i32 s14, 0x800
	v_mov_b32_e32 v26, v3
	v_mov_b32_e32 v27, v3
	;; [unrolled: 1-line block ×4, first 2 shown]
.LBB43_31:                              ; =>This Inner Loop Header: Depth=1
	global_load_dwordx2 v[30:31], v[4:5], off
	global_load_dwordx4 v[8:11], v[24:25], off offset:16
	global_load_dwordx4 v[12:15], v[24:25], off
	v_add_co_u32_e64 v20, s[0:1], 32, v20
	v_addc_co_u32_e64 v21, s[0:1], 0, v21, s[0:1]
	v_add_co_u32_e64 v2, s[0:1], -8, v2
	v_addc_co_u32_e64 v3, s[0:1], -1, v3, s[0:1]
	v_cmp_eq_u64_e64 s[0:1], 0, v[2:3]
	s_or_b64 s[10:11], s[0:1], s[10:11]
	s_waitcnt vmcnt(2)
	v_subrev_co_u32_e32 v30, vcc, s22, v30
	v_subb_co_u32_e32 v31, vcc, v31, v6, vcc
	v_lshlrev_b64 v[30:31], 4, v[30:31]
	v_add_co_u32_e32 v42, vcc, s8, v30
	v_addc_co_u32_e32 v43, vcc, v7, v31, vcc
	global_load_dwordx4 v[30:33], v[42:43], off
	global_load_dwordx4 v[34:37], v[24:25], off offset:32
	global_load_dwordx4 v[38:41], v[24:25], off offset:48
	v_add_co_u32_e32 v24, vcc, s14, v24
	v_addc_co_u32_e32 v25, vcc, 0, v25, vcc
	v_add_co_u32_e32 v4, vcc, 0x100, v4
	v_addc_co_u32_e32 v5, vcc, 0, v5, vcc
	s_waitcnt vmcnt(2)
	v_pk_fma_f32 v[12:13], v[12:13], v[30:31], v[28:29] op_sel_hi:[1,0,1]
	v_pk_fma_f32 v[14:15], v[14:15], v[30:31], v[26:27] op_sel_hi:[1,0,1]
	v_pk_fma_f32 v[8:9], v[8:9], v[30:31], v[12:13] op_sel:[0,1,0]
	v_pk_fma_f32 v[10:11], v[10:11], v[30:31], v[14:15] op_sel:[0,1,0]
	v_mov_b32_e32 v26, v33
	s_waitcnt vmcnt(1)
	v_pk_fma_f32 v[8:9], v[34:35], v[32:33], v[8:9] op_sel_hi:[1,0,1]
	v_pk_fma_f32 v[10:11], v[36:37], v[32:33], v[10:11] op_sel_hi:[1,0,1]
	s_waitcnt vmcnt(0)
	v_pk_fma_f32 v[28:29], v[38:39], v[26:27], v[8:9] op_sel_hi:[1,0,1]
	v_pk_fma_f32 v[26:27], v[40:41], v[26:27], v[10:11] op_sel_hi:[1,0,1]
	s_andn2_b64 exec, exec, s[10:11]
	s_cbranch_execnz .LBB43_31
; %bb.32:
	s_or_b64 exec, exec, s[10:11]
.LBB43_33:
	s_or_b64 exec, exec, s[6:7]
	s_mov_b64 s[0:1], 0x5f
	v_cmp_lt_u64_e32 vcc, s[0:1], v[0:1]
	s_and_saveexec_b64 s[6:7], vcc
	s_cbranch_execz .LBB43_37
; %bb.34:
	v_lshlrev_b64 v[0:1], 3, v[20:21]
	v_mov_b32_e32 v2, s13
	v_add_co_u32_e32 v0, vcc, s12, v0
	v_addc_co_u32_e32 v1, vcc, v1, v2, vcc
	v_add_co_u32_e32 v0, vcc, 0x200, v0
	v_addc_co_u32_e32 v1, vcc, 0, v1, vcc
	s_mov_b64 s[10:11], 0
	v_mov_b32_e32 v2, s19
	v_mov_b32_e32 v3, s9
	s_movk_i32 s9, 0x1000
.LBB43_35:                              ; =>This Inner Loop Header: Depth=1
	global_load_dwordx2 v[74:75], v[0:1], off offset:-512
	global_load_dwordx2 v[76:77], v[0:1], off offset:-256
	global_load_dwordx2 v[78:79], v[0:1], off
	global_load_dwordx2 v[80:81], v[0:1], off offset:256
	global_load_dwordx4 v[4:7], v[24:25], off offset:48
	global_load_dwordx4 v[8:11], v[24:25], off offset:32
	;; [unrolled: 1-line block ×3, first 2 shown]
	global_load_dwordx4 v[30:33], v[24:25], off
	global_load_dwordx4 v[34:37], v[24:25], off offset:2096
	global_load_dwordx4 v[38:41], v[24:25], off offset:2080
	;; [unrolled: 1-line block ×4, first 2 shown]
	v_add_co_u32_e32 v98, vcc, s9, v24
	v_addc_co_u32_e32 v99, vcc, 0, v25, vcc
	global_load_dwordx4 v[50:53], v[98:99], off offset:48
	global_load_dwordx4 v[54:57], v[98:99], off offset:32
	global_load_dwordx4 v[58:61], v[98:99], off
	global_load_dwordx4 v[62:65], v[98:99], off offset:16
	global_load_dwordx4 v[66:69], v[98:99], off offset:2064
	;; [unrolled: 1-line block ×3, first 2 shown]
	s_waitcnt vmcnt(17)
	v_subrev_co_u32_e32 v74, vcc, s22, v74
	v_subb_co_u32_e32 v75, vcc, v75, v2, vcc
	s_waitcnt vmcnt(16)
	v_subrev_co_u32_e32 v76, vcc, s22, v76
	v_subb_co_u32_e32 v77, vcc, v77, v2, vcc
	;; [unrolled: 3-line block ×4, first 2 shown]
	v_lshlrev_b64 v[74:75], 4, v[74:75]
	v_add_co_u32_e32 v100, vcc, s8, v74
	v_lshlrev_b64 v[76:77], 4, v[76:77]
	v_addc_co_u32_e32 v101, vcc, v3, v75, vcc
	v_add_co_u32_e32 v102, vcc, s8, v76
	v_lshlrev_b64 v[78:79], 4, v[78:79]
	v_addc_co_u32_e32 v103, vcc, v3, v77, vcc
	;; [unrolled: 3-line block ×3, first 2 shown]
	v_add_co_u32_e32 v106, vcc, s8, v80
	v_addc_co_u32_e32 v107, vcc, v3, v81, vcc
	global_load_dwordx4 v[74:77], v[100:101], off
	global_load_dwordx4 v[78:81], v[102:103], off
	;; [unrolled: 1-line block ×4, first 2 shown]
	global_load_dwordx4 v[90:93], v[98:99], off offset:2080
	global_load_dwordx4 v[94:97], v[98:99], off offset:2096
	v_add_co_u32_e32 v20, vcc, 0x80, v20
	v_addc_co_u32_e32 v21, vcc, 0, v21, vcc
	v_add_co_u32_e32 v0, vcc, 0x400, v0
	v_addc_co_u32_e32 v1, vcc, 0, v1, vcc
	v_cmp_ge_i64_e64 s[0:1], v[20:21], v[22:23]
	v_add_co_u32_e32 v24, vcc, 0x2000, v24
	v_addc_co_u32_e32 v25, vcc, 0, v25, vcc
	s_or_b64 s[10:11], s[0:1], s[10:11]
	s_waitcnt vmcnt(5)
	v_pk_fma_f32 v[28:29], v[30:31], v[74:75], v[28:29] op_sel_hi:[1,0,1]
	v_pk_fma_f32 v[26:27], v[32:33], v[74:75], v[26:27] op_sel_hi:[1,0,1]
	v_pk_fma_f32 v[12:13], v[12:13], v[74:75], v[28:29] op_sel:[0,1,0]
	v_pk_fma_f32 v[14:15], v[14:15], v[74:75], v[26:27] op_sel:[0,1,0]
	v_mov_b32_e32 v30, v77
	v_pk_fma_f32 v[8:9], v[8:9], v[76:77], v[12:13] op_sel_hi:[1,0,1]
	v_pk_fma_f32 v[10:11], v[10:11], v[76:77], v[14:15] op_sel_hi:[1,0,1]
	v_pk_fma_f32 v[4:5], v[4:5], v[30:31], v[8:9] op_sel_hi:[1,0,1]
	v_pk_fma_f32 v[6:7], v[6:7], v[30:31], v[10:11] op_sel_hi:[1,0,1]
	s_waitcnt vmcnt(4)
	v_pk_fma_f32 v[4:5], v[46:47], v[78:79], v[4:5] op_sel_hi:[1,0,1]
	v_pk_fma_f32 v[6:7], v[48:49], v[78:79], v[6:7] op_sel_hi:[1,0,1]
	v_pk_fma_f32 v[4:5], v[42:43], v[78:79], v[4:5] op_sel:[0,1,0]
	v_pk_fma_f32 v[6:7], v[44:45], v[78:79], v[6:7] op_sel:[0,1,0]
	v_mov_b32_e32 v32, v81
	v_pk_fma_f32 v[4:5], v[38:39], v[80:81], v[4:5] op_sel_hi:[1,0,1]
	v_pk_fma_f32 v[6:7], v[40:41], v[80:81], v[6:7] op_sel_hi:[1,0,1]
	v_pk_fma_f32 v[4:5], v[34:35], v[32:33], v[4:5] op_sel_hi:[1,0,1]
	v_pk_fma_f32 v[6:7], v[36:37], v[32:33], v[6:7] op_sel_hi:[1,0,1]
	;; [unrolled: 10-line block ×3, first 2 shown]
	s_waitcnt vmcnt(2)
	v_pk_fma_f32 v[4:5], v[70:71], v[86:87], v[4:5] op_sel_hi:[1,0,1]
	v_pk_fma_f32 v[6:7], v[72:73], v[86:87], v[6:7] op_sel_hi:[1,0,1]
	v_pk_fma_f32 v[4:5], v[66:67], v[86:87], v[4:5] op_sel:[0,1,0]
	v_pk_fma_f32 v[6:7], v[68:69], v[86:87], v[6:7] op_sel:[0,1,0]
	v_mov_b32_e32 v100, v89
	s_waitcnt vmcnt(1)
	v_pk_fma_f32 v[4:5], v[90:91], v[88:89], v[4:5] op_sel_hi:[1,0,1]
	v_pk_fma_f32 v[6:7], v[92:93], v[88:89], v[6:7] op_sel_hi:[1,0,1]
	s_waitcnt vmcnt(0)
	v_pk_fma_f32 v[28:29], v[94:95], v[100:101], v[4:5] op_sel_hi:[1,0,1]
	v_pk_fma_f32 v[26:27], v[96:97], v[100:101], v[6:7] op_sel_hi:[1,0,1]
	s_andn2_b64 exec, exec, s[10:11]
	s_cbranch_execnz .LBB43_35
; %bb.36:
	s_or_b64 exec, exec, s[10:11]
.LBB43_37:
	s_or_b64 exec, exec, s[6:7]
.LBB43_38:
	s_or_b64 exec, exec, s[2:3]
.LBB43_39:
	v_mov_b32_dpp v0, v28 row_shr:1 row_mask:0xf bank_mask:0xf
	v_mov_b32_dpp v1, v29 row_shr:1 row_mask:0xf bank_mask:0xf
	;; [unrolled: 1-line block ×4, first 2 shown]
	v_pk_add_f32 v[0:1], v[28:29], v[0:1]
	v_pk_add_f32 v[4:5], v[26:27], v[4:5]
	v_cmp_eq_u32_e32 vcc, 31, v18
	v_mov_b32_dpp v2, v0 row_shr:2 row_mask:0xf bank_mask:0xf
	v_mov_b32_dpp v3, v1 row_shr:2 row_mask:0xf bank_mask:0xf
	v_mov_b32_dpp v6, v4 row_shr:2 row_mask:0xf bank_mask:0xf
	v_mov_b32_dpp v7, v5 row_shr:2 row_mask:0xf bank_mask:0xf
	v_pk_add_f32 v[0:1], v[0:1], v[2:3]
	v_pk_add_f32 v[4:5], v[4:5], v[6:7]
	s_nop 0
	v_mov_b32_dpp v2, v0 row_shr:4 row_mask:0xf bank_mask:0xe
	v_mov_b32_dpp v3, v1 row_shr:4 row_mask:0xf bank_mask:0xe
	v_mov_b32_dpp v6, v4 row_shr:4 row_mask:0xf bank_mask:0xe
	v_mov_b32_dpp v7, v5 row_shr:4 row_mask:0xf bank_mask:0xe
	v_pk_add_f32 v[0:1], v[0:1], v[2:3]
	v_pk_add_f32 v[4:5], v[4:5], v[6:7]
	s_nop 0
	;; [unrolled: 7-line block ×3, first 2 shown]
	v_mov_b32_dpp v2, v0 row_bcast:15 row_mask:0xa bank_mask:0xf
	v_mov_b32_dpp v3, v1 row_bcast:15 row_mask:0xa bank_mask:0xf
	;; [unrolled: 1-line block ×4, first 2 shown]
	s_and_b64 exec, exec, vcc
	s_cbranch_execz .LBB43_10
; %bb.40:
	s_load_dwordx2 s[0:1], s[4:5], 0x58
	v_cmp_eq_f32_e64 s[2:3], s20, 0
	v_pk_add_f32 v[2:3], v[0:1], v[2:3]
	v_pk_add_f32 v[0:1], v[4:5], v[6:7]
	s_and_b64 vcc, exec, s[2:3]
	v_lshlrev_b64 v[4:5], 4, v[16:17]
	s_cbranch_vccz .LBB43_42
; %bb.41:
	s_waitcnt lgkmcnt(0)
	v_mov_b32_e32 v6, s1
	v_add_co_u32_e32 v10, vcc, s0, v4
	v_addc_co_u32_e32 v11, vcc, v6, v5, vcc
	v_pk_mul_f32 v[6:7], s[16:17], v[2:3] op_sel_hi:[0,1]
	v_pk_mul_f32 v[8:9], s[16:17], v[0:1] op_sel_hi:[0,1]
	global_store_dwordx4 v[10:11], v[6:9], off
	s_cbranch_execnz .LBB43_10
	s_branch .LBB43_43
.LBB43_42:
.LBB43_43:
	s_waitcnt lgkmcnt(0)
	v_mov_b32_e32 v6, s1
	v_add_co_u32_e32 v8, vcc, s0, v4
	v_addc_co_u32_e32 v9, vcc, v6, v5, vcc
	global_load_dwordx4 v[4:7], v[8:9], off
	v_pk_mul_f32 v[2:3], s[16:17], v[2:3] op_sel_hi:[0,1]
	v_pk_mul_f32 v[10:11], s[16:17], v[0:1] op_sel_hi:[0,1]
	s_waitcnt vmcnt(0)
	v_pk_fma_f32 v[0:1], s[20:21], v[4:5], v[2:3] op_sel_hi:[0,1,1]
	v_pk_fma_f32 v[2:3], s[20:21], v[6:7], v[10:11] op_sel_hi:[0,1,1]
	global_store_dwordx4 v[8:9], v[0:3], off
	s_endpgm
	.section	.rodata,"a",@progbits
	.p2align	6, 0x0
	.amdhsa_kernel _ZN9rocsparseL18bsrxmvn_4x4_kernelILj128ELj32EfllfffEEvT3_20rocsparse_direction_NS_24const_host_device_scalarIT1_EES1_PKS1_PKT2_SA_S7_PKT4_PKT5_S5_PT6_21rocsparse_index_base_b
		.amdhsa_group_segment_fixed_size 0
		.amdhsa_private_segment_fixed_size 0
		.amdhsa_kernarg_size 104
		.amdhsa_user_sgpr_count 6
		.amdhsa_user_sgpr_private_segment_buffer 1
		.amdhsa_user_sgpr_dispatch_ptr 0
		.amdhsa_user_sgpr_queue_ptr 0
		.amdhsa_user_sgpr_kernarg_segment_ptr 1
		.amdhsa_user_sgpr_dispatch_id 0
		.amdhsa_user_sgpr_flat_scratch_init 0
		.amdhsa_user_sgpr_kernarg_preload_length 0
		.amdhsa_user_sgpr_kernarg_preload_offset 0
		.amdhsa_user_sgpr_private_segment_size 0
		.amdhsa_uses_dynamic_stack 0
		.amdhsa_system_sgpr_private_segment_wavefront_offset 0
		.amdhsa_system_sgpr_workgroup_id_x 1
		.amdhsa_system_sgpr_workgroup_id_y 0
		.amdhsa_system_sgpr_workgroup_id_z 0
		.amdhsa_system_sgpr_workgroup_info 0
		.amdhsa_system_vgpr_workitem_id 0
		.amdhsa_next_free_vgpr 114
		.amdhsa_next_free_sgpr 26
		.amdhsa_accum_offset 116
		.amdhsa_reserve_vcc 1
		.amdhsa_reserve_flat_scratch 0
		.amdhsa_float_round_mode_32 0
		.amdhsa_float_round_mode_16_64 0
		.amdhsa_float_denorm_mode_32 3
		.amdhsa_float_denorm_mode_16_64 3
		.amdhsa_dx10_clamp 1
		.amdhsa_ieee_mode 1
		.amdhsa_fp16_overflow 0
		.amdhsa_tg_split 0
		.amdhsa_exception_fp_ieee_invalid_op 0
		.amdhsa_exception_fp_denorm_src 0
		.amdhsa_exception_fp_ieee_div_zero 0
		.amdhsa_exception_fp_ieee_overflow 0
		.amdhsa_exception_fp_ieee_underflow 0
		.amdhsa_exception_fp_ieee_inexact 0
		.amdhsa_exception_int_div_zero 0
	.end_amdhsa_kernel
	.section	.text._ZN9rocsparseL18bsrxmvn_4x4_kernelILj128ELj32EfllfffEEvT3_20rocsparse_direction_NS_24const_host_device_scalarIT1_EES1_PKS1_PKT2_SA_S7_PKT4_PKT5_S5_PT6_21rocsparse_index_base_b,"axG",@progbits,_ZN9rocsparseL18bsrxmvn_4x4_kernelILj128ELj32EfllfffEEvT3_20rocsparse_direction_NS_24const_host_device_scalarIT1_EES1_PKS1_PKT2_SA_S7_PKT4_PKT5_S5_PT6_21rocsparse_index_base_b,comdat
.Lfunc_end43:
	.size	_ZN9rocsparseL18bsrxmvn_4x4_kernelILj128ELj32EfllfffEEvT3_20rocsparse_direction_NS_24const_host_device_scalarIT1_EES1_PKS1_PKT2_SA_S7_PKT4_PKT5_S5_PT6_21rocsparse_index_base_b, .Lfunc_end43-_ZN9rocsparseL18bsrxmvn_4x4_kernelILj128ELj32EfllfffEEvT3_20rocsparse_direction_NS_24const_host_device_scalarIT1_EES1_PKS1_PKT2_SA_S7_PKT4_PKT5_S5_PT6_21rocsparse_index_base_b
                                        ; -- End function
	.section	.AMDGPU.csdata,"",@progbits
; Kernel info:
; codeLenInByte = 3552
; NumSgprs: 30
; NumVgprs: 114
; NumAgprs: 0
; TotalNumVgprs: 114
; ScratchSize: 0
; MemoryBound: 1
; FloatMode: 240
; IeeeMode: 1
; LDSByteSize: 0 bytes/workgroup (compile time only)
; SGPRBlocks: 3
; VGPRBlocks: 14
; NumSGPRsForWavesPerEU: 30
; NumVGPRsForWavesPerEU: 114
; AccumOffset: 116
; Occupancy: 4
; WaveLimiterHint : 1
; COMPUTE_PGM_RSRC2:SCRATCH_EN: 0
; COMPUTE_PGM_RSRC2:USER_SGPR: 6
; COMPUTE_PGM_RSRC2:TRAP_HANDLER: 0
; COMPUTE_PGM_RSRC2:TGID_X_EN: 1
; COMPUTE_PGM_RSRC2:TGID_Y_EN: 0
; COMPUTE_PGM_RSRC2:TGID_Z_EN: 0
; COMPUTE_PGM_RSRC2:TIDIG_COMP_CNT: 0
; COMPUTE_PGM_RSRC3_GFX90A:ACCUM_OFFSET: 28
; COMPUTE_PGM_RSRC3_GFX90A:TG_SPLIT: 0
	.section	.text._ZN9rocsparseL18bsrxmvn_4x4_kernelILj128ELj64EfllfffEEvT3_20rocsparse_direction_NS_24const_host_device_scalarIT1_EES1_PKS1_PKT2_SA_S7_PKT4_PKT5_S5_PT6_21rocsparse_index_base_b,"axG",@progbits,_ZN9rocsparseL18bsrxmvn_4x4_kernelILj128ELj64EfllfffEEvT3_20rocsparse_direction_NS_24const_host_device_scalarIT1_EES1_PKS1_PKT2_SA_S7_PKT4_PKT5_S5_PT6_21rocsparse_index_base_b,comdat
	.globl	_ZN9rocsparseL18bsrxmvn_4x4_kernelILj128ELj64EfllfffEEvT3_20rocsparse_direction_NS_24const_host_device_scalarIT1_EES1_PKS1_PKT2_SA_S7_PKT4_PKT5_S5_PT6_21rocsparse_index_base_b ; -- Begin function _ZN9rocsparseL18bsrxmvn_4x4_kernelILj128ELj64EfllfffEEvT3_20rocsparse_direction_NS_24const_host_device_scalarIT1_EES1_PKS1_PKT2_SA_S7_PKT4_PKT5_S5_PT6_21rocsparse_index_base_b
	.p2align	8
	.type	_ZN9rocsparseL18bsrxmvn_4x4_kernelILj128ELj64EfllfffEEvT3_20rocsparse_direction_NS_24const_host_device_scalarIT1_EES1_PKS1_PKT2_SA_S7_PKT4_PKT5_S5_PT6_21rocsparse_index_base_b,@function
_ZN9rocsparseL18bsrxmvn_4x4_kernelILj128ELj64EfllfffEEvT3_20rocsparse_direction_NS_24const_host_device_scalarIT1_EES1_PKS1_PKT2_SA_S7_PKT4_PKT5_S5_PT6_21rocsparse_index_base_b: ; @_ZN9rocsparseL18bsrxmvn_4x4_kernelILj128ELj64EfllfffEEvT3_20rocsparse_direction_NS_24const_host_device_scalarIT1_EES1_PKS1_PKT2_SA_S7_PKT4_PKT5_S5_PT6_21rocsparse_index_base_b
; %bb.0:
	s_load_dwordx2 s[22:23], s[4:5], 0x60
	s_load_dwordx4 s[16:19], s[4:5], 0x10
	s_load_dwordx2 s[20:21], s[4:5], 0x50
	s_waitcnt lgkmcnt(0)
	s_bitcmp1_b32 s23, 0
	s_cselect_b64 s[2:3], -1, 0
	s_xor_b64 s[0:1], s[2:3], -1
	s_and_b64 vcc, exec, s[2:3]
	s_cbranch_vccnz .LBB44_2
; %bb.1:
	s_load_dword s16, s[16:17], 0x0
.LBB44_2:
	s_andn2_b64 vcc, exec, s[0:1]
	s_cbranch_vccnz .LBB44_4
; %bb.3:
	s_load_dword s20, s[20:21], 0x0
.LBB44_4:
	s_waitcnt lgkmcnt(0)
	v_cmp_neq_f32_e64 s[0:1], s16, 0
	v_cmp_neq_f32_e64 s[2:3], s20, 1.0
	s_or_b64 s[0:1], s[0:1], s[2:3]
	s_andn2_b64 vcc, exec, s[0:1]
	s_cbranch_vccnz .LBB44_10
; %bb.5:
	s_load_dwordx2 s[2:3], s[4:5], 0x20
	v_lshrrev_b32_e32 v1, 6, v0
	v_lshl_or_b32 v2, s6, 1, v1
	v_mov_b32_e32 v3, 0
	s_mov_b64 s[0:1], 0
	s_waitcnt lgkmcnt(0)
	s_cmp_lg_u64 s[2:3], 0
	s_cbranch_scc0 .LBB44_11
; %bb.6:
	v_cmp_gt_i64_e32 vcc, s[18:19], v[2:3]
                                        ; implicit-def: $vgpr8_vgpr9
	s_and_saveexec_b64 s[6:7], vcc
	s_xor_b64 s[6:7], exec, s[6:7]
                                        ; implicit-def: $sgpr18_sgpr19
	s_cbranch_execz .LBB44_8
; %bb.7:
	v_lshlrev_b64 v[4:5], 3, v[2:3]
	v_mov_b32_e32 v1, s3
	v_add_co_u32_e32 v4, vcc, s2, v4
	v_addc_co_u32_e32 v5, vcc, v1, v5, vcc
	global_load_dwordx2 v[4:5], v[4:5], off
	s_mov_b64 s[0:1], exec
	s_mov_b32 s19, 0
	s_waitcnt vmcnt(0)
	v_subrev_co_u32_e32 v8, vcc, s22, v4
	v_subbrev_co_u32_e32 v9, vcc, 0, v5, vcc
.LBB44_8:
	s_or_b64 exec, exec, s[6:7]
.LBB44_9:
	s_and_saveexec_b64 s[2:3], s[0:1]
	s_cbranch_execnz .LBB44_15
.LBB44_10:
	s_endpgm
.LBB44_11:
                                        ; implicit-def: $vgpr8_vgpr9
                                        ; implicit-def: $sgpr18_sgpr19
	s_cbranch_execz .LBB44_9
; %bb.12:
	s_load_dwordx2 s[2:3], s[4:5], 0x0
                                        ; implicit-def: $vgpr8_vgpr9
	s_waitcnt lgkmcnt(0)
	v_cmp_gt_i64_e32 vcc, s[2:3], v[2:3]
	s_and_saveexec_b64 s[2:3], vcc
                                        ; implicit-def: $sgpr18_sgpr19
; %bb.13:
	s_mov_b32 s19, 0
	s_or_b64 s[0:1], s[0:1], exec
	v_pk_mov_b32 v[8:9], v[2:3], v[2:3] op_sel:[0,1]
; %bb.14:
	s_or_b64 exec, exec, s[2:3]
	s_and_saveexec_b64 s[2:3], s[0:1]
	s_cbranch_execz .LBB44_10
.LBB44_15:
	s_load_dwordx8 s[8:15], s[4:5], 0x28
	v_lshlrev_b64 v[2:3], 3, v[8:9]
	v_and_b32_e32 v10, 63, v0
	v_mov_b32_e32 v0, s19
	v_mov_b32_e32 v19, 0
	s_waitcnt lgkmcnt(0)
	v_mov_b32_e32 v1, s9
	v_add_co_u32_e32 v4, vcc, s8, v2
	v_addc_co_u32_e32 v5, vcc, v1, v3, vcc
	v_add_co_u32_e32 v1, vcc, 8, v4
	global_load_dwordx2 v[22:23], v[4:5], off
	v_addc_co_u32_e32 v4, vcc, 0, v5, vcc
	v_mov_b32_e32 v5, s11
	v_add_co_u32_e32 v2, vcc, s10, v2
	s_cmp_eq_u64 s[10:11], 0
	v_addc_co_u32_e32 v3, vcc, v5, v3, vcc
	s_cselect_b64 vcc, -1, 0
	v_cndmask_b32_e32 v3, v3, v4, vcc
	v_cndmask_b32_e32 v2, v2, v1, vcc
	global_load_dwordx2 v[2:3], v[2:3], off
	s_load_dwordx2 s[8:9], s[4:5], 0x48
	s_load_dword s0, s[4:5], 0x8
	v_mov_b32_e32 v4, s15
	s_waitcnt lgkmcnt(0)
	s_cmp_eq_u32 s0, 1
	s_waitcnt vmcnt(1)
	v_subrev_co_u32_e32 v1, vcc, s22, v22
	v_subb_co_u32_e32 v5, vcc, v23, v0, vcc
	v_add_co_u32_e32 v12, vcc, v1, v10
	v_addc_co_u32_e32 v13, vcc, 0, v5, vcc
	s_waitcnt vmcnt(0)
	v_subrev_co_u32_e32 v14, vcc, s22, v2
	v_subb_co_u32_e32 v15, vcc, v3, v0, vcc
	v_lshlrev_b64 v[0:1], 6, v[12:13]
	v_add_co_u32_e32 v16, vcc, s14, v0
	v_addc_co_u32_e32 v17, vcc, v4, v1, vcc
	v_cmp_lt_i64_e64 s[0:1], v[12:13], v[14:15]
	s_cbranch_scc1 .LBB44_27
; %bb.16:
	s_mov_b32 s2, 0
	v_mov_b32_e32 v18, 0
	v_mov_b32_e32 v21, 0
	;; [unrolled: 1-line block ×3, first 2 shown]
	s_and_saveexec_b64 s[10:11], s[0:1]
	s_cbranch_execz .LBB44_26
; %bb.17:
	v_or_b32_e32 v0, 64, v10
	v_mov_b32_e32 v1, s19
	v_subrev_co_u32_e32 v0, vcc, s22, v0
	v_subb_co_u32_e32 v1, vcc, 0, v1, vcc
	v_add_co_u32_e32 v0, vcc, v0, v22
	v_addc_co_u32_e32 v1, vcc, v1, v23, vcc
	v_cmp_gt_i64_e32 vcc, v[0:1], v[14:15]
	v_cndmask_b32_e32 v1, v15, v1, vcc
	v_cndmask_b32_e32 v0, v14, v0, vcc
	v_mov_b32_e32 v4, s19
	v_sub_co_u32_e32 v5, vcc, s22, v10
	v_not_b32_e32 v3, v22
	v_subbrev_co_u32_e32 v4, vcc, 0, v4, vcc
	v_not_b32_e32 v2, v23
	v_add_co_u32_e32 v3, vcc, v5, v3
	v_addc_co_u32_e32 v2, vcc, v4, v2, vcc
	v_add_co_u32_e32 v0, vcc, v3, v0
	v_addc_co_u32_e32 v1, vcc, v2, v1, vcc
	v_lshrrev_b32_e32 v2, 6, v0
	v_add_u32_e32 v2, 1, v2
	v_and_b32_e32 v2, 3, v2
	s_mov_b32 s3, s2
	v_cmp_ne_u32_e32 vcc, 0, v2
	v_pk_mov_b32 v[20:21], s[2:3], s[2:3] op_sel:[0,1]
	v_pk_mov_b32 v[18:19], s[2:3], s[2:3] op_sel:[0,1]
	;; [unrolled: 1-line block ×4, first 2 shown]
	s_and_saveexec_b64 s[6:7], vcc
	s_cbranch_execz .LBB44_21
; %bb.18:
	v_lshlrev_b64 v[4:5], 3, v[12:13]
	v_mov_b32_e32 v3, 0
	v_mov_b32_e32 v6, s13
	v_add_co_u32_e32 v4, vcc, s12, v4
	v_addc_co_u32_e32 v5, vcc, v6, v5, vcc
	v_lshlrev_b32_e32 v2, 3, v2
	s_mov_b64 s[14:15], 0
	v_mov_b32_e32 v6, s19
	v_mov_b32_e32 v7, s9
	s_movk_i32 s17, 0x1000
	v_pk_mov_b32 v[26:27], v[16:17], v[16:17] op_sel:[0,1]
	v_pk_mov_b32 v[24:25], v[12:13], v[12:13] op_sel:[0,1]
	v_mov_b32_e32 v18, v3
	v_mov_b32_e32 v19, v3
	;; [unrolled: 1-line block ×4, first 2 shown]
.LBB44_19:                              ; =>This Inner Loop Header: Depth=1
	global_load_dwordx2 v[44:45], v[4:5], off
	global_load_dwordx4 v[28:31], v[26:27], off offset:16
	global_load_dwordx4 v[32:35], v[26:27], off
	global_load_dwordx4 v[36:39], v[26:27], off offset:48
	global_load_dwordx4 v[40:43], v[26:27], off offset:32
	v_add_co_u32_e64 v24, s[2:3], 64, v24
	v_addc_co_u32_e64 v25, s[2:3], 0, v25, s[2:3]
	v_add_co_u32_e64 v2, s[2:3], -8, v2
	v_addc_co_u32_e64 v3, s[2:3], -1, v3, s[2:3]
	v_cmp_eq_u64_e64 s[2:3], 0, v[2:3]
	s_or_b64 s[14:15], s[2:3], s[14:15]
	s_waitcnt vmcnt(4)
	v_subrev_co_u32_e32 v44, vcc, s22, v44
	v_subb_co_u32_e32 v45, vcc, v45, v6, vcc
	v_lshlrev_b64 v[44:45], 4, v[44:45]
	v_add_co_u32_e32 v44, vcc, s8, v44
	v_addc_co_u32_e32 v45, vcc, v7, v45, vcc
	global_load_dwordx4 v[44:47], v[44:45], off
	s_waitcnt vmcnt(3)
	v_mov_b32_e32 v48, v32
	v_mov_b32_e32 v49, v28
	;; [unrolled: 1-line block ×6, first 2 shown]
	s_waitcnt vmcnt(1)
	v_mov_b32_e32 v34, v40
	v_mov_b32_e32 v35, v36
	v_add_co_u32_e32 v26, vcc, s17, v26
	v_mov_b32_e32 v36, v41
	v_addc_co_u32_e32 v27, vcc, 0, v27, vcc
	v_mov_b32_e32 v40, v42
	v_mov_b32_e32 v41, v38
	v_add_co_u32_e32 v4, vcc, 0x200, v4
	v_mov_b32_e32 v38, v43
	v_addc_co_u32_e32 v5, vcc, 0, v5, vcc
	s_waitcnt vmcnt(0)
	v_pk_fma_f32 v[20:21], v[48:49], v[44:45], v[20:21] op_sel_hi:[1,0,1]
	v_pk_fma_f32 v[18:19], v[34:35], v[44:45], v[18:19] op_sel_hi:[1,0,1]
	v_pk_fma_f32 v[20:21], v[28:29], v[44:45], v[20:21] op_sel:[0,1,0]
	v_pk_fma_f32 v[18:19], v[36:37], v[44:45], v[18:19] op_sel:[0,1,0]
	v_mov_b32_e32 v42, v47
	v_pk_fma_f32 v[20:21], v[32:33], v[46:47], v[20:21] op_sel_hi:[1,0,1]
	v_pk_fma_f32 v[18:19], v[40:41], v[46:47], v[18:19] op_sel_hi:[1,0,1]
	;; [unrolled: 1-line block ×4, first 2 shown]
	s_andn2_b64 exec, exec, s[14:15]
	s_cbranch_execnz .LBB44_19
; %bb.20:
	s_or_b64 exec, exec, s[14:15]
.LBB44_21:
	s_or_b64 exec, exec, s[6:7]
	s_mov_b64 s[2:3], 0xbf
	v_cmp_lt_u64_e32 vcc, s[2:3], v[0:1]
	s_and_saveexec_b64 s[14:15], vcc
	s_cbranch_execz .LBB44_25
; %bb.22:
	v_lshlrev_b64 v[0:1], 3, v[24:25]
	v_mov_b32_e32 v2, s13
	v_add_co_u32_e32 v0, vcc, s12, v0
	v_addc_co_u32_e32 v1, vcc, v1, v2, vcc
	v_add_co_u32_e32 v28, vcc, 0x400, v0
	v_addc_co_u32_e32 v29, vcc, 0, v1, vcc
	s_mov_b64 s[24:25], 0
	v_mov_b32_e32 v11, s19
	v_mov_b32_e32 v34, s9
	s_movk_i32 s17, 0x1000
	s_movk_i32 s18, 0x2000
	;; [unrolled: 1-line block ×3, first 2 shown]
.LBB44_23:                              ; =>This Inner Loop Header: Depth=1
	global_load_dwordx4 v[36:39], v[26:27], off
	global_load_dwordx2 v[30:31], v[28:29], off offset:-1024
	global_load_dwordx2 v[32:33], v[28:29], off offset:-512
	global_load_dwordx2 v[92:93], v[28:29], off
	global_load_dwordx2 v[94:95], v[28:29], off offset:512
	global_load_dwordx4 v[0:3], v[26:27], off offset:48
	global_load_dwordx4 v[40:43], v[26:27], off offset:32
	;; [unrolled: 1-line block ×3, first 2 shown]
	v_add_co_u32_e32 v24, vcc, 0x100, v24
	s_mov_b64 s[2:3], vcc
	v_add_co_u32_e32 v96, vcc, s17, v26
	v_addc_co_u32_e32 v97, vcc, 0, v27, vcc
	v_add_co_u32_e32 v98, vcc, s18, v26
	v_addc_co_u32_e32 v99, vcc, 0, v27, vcc
	;; [unrolled: 2-line block ×3, first 2 shown]
	v_add_co_u32_e32 v28, vcc, 0x800, v28
	s_mov_b64 s[6:7], vcc
	v_addc_co_u32_e64 v25, vcc, 0, v25, s[2:3]
	v_add_co_u32_e32 v26, vcc, 0x4000, v26
	v_addc_co_u32_e32 v27, vcc, 0, v27, vcc
	global_load_dwordx4 v[44:47], v[96:97], off offset:48
	global_load_dwordx4 v[48:51], v[96:97], off offset:32
	;; [unrolled: 1-line block ×3, first 2 shown]
	global_load_dwordx4 v[56:59], v[98:99], off offset:-4096
	global_load_dwordx4 v[60:63], v[98:99], off
	global_load_dwordx4 v[64:67], v[98:99], off offset:48
	global_load_dwordx4 v[68:71], v[98:99], off offset:32
	;; [unrolled: 1-line block ×5, first 2 shown]
	global_load_dwordx4 v[84:87], v[100:101], off
	global_load_dwordx4 v[88:91], v[100:101], off offset:16
	v_addc_co_u32_e64 v29, s[2:3], 0, v29, s[6:7]
	v_cmp_ge_i64_e64 s[2:3], v[24:25], v[14:15]
	s_or_b64 s[24:25], s[2:3], s[24:25]
	s_waitcnt vmcnt(19)
	v_mov_b32_e32 v104, v36
	s_waitcnt vmcnt(18)
	v_subrev_co_u32_e32 v30, vcc, s22, v30
	v_subb_co_u32_e32 v31, vcc, v31, v11, vcc
	s_waitcnt vmcnt(17)
	v_subrev_co_u32_e32 v32, vcc, s22, v32
	v_subb_co_u32_e32 v33, vcc, v33, v11, vcc
	s_waitcnt vmcnt(16)
	v_subrev_co_u32_e32 v92, vcc, s22, v92
	v_subb_co_u32_e32 v93, vcc, v93, v11, vcc
	s_waitcnt vmcnt(15)
	v_subrev_co_u32_e32 v94, vcc, s22, v94
	v_subb_co_u32_e32 v95, vcc, v95, v11, vcc
	v_lshlrev_b64 v[30:31], 4, v[30:31]
	v_add_co_u32_e32 v106, vcc, s8, v30
	v_lshlrev_b64 v[32:33], 4, v[32:33]
	v_addc_co_u32_e32 v107, vcc, v34, v31, vcc
	v_add_co_u32_e32 v108, vcc, s8, v32
	v_lshlrev_b64 v[92:93], 4, v[92:93]
	v_addc_co_u32_e32 v109, vcc, v34, v33, vcc
	;; [unrolled: 3-line block ×3, first 2 shown]
	v_add_co_u32_e32 v112, vcc, s8, v94
	v_addc_co_u32_e32 v113, vcc, v34, v95, vcc
	global_load_dwordx4 v[30:33], v[106:107], off
	global_load_dwordx4 v[92:95], v[108:109], off
	;; [unrolled: 1-line block ×4, first 2 shown]
	s_waitcnt vmcnt(16)
	v_mov_b32_e32 v105, v4
	v_mov_b32_e32 v106, v40
	;; [unrolled: 1-line block ×11, first 2 shown]
	s_waitcnt vmcnt(12)
	v_mov_b32_e32 v38, v56
	s_waitcnt vmcnt(11)
	v_mov_b32_e32 v56, v60
	;; [unrolled: 2-line block ×3, first 2 shown]
	v_mov_b32_e32 v84, v48
	v_mov_b32_e32 v48, v50
	v_mov_b32_e32 v50, v68
	v_mov_b32_e32 v68, v70
	v_mov_b32_e32 v70, v80
	v_mov_b32_e32 v80, v82
	v_mov_b32_e32 v39, v52
	v_mov_b32_e32 v52, v57
	v_mov_b32_e32 v57, v72
	v_mov_b32_e32 v72, v61
	s_waitcnt vmcnt(4)
	v_mov_b32_e32 v61, v88
	v_mov_b32_e32 v88, v85
	v_mov_b32_e32 v85, v44
	v_mov_b32_e32 v44, v49
	v_mov_b32_e32 v42, v58
	v_mov_b32_e32 v43, v54
	v_mov_b32_e32 v49, v46
	v_mov_b32_e32 v54, v59
	v_mov_b32_e32 v58, v62
	v_mov_b32_e32 v62, v86
	v_mov_b32_e32 v46, v51
	v_mov_b32_e32 v51, v64
	v_mov_b32_e32 v64, v69
	v_mov_b32_e32 v59, v74
	v_mov_b32_e32 v69, v66
	v_mov_b32_e32 v74, v63
	v_mov_b32_e32 v66, v71
	v_mov_b32_e32 v71, v76
	v_mov_b32_e32 v76, v81
	v_mov_b32_e32 v63, v90
	v_mov_b32_e32 v81, v78
	v_mov_b32_e32 v90, v87
	v_mov_b32_e32 v78, v83
	s_waitcnt vmcnt(3)
	v_pk_fma_f32 v[20:21], v[104:105], v[30:31], v[20:21] op_sel_hi:[1,0,1]
	v_pk_fma_f32 v[18:19], v[106:107], v[30:31], v[18:19] op_sel_hi:[1,0,1]
	v_pk_fma_f32 v[4:5], v[4:5], v[30:31], v[20:21] op_sel:[0,1,0]
	v_pk_fma_f32 v[0:1], v[0:1], v[30:31], v[18:19] op_sel:[0,1,0]
	v_mov_b32_e32 v82, v33
	v_pk_fma_f32 v[4:5], v[36:37], v[32:33], v[4:5] op_sel_hi:[1,0,1]
	v_pk_fma_f32 v[0:1], v[40:41], v[32:33], v[0:1] op_sel_hi:[1,0,1]
	v_pk_fma_f32 v[4:5], v[6:7], v[82:83], v[4:5] op_sel_hi:[1,0,1]
	v_pk_fma_f32 v[0:1], v[2:3], v[82:83], v[0:1] op_sel_hi:[1,0,1]
	s_waitcnt vmcnt(2)
	v_pk_fma_f32 v[2:3], v[38:39], v[92:93], v[4:5] op_sel_hi:[1,0,1]
	v_pk_fma_f32 v[0:1], v[84:85], v[92:93], v[0:1] op_sel_hi:[1,0,1]
	v_pk_fma_f32 v[2:3], v[52:53], v[92:93], v[2:3] op_sel:[0,1,0]
	v_pk_fma_f32 v[0:1], v[44:45], v[92:93], v[0:1] op_sel:[0,1,0]
	v_mov_b32_e32 v86, v95
	v_pk_fma_f32 v[2:3], v[42:43], v[94:95], v[2:3] op_sel_hi:[1,0,1]
	v_pk_fma_f32 v[0:1], v[48:49], v[94:95], v[0:1] op_sel_hi:[1,0,1]
	v_pk_fma_f32 v[2:3], v[54:55], v[86:87], v[2:3] op_sel_hi:[1,0,1]
	v_pk_fma_f32 v[0:1], v[46:47], v[86:87], v[0:1] op_sel_hi:[1,0,1]
	;; [unrolled: 10-line block ×4, first 2 shown]
	s_andn2_b64 exec, exec, s[24:25]
	s_cbranch_execnz .LBB44_23
; %bb.24:
	s_or_b64 exec, exec, s[24:25]
.LBB44_25:
	s_or_b64 exec, exec, s[14:15]
.LBB44_26:
	s_or_b64 exec, exec, s[10:11]
	s_cbranch_execz .LBB44_28
	s_branch .LBB44_39
.LBB44_27:
                                        ; implicit-def: $vgpr19
                                        ; implicit-def: $vgpr21
.LBB44_28:
	s_mov_b32 s6, 0
	v_mov_b32_e32 v19, 0
	v_mov_b32_e32 v18, 0
	;; [unrolled: 1-line block ×4, first 2 shown]
	s_and_saveexec_b64 s[2:3], s[0:1]
	s_cbranch_execz .LBB44_38
; %bb.29:
	v_or_b32_e32 v0, 64, v10
	v_mov_b32_e32 v1, s19
	v_subrev_co_u32_e32 v0, vcc, s22, v0
	v_subb_co_u32_e32 v1, vcc, 0, v1, vcc
	v_add_co_u32_e32 v0, vcc, v0, v22
	v_addc_co_u32_e32 v1, vcc, v1, v23, vcc
	v_cmp_gt_i64_e32 vcc, v[0:1], v[14:15]
	v_cndmask_b32_e32 v1, v15, v1, vcc
	v_cndmask_b32_e32 v0, v14, v0, vcc
	v_mov_b32_e32 v4, s19
	v_sub_co_u32_e32 v5, vcc, s22, v10
	v_not_b32_e32 v3, v22
	v_subbrev_co_u32_e32 v4, vcc, 0, v4, vcc
	v_not_b32_e32 v2, v23
	v_add_co_u32_e32 v3, vcc, v5, v3
	v_addc_co_u32_e32 v2, vcc, v4, v2, vcc
	v_add_co_u32_e32 v0, vcc, v3, v0
	v_addc_co_u32_e32 v1, vcc, v2, v1, vcc
	v_lshrrev_b32_e32 v2, 6, v0
	v_add_u32_e32 v2, 1, v2
	v_and_b32_e32 v2, 3, v2
	s_mov_b32 s7, s6
	v_cmp_ne_u32_e32 vcc, 0, v2
	v_pk_mov_b32 v[20:21], s[6:7], s[6:7] op_sel:[0,1]
	v_pk_mov_b32 v[18:19], s[6:7], s[6:7] op_sel:[0,1]
	s_and_saveexec_b64 s[6:7], vcc
	s_cbranch_execz .LBB44_33
; %bb.30:
	v_lshlrev_b64 v[4:5], 3, v[12:13]
	v_mov_b32_e32 v3, 0
	v_mov_b32_e32 v6, s13
	v_add_co_u32_e32 v4, vcc, s12, v4
	v_addc_co_u32_e32 v5, vcc, v6, v5, vcc
	v_lshlrev_b32_e32 v2, 3, v2
	s_mov_b64 s[10:11], 0
	v_mov_b32_e32 v6, s19
	v_mov_b32_e32 v7, s9
	s_movk_i32 s14, 0x1000
	v_mov_b32_e32 v18, v3
	v_mov_b32_e32 v19, v3
	;; [unrolled: 1-line block ×4, first 2 shown]
.LBB44_31:                              ; =>This Inner Loop Header: Depth=1
	global_load_dwordx2 v[30:31], v[4:5], off
	global_load_dwordx4 v[22:25], v[16:17], off offset:16
	global_load_dwordx4 v[26:29], v[16:17], off
	v_add_co_u32_e64 v12, s[0:1], 64, v12
	v_addc_co_u32_e64 v13, s[0:1], 0, v13, s[0:1]
	v_add_co_u32_e64 v2, s[0:1], -8, v2
	v_addc_co_u32_e64 v3, s[0:1], -1, v3, s[0:1]
	v_cmp_eq_u64_e64 s[0:1], 0, v[2:3]
	s_or_b64 s[10:11], s[0:1], s[10:11]
	s_waitcnt vmcnt(2)
	v_subrev_co_u32_e32 v30, vcc, s22, v30
	v_subb_co_u32_e32 v31, vcc, v31, v6, vcc
	v_lshlrev_b64 v[30:31], 4, v[30:31]
	v_add_co_u32_e32 v42, vcc, s8, v30
	v_addc_co_u32_e32 v43, vcc, v7, v31, vcc
	global_load_dwordx4 v[30:33], v[42:43], off
	global_load_dwordx4 v[34:37], v[16:17], off offset:32
	global_load_dwordx4 v[38:41], v[16:17], off offset:48
	v_add_co_u32_e32 v16, vcc, s14, v16
	v_addc_co_u32_e32 v17, vcc, 0, v17, vcc
	v_add_co_u32_e32 v4, vcc, 0x200, v4
	v_addc_co_u32_e32 v5, vcc, 0, v5, vcc
	s_waitcnt vmcnt(2)
	v_pk_fma_f32 v[20:21], v[26:27], v[30:31], v[20:21] op_sel_hi:[1,0,1]
	v_pk_fma_f32 v[18:19], v[28:29], v[30:31], v[18:19] op_sel_hi:[1,0,1]
	v_pk_fma_f32 v[20:21], v[22:23], v[30:31], v[20:21] op_sel:[0,1,0]
	v_pk_fma_f32 v[18:19], v[24:25], v[30:31], v[18:19] op_sel:[0,1,0]
	v_mov_b32_e32 v26, v33
	s_waitcnt vmcnt(1)
	v_pk_fma_f32 v[20:21], v[34:35], v[32:33], v[20:21] op_sel_hi:[1,0,1]
	v_pk_fma_f32 v[18:19], v[36:37], v[32:33], v[18:19] op_sel_hi:[1,0,1]
	s_waitcnt vmcnt(0)
	v_pk_fma_f32 v[20:21], v[38:39], v[26:27], v[20:21] op_sel_hi:[1,0,1]
	v_pk_fma_f32 v[18:19], v[40:41], v[26:27], v[18:19] op_sel_hi:[1,0,1]
	s_andn2_b64 exec, exec, s[10:11]
	s_cbranch_execnz .LBB44_31
; %bb.32:
	s_or_b64 exec, exec, s[10:11]
.LBB44_33:
	s_or_b64 exec, exec, s[6:7]
	s_mov_b64 s[0:1], 0xbf
	v_cmp_lt_u64_e32 vcc, s[0:1], v[0:1]
	s_and_saveexec_b64 s[6:7], vcc
	s_cbranch_execz .LBB44_37
; %bb.34:
	v_lshlrev_b64 v[0:1], 3, v[12:13]
	v_mov_b32_e32 v2, s13
	v_add_co_u32_e32 v0, vcc, s12, v0
	v_addc_co_u32_e32 v1, vcc, v1, v2, vcc
	v_add_co_u32_e32 v0, vcc, 0x400, v0
	v_addc_co_u32_e32 v1, vcc, 0, v1, vcc
	s_mov_b64 s[10:11], 0
	v_mov_b32_e32 v2, s19
	v_mov_b32_e32 v3, s9
	s_movk_i32 s9, 0x1000
	s_movk_i32 s12, 0x2000
	;; [unrolled: 1-line block ×3, first 2 shown]
.LBB44_35:                              ; =>This Inner Loop Header: Depth=1
	global_load_dwordx2 v[74:75], v[0:1], off offset:-1024
	global_load_dwordx2 v[76:77], v[0:1], off offset:-512
	global_load_dwordx2 v[78:79], v[0:1], off
	global_load_dwordx2 v[80:81], v[0:1], off offset:512
	global_load_dwordx4 v[4:7], v[16:17], off offset:48
	global_load_dwordx4 v[22:25], v[16:17], off offset:32
	;; [unrolled: 1-line block ×3, first 2 shown]
	global_load_dwordx4 v[30:33], v[16:17], off
	v_add_co_u32_e32 v82, vcc, s9, v16
	v_addc_co_u32_e32 v83, vcc, 0, v17, vcc
	v_add_co_u32_e32 v84, vcc, s12, v16
	v_addc_co_u32_e32 v85, vcc, 0, v17, vcc
	;; [unrolled: 2-line block ×3, first 2 shown]
	global_load_dwordx4 v[34:37], v[84:85], off offset:-4096
	global_load_dwordx4 v[38:41], v[82:83], off offset:32
	global_load_dwordx4 v[42:45], v[82:83], off offset:16
	;; [unrolled: 1-line block ×4, first 2 shown]
	global_load_dwordx4 v[54:57], v[84:85], off
	global_load_dwordx4 v[58:61], v[84:85], off offset:16
	global_load_dwordx4 v[62:65], v[82:83], off offset:48
	global_load_dwordx4 v[66:69], v[98:99], off
	global_load_dwordx4 v[70:73], v[98:99], off offset:16
	s_waitcnt vmcnt(17)
	v_subrev_co_u32_e32 v74, vcc, s22, v74
	v_subb_co_u32_e32 v75, vcc, v75, v2, vcc
	s_waitcnt vmcnt(16)
	v_subrev_co_u32_e32 v76, vcc, s22, v76
	v_subb_co_u32_e32 v77, vcc, v77, v2, vcc
	;; [unrolled: 3-line block ×4, first 2 shown]
	v_lshlrev_b64 v[74:75], 4, v[74:75]
	v_add_co_u32_e32 v100, vcc, s8, v74
	v_lshlrev_b64 v[76:77], 4, v[76:77]
	v_addc_co_u32_e32 v101, vcc, v3, v75, vcc
	v_add_co_u32_e32 v102, vcc, s8, v76
	v_lshlrev_b64 v[78:79], 4, v[78:79]
	v_addc_co_u32_e32 v103, vcc, v3, v77, vcc
	;; [unrolled: 3-line block ×3, first 2 shown]
	v_add_co_u32_e32 v106, vcc, s8, v80
	v_addc_co_u32_e32 v107, vcc, v3, v81, vcc
	global_load_dwordx4 v[74:77], v[100:101], off
	global_load_dwordx4 v[78:81], v[102:103], off
	;; [unrolled: 1-line block ×4, first 2 shown]
	global_load_dwordx4 v[90:93], v[98:99], off offset:32
	global_load_dwordx4 v[94:97], v[98:99], off offset:48
	v_add_co_u32_e32 v12, vcc, 0x100, v12
	v_addc_co_u32_e32 v13, vcc, 0, v13, vcc
	v_add_co_u32_e32 v0, vcc, 0x800, v0
	v_addc_co_u32_e32 v1, vcc, 0, v1, vcc
	v_cmp_ge_i64_e64 s[0:1], v[12:13], v[14:15]
	v_add_co_u32_e32 v16, vcc, 0x4000, v16
	v_addc_co_u32_e32 v17, vcc, 0, v17, vcc
	s_or_b64 s[10:11], s[0:1], s[10:11]
	s_waitcnt vmcnt(5)
	v_pk_fma_f32 v[20:21], v[30:31], v[74:75], v[20:21] op_sel_hi:[1,0,1]
	v_pk_fma_f32 v[18:19], v[32:33], v[74:75], v[18:19] op_sel_hi:[1,0,1]
	v_pk_fma_f32 v[20:21], v[26:27], v[74:75], v[20:21] op_sel:[0,1,0]
	v_pk_fma_f32 v[18:19], v[28:29], v[74:75], v[18:19] op_sel:[0,1,0]
	v_mov_b32_e32 v30, v77
	v_pk_fma_f32 v[20:21], v[22:23], v[76:77], v[20:21] op_sel_hi:[1,0,1]
	v_pk_fma_f32 v[18:19], v[24:25], v[76:77], v[18:19] op_sel_hi:[1,0,1]
	v_pk_fma_f32 v[4:5], v[4:5], v[30:31], v[20:21] op_sel_hi:[1,0,1]
	v_pk_fma_f32 v[6:7], v[6:7], v[30:31], v[18:19] op_sel_hi:[1,0,1]
	s_waitcnt vmcnt(4)
	v_pk_fma_f32 v[4:5], v[34:35], v[78:79], v[4:5] op_sel_hi:[1,0,1]
	v_pk_fma_f32 v[6:7], v[36:37], v[78:79], v[6:7] op_sel_hi:[1,0,1]
	v_pk_fma_f32 v[4:5], v[42:43], v[78:79], v[4:5] op_sel:[0,1,0]
	v_pk_fma_f32 v[6:7], v[44:45], v[78:79], v[6:7] op_sel:[0,1,0]
	v_mov_b32_e32 v32, v81
	v_pk_fma_f32 v[4:5], v[38:39], v[80:81], v[4:5] op_sel_hi:[1,0,1]
	v_pk_fma_f32 v[6:7], v[40:41], v[80:81], v[6:7] op_sel_hi:[1,0,1]
	v_pk_fma_f32 v[4:5], v[62:63], v[32:33], v[4:5] op_sel_hi:[1,0,1]
	v_pk_fma_f32 v[6:7], v[64:65], v[32:33], v[6:7] op_sel_hi:[1,0,1]
	;; [unrolled: 10-line block ×3, first 2 shown]
	s_waitcnt vmcnt(2)
	v_pk_fma_f32 v[4:5], v[66:67], v[86:87], v[4:5] op_sel_hi:[1,0,1]
	v_pk_fma_f32 v[6:7], v[68:69], v[86:87], v[6:7] op_sel_hi:[1,0,1]
	v_pk_fma_f32 v[4:5], v[70:71], v[86:87], v[4:5] op_sel:[0,1,0]
	v_pk_fma_f32 v[6:7], v[72:73], v[86:87], v[6:7] op_sel:[0,1,0]
	v_mov_b32_e32 v100, v89
	s_waitcnt vmcnt(1)
	v_pk_fma_f32 v[4:5], v[90:91], v[88:89], v[4:5] op_sel_hi:[1,0,1]
	v_pk_fma_f32 v[6:7], v[92:93], v[88:89], v[6:7] op_sel_hi:[1,0,1]
	s_waitcnt vmcnt(0)
	v_pk_fma_f32 v[20:21], v[94:95], v[100:101], v[4:5] op_sel_hi:[1,0,1]
	v_pk_fma_f32 v[18:19], v[96:97], v[100:101], v[6:7] op_sel_hi:[1,0,1]
	s_andn2_b64 exec, exec, s[10:11]
	s_cbranch_execnz .LBB44_35
; %bb.36:
	s_or_b64 exec, exec, s[10:11]
.LBB44_37:
	s_or_b64 exec, exec, s[6:7]
.LBB44_38:
	s_or_b64 exec, exec, s[2:3]
.LBB44_39:
	v_mov_b32_dpp v0, v20 row_shr:1 row_mask:0xf bank_mask:0xf
	v_mov_b32_dpp v1, v21 row_shr:1 row_mask:0xf bank_mask:0xf
	v_mov_b32_dpp v4, v18 row_shr:1 row_mask:0xf bank_mask:0xf
	v_mov_b32_dpp v5, v19 row_shr:1 row_mask:0xf bank_mask:0xf
	v_pk_add_f32 v[0:1], v[20:21], v[0:1]
	v_pk_add_f32 v[4:5], v[18:19], v[4:5]
	v_cmp_eq_u32_e32 vcc, 63, v10
	v_mov_b32_dpp v2, v0 row_shr:2 row_mask:0xf bank_mask:0xf
	v_mov_b32_dpp v3, v1 row_shr:2 row_mask:0xf bank_mask:0xf
	v_mov_b32_dpp v6, v4 row_shr:2 row_mask:0xf bank_mask:0xf
	v_mov_b32_dpp v7, v5 row_shr:2 row_mask:0xf bank_mask:0xf
	v_pk_add_f32 v[0:1], v[0:1], v[2:3]
	v_pk_add_f32 v[4:5], v[4:5], v[6:7]
	s_nop 0
	v_mov_b32_dpp v2, v0 row_shr:4 row_mask:0xf bank_mask:0xe
	v_mov_b32_dpp v3, v1 row_shr:4 row_mask:0xf bank_mask:0xe
	v_mov_b32_dpp v6, v4 row_shr:4 row_mask:0xf bank_mask:0xe
	v_mov_b32_dpp v7, v5 row_shr:4 row_mask:0xf bank_mask:0xe
	v_pk_add_f32 v[0:1], v[0:1], v[2:3]
	v_pk_add_f32 v[4:5], v[4:5], v[6:7]
	s_nop 0
	;; [unrolled: 7-line block ×3, first 2 shown]
	v_mov_b32_dpp v2, v0 row_bcast:15 row_mask:0xa bank_mask:0xf
	v_mov_b32_dpp v3, v1 row_bcast:15 row_mask:0xa bank_mask:0xf
	;; [unrolled: 1-line block ×4, first 2 shown]
	v_pk_add_f32 v[0:1], v[0:1], v[2:3]
	v_pk_add_f32 v[4:5], v[4:5], v[6:7]
	s_nop 0
	v_mov_b32_dpp v2, v0 row_bcast:31 row_mask:0xc bank_mask:0xf
	v_mov_b32_dpp v3, v1 row_bcast:31 row_mask:0xc bank_mask:0xf
	;; [unrolled: 1-line block ×4, first 2 shown]
	s_and_b64 exec, exec, vcc
	s_cbranch_execz .LBB44_10
; %bb.40:
	s_load_dwordx2 s[0:1], s[4:5], 0x58
	v_cmp_eq_f32_e64 s[2:3], s20, 0
	v_pk_add_f32 v[2:3], v[0:1], v[2:3]
	v_pk_add_f32 v[0:1], v[4:5], v[6:7]
	s_and_b64 vcc, exec, s[2:3]
	v_lshlrev_b64 v[4:5], 4, v[8:9]
	s_cbranch_vccz .LBB44_42
; %bb.41:
	s_waitcnt lgkmcnt(0)
	v_mov_b32_e32 v6, s1
	v_add_co_u32_e32 v10, vcc, s0, v4
	v_addc_co_u32_e32 v11, vcc, v6, v5, vcc
	v_pk_mul_f32 v[6:7], s[16:17], v[2:3] op_sel_hi:[0,1]
	v_pk_mul_f32 v[8:9], s[16:17], v[0:1] op_sel_hi:[0,1]
	global_store_dwordx4 v[10:11], v[6:9], off
	s_cbranch_execnz .LBB44_10
	s_branch .LBB44_43
.LBB44_42:
.LBB44_43:
	s_waitcnt lgkmcnt(0)
	v_mov_b32_e32 v6, s1
	v_add_co_u32_e32 v8, vcc, s0, v4
	v_addc_co_u32_e32 v9, vcc, v6, v5, vcc
	global_load_dwordx4 v[4:7], v[8:9], off
	v_pk_mul_f32 v[2:3], s[16:17], v[2:3] op_sel_hi:[0,1]
	v_pk_mul_f32 v[10:11], s[16:17], v[0:1] op_sel_hi:[0,1]
	s_waitcnt vmcnt(0)
	v_pk_fma_f32 v[0:1], s[20:21], v[4:5], v[2:3] op_sel_hi:[0,1,1]
	v_pk_fma_f32 v[2:3], s[20:21], v[6:7], v[10:11] op_sel_hi:[0,1,1]
	global_store_dwordx4 v[8:9], v[0:3], off
	s_endpgm
	.section	.rodata,"a",@progbits
	.p2align	6, 0x0
	.amdhsa_kernel _ZN9rocsparseL18bsrxmvn_4x4_kernelILj128ELj64EfllfffEEvT3_20rocsparse_direction_NS_24const_host_device_scalarIT1_EES1_PKS1_PKT2_SA_S7_PKT4_PKT5_S5_PT6_21rocsparse_index_base_b
		.amdhsa_group_segment_fixed_size 0
		.amdhsa_private_segment_fixed_size 0
		.amdhsa_kernarg_size 104
		.amdhsa_user_sgpr_count 6
		.amdhsa_user_sgpr_private_segment_buffer 1
		.amdhsa_user_sgpr_dispatch_ptr 0
		.amdhsa_user_sgpr_queue_ptr 0
		.amdhsa_user_sgpr_kernarg_segment_ptr 1
		.amdhsa_user_sgpr_dispatch_id 0
		.amdhsa_user_sgpr_flat_scratch_init 0
		.amdhsa_user_sgpr_kernarg_preload_length 0
		.amdhsa_user_sgpr_kernarg_preload_offset 0
		.amdhsa_user_sgpr_private_segment_size 0
		.amdhsa_uses_dynamic_stack 0
		.amdhsa_system_sgpr_private_segment_wavefront_offset 0
		.amdhsa_system_sgpr_workgroup_id_x 1
		.amdhsa_system_sgpr_workgroup_id_y 0
		.amdhsa_system_sgpr_workgroup_id_z 0
		.amdhsa_system_sgpr_workgroup_info 0
		.amdhsa_system_vgpr_workitem_id 0
		.amdhsa_next_free_vgpr 114
		.amdhsa_next_free_sgpr 26
		.amdhsa_accum_offset 116
		.amdhsa_reserve_vcc 1
		.amdhsa_reserve_flat_scratch 0
		.amdhsa_float_round_mode_32 0
		.amdhsa_float_round_mode_16_64 0
		.amdhsa_float_denorm_mode_32 3
		.amdhsa_float_denorm_mode_16_64 3
		.amdhsa_dx10_clamp 1
		.amdhsa_ieee_mode 1
		.amdhsa_fp16_overflow 0
		.amdhsa_tg_split 0
		.amdhsa_exception_fp_ieee_invalid_op 0
		.amdhsa_exception_fp_denorm_src 0
		.amdhsa_exception_fp_ieee_div_zero 0
		.amdhsa_exception_fp_ieee_overflow 0
		.amdhsa_exception_fp_ieee_underflow 0
		.amdhsa_exception_fp_ieee_inexact 0
		.amdhsa_exception_int_div_zero 0
	.end_amdhsa_kernel
	.section	.text._ZN9rocsparseL18bsrxmvn_4x4_kernelILj128ELj64EfllfffEEvT3_20rocsparse_direction_NS_24const_host_device_scalarIT1_EES1_PKS1_PKT2_SA_S7_PKT4_PKT5_S5_PT6_21rocsparse_index_base_b,"axG",@progbits,_ZN9rocsparseL18bsrxmvn_4x4_kernelILj128ELj64EfllfffEEvT3_20rocsparse_direction_NS_24const_host_device_scalarIT1_EES1_PKS1_PKT2_SA_S7_PKT4_PKT5_S5_PT6_21rocsparse_index_base_b,comdat
.Lfunc_end44:
	.size	_ZN9rocsparseL18bsrxmvn_4x4_kernelILj128ELj64EfllfffEEvT3_20rocsparse_direction_NS_24const_host_device_scalarIT1_EES1_PKS1_PKT2_SA_S7_PKT4_PKT5_S5_PT6_21rocsparse_index_base_b, .Lfunc_end44-_ZN9rocsparseL18bsrxmvn_4x4_kernelILj128ELj64EfllfffEEvT3_20rocsparse_direction_NS_24const_host_device_scalarIT1_EES1_PKS1_PKT2_SA_S7_PKT4_PKT5_S5_PT6_21rocsparse_index_base_b
                                        ; -- End function
	.section	.AMDGPU.csdata,"",@progbits
; Kernel info:
; codeLenInByte = 3652
; NumSgprs: 30
; NumVgprs: 114
; NumAgprs: 0
; TotalNumVgprs: 114
; ScratchSize: 0
; MemoryBound: 1
; FloatMode: 240
; IeeeMode: 1
; LDSByteSize: 0 bytes/workgroup (compile time only)
; SGPRBlocks: 3
; VGPRBlocks: 14
; NumSGPRsForWavesPerEU: 30
; NumVGPRsForWavesPerEU: 114
; AccumOffset: 116
; Occupancy: 4
; WaveLimiterHint : 1
; COMPUTE_PGM_RSRC2:SCRATCH_EN: 0
; COMPUTE_PGM_RSRC2:USER_SGPR: 6
; COMPUTE_PGM_RSRC2:TRAP_HANDLER: 0
; COMPUTE_PGM_RSRC2:TGID_X_EN: 1
; COMPUTE_PGM_RSRC2:TGID_Y_EN: 0
; COMPUTE_PGM_RSRC2:TGID_Z_EN: 0
; COMPUTE_PGM_RSRC2:TIDIG_COMP_CNT: 0
; COMPUTE_PGM_RSRC3_GFX90A:ACCUM_OFFSET: 28
; COMPUTE_PGM_RSRC3_GFX90A:TG_SPLIT: 0
	.section	.text._ZN9rocsparseL18bsrxmvn_4x4_kernelILj128ELj4EdlldddEEvT3_20rocsparse_direction_NS_24const_host_device_scalarIT1_EES1_PKS1_PKT2_SA_S7_PKT4_PKT5_S5_PT6_21rocsparse_index_base_b,"axG",@progbits,_ZN9rocsparseL18bsrxmvn_4x4_kernelILj128ELj4EdlldddEEvT3_20rocsparse_direction_NS_24const_host_device_scalarIT1_EES1_PKS1_PKT2_SA_S7_PKT4_PKT5_S5_PT6_21rocsparse_index_base_b,comdat
	.globl	_ZN9rocsparseL18bsrxmvn_4x4_kernelILj128ELj4EdlldddEEvT3_20rocsparse_direction_NS_24const_host_device_scalarIT1_EES1_PKS1_PKT2_SA_S7_PKT4_PKT5_S5_PT6_21rocsparse_index_base_b ; -- Begin function _ZN9rocsparseL18bsrxmvn_4x4_kernelILj128ELj4EdlldddEEvT3_20rocsparse_direction_NS_24const_host_device_scalarIT1_EES1_PKS1_PKT2_SA_S7_PKT4_PKT5_S5_PT6_21rocsparse_index_base_b
	.p2align	8
	.type	_ZN9rocsparseL18bsrxmvn_4x4_kernelILj128ELj4EdlldddEEvT3_20rocsparse_direction_NS_24const_host_device_scalarIT1_EES1_PKS1_PKT2_SA_S7_PKT4_PKT5_S5_PT6_21rocsparse_index_base_b,@function
_ZN9rocsparseL18bsrxmvn_4x4_kernelILj128ELj4EdlldddEEvT3_20rocsparse_direction_NS_24const_host_device_scalarIT1_EES1_PKS1_PKT2_SA_S7_PKT4_PKT5_S5_PT6_21rocsparse_index_base_b: ; @_ZN9rocsparseL18bsrxmvn_4x4_kernelILj128ELj4EdlldddEEvT3_20rocsparse_direction_NS_24const_host_device_scalarIT1_EES1_PKS1_PKT2_SA_S7_PKT4_PKT5_S5_PT6_21rocsparse_index_base_b
; %bb.0:
	s_load_dwordx2 s[16:17], s[4:5], 0x60
	s_load_dwordx4 s[0:3], s[4:5], 0x10
	s_load_dwordx2 s[8:9], s[4:5], 0x50
	s_waitcnt lgkmcnt(0)
	s_bitcmp1_b32 s17, 0
	s_cselect_b64 s[12:13], -1, 0
	s_xor_b64 s[10:11], s[12:13], -1
	s_and_b64 vcc, exec, s[12:13]
	v_pk_mov_b32 v[58:59], s[0:1], s[0:1] op_sel:[0,1]
	s_cbranch_vccnz .LBB45_2
; %bb.1:
	v_pk_mov_b32 v[2:3], s[0:1], s[0:1] op_sel:[0,1]
	flat_load_dwordx2 v[58:59], v[2:3]
.LBB45_2:
	s_andn2_b64 vcc, exec, s[10:11]
	v_pk_mov_b32 v[56:57], s[8:9], s[8:9] op_sel:[0,1]
	s_cbranch_vccnz .LBB45_4
; %bb.3:
	v_pk_mov_b32 v[2:3], s[8:9], s[8:9] op_sel:[0,1]
	flat_load_dwordx2 v[56:57], v[2:3]
.LBB45_4:
	s_waitcnt vmcnt(0) lgkmcnt(0)
	v_cmp_neq_f64_e32 vcc, 0, v[58:59]
	v_cmp_neq_f64_e64 s[0:1], 1.0, v[56:57]
	s_mov_b64 s[8:9], 0
	s_or_b64 s[0:1], vcc, s[0:1]
	s_and_saveexec_b64 s[10:11], s[0:1]
	s_cbranch_execz .LBB45_10
; %bb.5:
	s_load_dwordx2 s[10:11], s[4:5], 0x20
	v_lshrrev_b32_e32 v1, 2, v0
	v_lshl_or_b32 v2, s6, 5, v1
	v_mov_b32_e32 v3, 0
	s_mov_b64 s[0:1], 0
	s_waitcnt lgkmcnt(0)
	s_cmp_lg_u64 s[10:11], 0
	s_cbranch_scc0 .LBB45_11
; %bb.6:
	v_cmp_gt_i64_e32 vcc, s[2:3], v[2:3]
                                        ; implicit-def: $vgpr60_vgpr61
	s_and_saveexec_b64 s[2:3], vcc
	s_xor_b64 s[2:3], exec, s[2:3]
                                        ; implicit-def: $sgpr18_sgpr19
	s_cbranch_execz .LBB45_8
; %bb.7:
	v_lshlrev_b64 v[4:5], 3, v[2:3]
	v_mov_b32_e32 v1, s11
	v_add_co_u32_e32 v4, vcc, s10, v4
	v_addc_co_u32_e32 v5, vcc, v1, v5, vcc
	global_load_dwordx2 v[4:5], v[4:5], off
	s_mov_b64 s[0:1], exec
	s_mov_b32 s19, 0
	s_waitcnt vmcnt(0)
	v_subrev_co_u32_e32 v60, vcc, s16, v4
	v_subbrev_co_u32_e32 v61, vcc, 0, v5, vcc
.LBB45_8:
	s_or_b64 exec, exec, s[2:3]
	s_mov_b64 s[8:9], s[0:1]
.LBB45_9:
	s_and_b64 exec, exec, s[8:9]
	s_cbranch_execnz .LBB45_15
.LBB45_10:
	s_endpgm
.LBB45_11:
                                        ; implicit-def: $vgpr60_vgpr61
                                        ; implicit-def: $sgpr18_sgpr19
	s_cbranch_execz .LBB45_9
; %bb.12:
	s_load_dwordx2 s[0:1], s[4:5], 0x0
                                        ; implicit-def: $vgpr60_vgpr61
	s_waitcnt lgkmcnt(0)
	v_cmp_gt_i64_e32 vcc, s[0:1], v[2:3]
	s_and_saveexec_b64 s[0:1], vcc
                                        ; implicit-def: $sgpr18_sgpr19
; %bb.13:
	s_mov_b32 s19, 0
	s_or_b64 s[8:9], s[8:9], exec
	v_pk_mov_b32 v[60:61], v[2:3], v[2:3] op_sel:[0,1]
; %bb.14:
	s_or_b64 exec, exec, s[0:1]
	s_and_b64 exec, exec, s[8:9]
	s_cbranch_execz .LBB45_10
.LBB45_15:
	s_load_dwordx8 s[8:15], s[4:5], 0x28
	v_lshlrev_b64 v[2:3], 3, v[60:61]
	v_and_b32_e32 v62, 3, v0
	v_mov_b32_e32 v0, s19
	s_waitcnt lgkmcnt(0)
	v_mov_b32_e32 v1, s9
	v_add_co_u32_e32 v4, vcc, s8, v2
	v_addc_co_u32_e32 v5, vcc, v1, v3, vcc
	v_add_co_u32_e32 v1, vcc, 8, v4
	global_load_dwordx2 v[78:79], v[4:5], off
	v_addc_co_u32_e32 v4, vcc, 0, v5, vcc
	v_mov_b32_e32 v5, s11
	v_add_co_u32_e32 v2, vcc, s10, v2
	s_cmp_eq_u64 s[10:11], 0
	v_addc_co_u32_e32 v3, vcc, v5, v3, vcc
	s_cselect_b64 vcc, -1, 0
	v_cndmask_b32_e32 v3, v3, v4, vcc
	v_cndmask_b32_e32 v2, v2, v1, vcc
	global_load_dwordx2 v[2:3], v[2:3], off
	s_load_dword s0, s[4:5], 0x8
	s_load_dwordx2 s[6:7], s[4:5], 0x48
	v_mov_b32_e32 v4, s15
	s_waitcnt lgkmcnt(0)
	s_cmp_eq_u32 s0, 1
	s_waitcnt vmcnt(1)
	v_subrev_co_u32_e32 v1, vcc, s16, v78
	v_subb_co_u32_e32 v5, vcc, v79, v0, vcc
	v_add_co_u32_e32 v64, vcc, v1, v62
	v_addc_co_u32_e32 v65, vcc, 0, v5, vcc
	s_waitcnt vmcnt(0)
	v_subrev_co_u32_e32 v66, vcc, s16, v2
	v_subb_co_u32_e32 v67, vcc, v3, v0, vcc
	v_lshlrev_b64 v[0:1], 7, v[64:65]
	v_add_co_u32_e32 v68, vcc, s14, v0
	v_addc_co_u32_e32 v69, vcc, v4, v1, vcc
	v_cmp_lt_i64_e64 s[0:1], v[64:65], v[66:67]
	s_cbranch_scc1 .LBB45_27
; %bb.16:
	v_pk_mov_b32 v[70:71], 0, 0
	s_mov_b64 s[8:9], 0
	v_pk_mov_b32 v[72:73], v[70:71], v[70:71] op_sel:[0,1]
	v_pk_mov_b32 v[74:75], v[70:71], v[70:71] op_sel:[0,1]
	;; [unrolled: 1-line block ×3, first 2 shown]
	s_and_saveexec_b64 s[10:11], s[0:1]
	s_cbranch_execz .LBB45_26
; %bb.17:
	v_or_b32_e32 v0, 4, v62
	v_mov_b32_e32 v1, s19
	v_subrev_co_u32_e32 v0, vcc, s16, v0
	v_subb_co_u32_e32 v1, vcc, 0, v1, vcc
	v_add_co_u32_e32 v0, vcc, v0, v78
	v_addc_co_u32_e32 v1, vcc, v1, v79, vcc
	v_cmp_gt_i64_e32 vcc, v[0:1], v[66:67]
	v_cndmask_b32_e32 v1, v67, v1, vcc
	v_cndmask_b32_e32 v0, v66, v0, vcc
	v_mov_b32_e32 v4, s19
	v_sub_co_u32_e32 v5, vcc, s16, v62
	v_not_b32_e32 v3, v78
	v_subbrev_co_u32_e32 v4, vcc, 0, v4, vcc
	v_not_b32_e32 v2, v79
	v_add_co_u32_e32 v3, vcc, v5, v3
	v_addc_co_u32_e32 v2, vcc, v4, v2, vcc
	v_add_co_u32_e32 v0, vcc, v3, v0
	v_addc_co_u32_e32 v1, vcc, v2, v1, vcc
	v_lshrrev_b32_e32 v2, 2, v0
	v_add_u32_e32 v2, 1, v2
	v_and_b32_e32 v2, 3, v2
	v_pk_mov_b32 v[76:77], 0, 0
	v_cmp_ne_u32_e32 vcc, 0, v2
	s_mov_b64 s[20:21], 0
	v_pk_mov_b32 v[74:75], v[76:77], v[76:77] op_sel:[0,1]
	v_pk_mov_b32 v[72:73], v[76:77], v[76:77] op_sel:[0,1]
	;; [unrolled: 1-line block ×5, first 2 shown]
	s_and_saveexec_b64 s[14:15], vcc
	s_cbranch_execz .LBB45_21
; %bb.18:
	v_lshlrev_b64 v[4:5], 3, v[64:65]
	v_mov_b32_e32 v6, s13
	v_add_co_u32_e32 v4, vcc, s12, v4
	v_pk_mov_b32 v[70:71], 0, 0
	v_mov_b32_e32 v3, 0
	v_addc_co_u32_e32 v5, vcc, v6, v5, vcc
	v_lshlrev_b32_e32 v2, 4, v2
	s_movk_i32 s17, 0x200
	v_mov_b32_e32 v6, s19
	v_mov_b32_e32 v7, s7
	v_pk_mov_b32 v[82:83], v[68:69], v[68:69] op_sel:[0,1]
	v_pk_mov_b32 v[80:81], v[64:65], v[64:65] op_sel:[0,1]
	;; [unrolled: 1-line block ×5, first 2 shown]
.LBB45_19:                              ; =>This Inner Loop Header: Depth=1
	global_load_dwordx2 v[40:41], v[4:5], off
	global_load_dwordx4 v[8:11], v[82:83], off offset:48
	global_load_dwordx4 v[12:15], v[82:83], off offset:32
	;; [unrolled: 1-line block ×3, first 2 shown]
	global_load_dwordx4 v[20:23], v[82:83], off
	global_load_dwordx4 v[24:27], v[82:83], off offset:112
	global_load_dwordx4 v[28:31], v[82:83], off offset:96
	global_load_dwordx4 v[32:35], v[82:83], off offset:80
	global_load_dwordx4 v[36:39], v[82:83], off offset:64
	v_add_co_u32_e64 v80, s[2:3], 4, v80
	v_addc_co_u32_e64 v81, s[2:3], 0, v81, s[2:3]
	v_add_co_u32_e64 v4, s[2:3], 32, v4
	v_addc_co_u32_e64 v5, s[2:3], 0, v5, s[2:3]
	v_add_co_u32_e64 v2, s[2:3], -16, v2
	v_addc_co_u32_e64 v3, s[2:3], -1, v3, s[2:3]
	s_waitcnt vmcnt(8)
	v_subrev_co_u32_e32 v40, vcc, s16, v40
	v_subb_co_u32_e32 v41, vcc, v41, v6, vcc
	v_lshlrev_b64 v[40:41], 5, v[40:41]
	v_add_co_u32_e32 v48, vcc, s6, v40
	v_addc_co_u32_e32 v49, vcc, v7, v41, vcc
	global_load_dwordx4 v[40:43], v[48:49], off
	global_load_dwordx4 v[44:47], v[48:49], off offset:16
	v_add_co_u32_e32 v82, vcc, s17, v82
	v_addc_co_u32_e32 v83, vcc, 0, v83, vcc
	v_cmp_eq_u64_e32 vcc, 0, v[2:3]
	s_or_b64 s[20:21], vcc, s[20:21]
	s_waitcnt vmcnt(1)
	v_fmac_f64_e32 v[76:77], v[20:21], v[40:41]
	v_fmac_f64_e32 v[74:75], v[12:13], v[40:41]
	;; [unrolled: 1-line block ×8, first 2 shown]
	s_waitcnt vmcnt(0)
	v_fmac_f64_e32 v[76:77], v[16:17], v[44:45]
	v_fmac_f64_e32 v[74:75], v[8:9], v[44:45]
	;; [unrolled: 1-line block ×8, first 2 shown]
	s_andn2_b64 exec, exec, s[20:21]
	s_cbranch_execnz .LBB45_19
; %bb.20:
	s_or_b64 exec, exec, s[20:21]
.LBB45_21:
	s_or_b64 exec, exec, s[14:15]
	v_cmp_lt_u64_e32 vcc, 11, v[0:1]
	s_and_saveexec_b64 s[14:15], vcc
	s_cbranch_execz .LBB45_25
; %bb.22:
	v_lshlrev_b64 v[0:1], 3, v[80:81]
	v_mov_b32_e32 v2, s13
	v_add_co_u32_e32 v0, vcc, s12, v0
	v_addc_co_u32_e32 v1, vcc, v1, v2, vcc
	v_add_co_u32_e32 v84, vcc, 64, v0
	v_addc_co_u32_e32 v85, vcc, 0, v1, vcc
	s_mov_b64 s[20:21], 0
	v_mov_b32_e32 v63, s19
	v_mov_b32_e32 v88, s7
	s_movk_i32 s17, 0x800
.LBB45_23:                              ; =>This Inner Loop Header: Depth=1
	global_load_dwordx2 v[86:87], v[84:85], off offset:-64
	global_load_dwordx4 v[0:3], v[82:83], off offset:48
	global_load_dwordx4 v[12:15], v[82:83], off offset:32
	;; [unrolled: 1-line block ×3, first 2 shown]
	global_load_dwordx4 v[90:93], v[82:83], off
	global_load_dwordx4 v[28:31], v[82:83], off offset:112
	global_load_dwordx4 v[36:39], v[82:83], off offset:96
	;; [unrolled: 1-line block ×11, first 2 shown]
	s_waitcnt vmcnt(15)
	v_subrev_co_u32_e32 v86, vcc, s16, v86
	v_subb_co_u32_e32 v87, vcc, v87, v63, vcc
	v_lshlrev_b64 v[86:87], 5, v[86:87]
	v_add_co_u32_e32 v98, vcc, s6, v86
	v_addc_co_u32_e32 v99, vcc, v88, v87, vcc
	global_load_dwordx4 v[94:97], v[98:99], off
	global_load_dwordx2 v[100:101], v[84:85], off offset:-32
	global_load_dwordx2 v[102:103], v[84:85], off
	global_load_dwordx2 v[86:87], v[84:85], off offset:32
	s_waitcnt vmcnt(3)
	v_fmac_f64_e32 v[76:77], v[90:91], v[94:95]
	v_fmac_f64_e32 v[74:75], v[12:13], v[94:95]
	;; [unrolled: 1-line block ×7, first 2 shown]
	global_load_dwordx4 v[44:47], v[82:83], off offset:576
	v_fmac_f64_e32 v[70:71], v[38:39], v[96:97]
	global_load_dwordx4 v[12:15], v[82:83], off offset:1072
	global_load_dwordx4 v[90:93], v[82:83], off offset:1056
	;; [unrolled: 1-line block ×4, first 2 shown]
	s_waitcnt vmcnt(1)
	v_fmac_f64_e32 v[70:71], v[28:29], v[36:37]
	v_subrev_co_u32_e32 v28, vcc, s16, v100
	v_subb_co_u32_e32 v29, vcc, v101, v63, vcc
	v_lshlrev_b64 v[28:29], 5, v[28:29]
	v_add_co_u32_e32 v104, vcc, s6, v28
	v_addc_co_u32_e32 v105, vcc, v88, v29, vcc
	global_load_dwordx4 v[98:101], v[104:105], off
	v_fmac_f64_e32 v[76:77], v[4:5], v[36:37]
	v_fmac_f64_e32 v[74:75], v[0:1], v[36:37]
	;; [unrolled: 1-line block ×6, first 2 shown]
	global_load_dwordx4 v[4:7], v[82:83], off offset:1040
	global_load_dwordx4 v[0:3], v[82:83], off offset:1136
	v_fmac_f64_e32 v[70:71], v[30:31], v[38:39]
	global_load_dwordx4 v[36:39], v[82:83], off offset:1120
	global_load_dwordx4 v[28:31], v[82:83], off offset:1104
	;; [unrolled: 1-line block ×3, first 2 shown]
	s_waitcnt vmcnt(5)
	v_fmac_f64_e32 v[76:77], v[48:49], v[98:99]
	v_fmac_f64_e32 v[74:75], v[40:41], v[98:99]
	;; [unrolled: 1-line block ×4, first 2 shown]
	global_load_dwordx4 v[48:51], v[82:83], off offset:1088
	v_fmac_f64_e32 v[74:75], v[42:43], v[100:101]
	v_fmac_f64_e32 v[72:73], v[46:47], v[100:101]
	global_load_dwordx4 v[40:43], v[82:83], off offset:1568
	global_load_dwordx4 v[44:47], v[104:105], off offset:16
	v_fmac_f64_e32 v[70:71], v[52:53], v[98:99]
	v_fmac_f64_e32 v[70:71], v[54:55], v[100:101]
	global_load_dwordx4 v[52:55], v[82:83], off offset:1616
	s_waitcnt vmcnt(1)
	v_fmac_f64_e32 v[76:77], v[24:25], v[44:45]
	v_fmac_f64_e32 v[74:75], v[16:17], v[44:45]
	;; [unrolled: 1-line block ×4, first 2 shown]
	v_subrev_co_u32_e32 v44, vcc, s16, v102
	v_subb_co_u32_e32 v45, vcc, v103, v63, vcc
	v_lshlrev_b64 v[44:45], 5, v[44:45]
	v_add_co_u32_e32 v98, vcc, s6, v44
	v_addc_co_u32_e32 v99, vcc, v88, v45, vcc
	v_fmac_f64_e32 v[76:77], v[26:27], v[46:47]
	v_fmac_f64_e32 v[74:75], v[18:19], v[46:47]
	;; [unrolled: 1-line block ×4, first 2 shown]
	global_load_dwordx4 v[44:47], v[98:99], off
	v_subrev_co_u32_e32 v86, vcc, s16, v86
	v_subb_co_u32_e32 v87, vcc, v87, v63, vcc
	v_lshlrev_b64 v[86:87], 5, v[86:87]
	v_add_co_u32_e32 v86, vcc, s6, v86
	v_addc_co_u32_e32 v87, vcc, v88, v87, vcc
	global_load_dwordx4 v[24:27], v[82:83], off offset:1552
	global_load_dwordx4 v[16:19], v[82:83], off offset:1536
	;; [unrolled: 1-line block ×4, first 2 shown]
	s_waitcnt vmcnt(4)
	v_fmac_f64_e32 v[76:77], v[94:95], v[44:45]
	v_fmac_f64_e32 v[76:77], v[96:97], v[46:47]
	global_load_dwordx4 v[94:97], v[98:99], off offset:16
	v_fmac_f64_e32 v[74:75], v[90:91], v[44:45]
	v_fmac_f64_e32 v[72:73], v[48:49], v[44:45]
	;; [unrolled: 1-line block ×3, first 2 shown]
	global_load_dwordx4 v[90:93], v[82:83], off offset:1600
	v_fmac_f64_e32 v[72:73], v[50:51], v[46:47]
	global_load_dwordx4 v[48:51], v[86:87], off
	v_fmac_f64_e32 v[70:71], v[36:37], v[44:45]
	v_fmac_f64_e32 v[70:71], v[38:39], v[46:47]
	global_load_dwordx4 v[36:39], v[86:87], off offset:16
	v_add_co_u32_e32 v82, vcc, s17, v82
	s_mov_b64 s[2:3], vcc
	v_add_co_u32_e32 v80, vcc, 16, v80
	v_addc_co_u32_e32 v81, vcc, 0, v81, vcc
	v_addc_co_u32_e64 v83, s[2:3], 0, v83, s[2:3]
	v_add_co_u32_e32 v84, vcc, 0x80, v84
	v_cmp_ge_i64_e64 s[2:3], v[80:81], v[66:67]
	v_addc_co_u32_e32 v85, vcc, 0, v85, vcc
	s_or_b64 s[20:21], s[2:3], s[20:21]
	s_waitcnt vmcnt(3)
	v_fmac_f64_e32 v[76:77], v[4:5], v[94:95]
	v_fmac_f64_e32 v[74:75], v[12:13], v[94:95]
	v_fmac_f64_e32 v[72:73], v[28:29], v[94:95]
	v_fmac_f64_e32 v[70:71], v[0:1], v[94:95]
	v_fmac_f64_e32 v[76:77], v[6:7], v[96:97]
	v_fmac_f64_e32 v[74:75], v[14:15], v[96:97]
	v_fmac_f64_e32 v[72:73], v[30:31], v[96:97]
	v_fmac_f64_e32 v[70:71], v[2:3], v[96:97]
	s_waitcnt vmcnt(1)
	v_fmac_f64_e32 v[76:77], v[16:17], v[48:49]
	v_fmac_f64_e32 v[74:75], v[40:41], v[48:49]
	v_fmac_f64_e32 v[72:73], v[90:91], v[48:49]
	v_fmac_f64_e32 v[70:71], v[8:9], v[48:49]
	v_fmac_f64_e32 v[76:77], v[18:19], v[50:51]
	v_fmac_f64_e32 v[74:75], v[42:43], v[50:51]
	v_fmac_f64_e32 v[72:73], v[92:93], v[50:51]
	v_fmac_f64_e32 v[70:71], v[10:11], v[50:51]
	;; [unrolled: 9-line block ×3, first 2 shown]
	s_andn2_b64 exec, exec, s[20:21]
	s_cbranch_execnz .LBB45_23
; %bb.24:
	s_or_b64 exec, exec, s[20:21]
.LBB45_25:
	s_or_b64 exec, exec, s[14:15]
.LBB45_26:
	s_or_b64 exec, exec, s[10:11]
	s_andn2_b64 vcc, exec, s[8:9]
	s_cbranch_vccz .LBB45_28
	s_branch .LBB45_39
.LBB45_27:
                                        ; implicit-def: $vgpr70_vgpr71
                                        ; implicit-def: $vgpr72_vgpr73
                                        ; implicit-def: $vgpr74_vgpr75
                                        ; implicit-def: $vgpr76_vgpr77
.LBB45_28:
	v_pk_mov_b32 v[70:71], 0, 0
	v_pk_mov_b32 v[72:73], v[70:71], v[70:71] op_sel:[0,1]
	v_pk_mov_b32 v[74:75], v[70:71], v[70:71] op_sel:[0,1]
	;; [unrolled: 1-line block ×3, first 2 shown]
	s_and_saveexec_b64 s[2:3], s[0:1]
	s_cbranch_execz .LBB45_38
; %bb.29:
	v_or_b32_e32 v0, 4, v62
	v_mov_b32_e32 v1, s19
	v_subrev_co_u32_e32 v0, vcc, s16, v0
	v_subb_co_u32_e32 v1, vcc, 0, v1, vcc
	v_add_co_u32_e32 v0, vcc, v0, v78
	v_addc_co_u32_e32 v1, vcc, v1, v79, vcc
	v_cmp_gt_i64_e32 vcc, v[0:1], v[66:67]
	v_cndmask_b32_e32 v1, v67, v1, vcc
	v_cndmask_b32_e32 v0, v66, v0, vcc
	v_mov_b32_e32 v4, s19
	v_sub_co_u32_e32 v5, vcc, s16, v62
	v_not_b32_e32 v3, v78
	v_subbrev_co_u32_e32 v4, vcc, 0, v4, vcc
	v_not_b32_e32 v2, v79
	v_add_co_u32_e32 v3, vcc, v5, v3
	v_addc_co_u32_e32 v2, vcc, v4, v2, vcc
	v_add_co_u32_e32 v0, vcc, v3, v0
	v_addc_co_u32_e32 v1, vcc, v2, v1, vcc
	v_lshrrev_b32_e32 v2, 2, v0
	v_add_u32_e32 v2, 1, v2
	v_and_b32_e32 v2, 3, v2
	v_pk_mov_b32 v[76:77], 0, 0
	v_cmp_ne_u32_e32 vcc, 0, v2
	s_mov_b64 s[10:11], 0
	v_pk_mov_b32 v[74:75], v[76:77], v[76:77] op_sel:[0,1]
	v_pk_mov_b32 v[72:73], v[76:77], v[76:77] op_sel:[0,1]
	;; [unrolled: 1-line block ×3, first 2 shown]
	s_and_saveexec_b64 s[8:9], vcc
	s_cbranch_execz .LBB45_33
; %bb.30:
	v_lshlrev_b64 v[4:5], 3, v[64:65]
	v_mov_b32_e32 v6, s13
	v_add_co_u32_e32 v4, vcc, s12, v4
	v_pk_mov_b32 v[70:71], 0, 0
	v_mov_b32_e32 v3, 0
	v_addc_co_u32_e32 v5, vcc, v6, v5, vcc
	v_lshlrev_b32_e32 v2, 4, v2
	s_movk_i32 s14, 0x200
	v_mov_b32_e32 v6, s19
	v_mov_b32_e32 v7, s7
	v_pk_mov_b32 v[72:73], v[70:71], v[70:71] op_sel:[0,1]
	v_pk_mov_b32 v[74:75], v[70:71], v[70:71] op_sel:[0,1]
	;; [unrolled: 1-line block ×3, first 2 shown]
.LBB45_31:                              ; =>This Inner Loop Header: Depth=1
	global_load_dwordx2 v[32:33], v[4:5], off
	global_load_dwordx4 v[8:11], v[68:69], off offset:48
	global_load_dwordx4 v[12:15], v[68:69], off offset:32
	;; [unrolled: 1-line block ×3, first 2 shown]
	global_load_dwordx4 v[20:23], v[68:69], off
	global_load_dwordx4 v[24:27], v[68:69], off offset:80
	global_load_dwordx4 v[28:31], v[68:69], off offset:64
	v_add_co_u32_e64 v64, s[0:1], 4, v64
	v_addc_co_u32_e64 v65, s[0:1], 0, v65, s[0:1]
	v_add_co_u32_e64 v4, s[0:1], 32, v4
	v_addc_co_u32_e64 v5, s[0:1], 0, v5, s[0:1]
	v_add_co_u32_e64 v2, s[0:1], -16, v2
	v_addc_co_u32_e64 v3, s[0:1], -1, v3, s[0:1]
	s_waitcnt vmcnt(6)
	v_subrev_co_u32_e32 v32, vcc, s16, v32
	v_subb_co_u32_e32 v33, vcc, v33, v6, vcc
	v_lshlrev_b64 v[32:33], 5, v[32:33]
	v_add_co_u32_e32 v48, vcc, s6, v32
	v_addc_co_u32_e32 v49, vcc, v7, v33, vcc
	global_load_dwordx4 v[32:35], v[48:49], off
	global_load_dwordx4 v[36:39], v[48:49], off offset:16
	global_load_dwordx4 v[40:43], v[68:69], off offset:96
	;; [unrolled: 1-line block ×3, first 2 shown]
	v_add_co_u32_e32 v68, vcc, s14, v68
	v_addc_co_u32_e32 v69, vcc, 0, v69, vcc
	v_cmp_eq_u64_e32 vcc, 0, v[2:3]
	s_or_b64 s[10:11], vcc, s[10:11]
	s_waitcnt vmcnt(3)
	v_fmac_f64_e32 v[76:77], v[20:21], v[32:33]
	v_fmac_f64_e32 v[74:75], v[22:23], v[32:33]
	;; [unrolled: 1-line block ×8, first 2 shown]
	s_waitcnt vmcnt(2)
	v_fmac_f64_e32 v[76:77], v[28:29], v[36:37]
	v_fmac_f64_e32 v[74:75], v[30:31], v[36:37]
	;; [unrolled: 1-line block ×4, first 2 shown]
	s_waitcnt vmcnt(1)
	v_fmac_f64_e32 v[76:77], v[40:41], v[38:39]
	v_fmac_f64_e32 v[74:75], v[42:43], v[38:39]
	s_waitcnt vmcnt(0)
	v_fmac_f64_e32 v[72:73], v[44:45], v[38:39]
	v_fmac_f64_e32 v[70:71], v[46:47], v[38:39]
	s_andn2_b64 exec, exec, s[10:11]
	s_cbranch_execnz .LBB45_31
; %bb.32:
	s_or_b64 exec, exec, s[10:11]
.LBB45_33:
	s_or_b64 exec, exec, s[8:9]
	v_cmp_lt_u64_e32 vcc, 11, v[0:1]
	s_and_saveexec_b64 s[8:9], vcc
	s_cbranch_execz .LBB45_37
; %bb.34:
	v_lshlrev_b64 v[0:1], 3, v[64:65]
	v_mov_b32_e32 v2, s13
	v_add_co_u32_e32 v0, vcc, s12, v0
	v_addc_co_u32_e32 v1, vcc, v1, v2, vcc
	v_add_co_u32_e32 v44, vcc, 64, v0
	v_addc_co_u32_e32 v45, vcc, 0, v1, vcc
	s_mov_b64 s[10:11], 0
	v_mov_b32_e32 v52, s19
	v_mov_b32_e32 v53, s7
	s_movk_i32 s7, 0x800
.LBB45_35:                              ; =>This Inner Loop Header: Depth=1
	global_load_dwordx2 v[46:47], v[44:45], off offset:-64
	global_load_dwordx4 v[0:3], v[68:69], off offset:48
	global_load_dwordx4 v[4:7], v[68:69], off offset:32
	;; [unrolled: 1-line block ×3, first 2 shown]
	global_load_dwordx4 v[12:15], v[68:69], off
	global_load_dwordx4 v[16:19], v[68:69], off offset:112
	global_load_dwordx4 v[20:23], v[68:69], off offset:96
	;; [unrolled: 1-line block ×7, first 2 shown]
	global_load_dwordx2 v[48:49], v[44:45], off offset:-32
	global_load_dwordx2 v[50:51], v[44:45], off
	global_load_dwordx2 v[54:55], v[44:45], off offset:32
	global_load_dwordx4 v[82:85], v[68:69], off offset:624
	v_add_co_u32_e64 v64, s[0:1], 16, v64
	v_addc_co_u32_e64 v65, s[0:1], 0, v65, s[0:1]
	v_cmp_ge_i64_e64 s[0:1], v[64:65], v[66:67]
	s_or_b64 s[10:11], s[0:1], s[10:11]
	global_load_dwordx4 v[86:89], v[68:69], off offset:608
	s_waitcnt vmcnt(16)
	v_subrev_co_u32_e32 v46, vcc, s16, v46
	v_subb_co_u32_e32 v47, vcc, v47, v52, vcc
	v_lshlrev_b64 v[46:47], 5, v[46:47]
	v_add_co_u32_e32 v46, vcc, s6, v46
	v_addc_co_u32_e32 v47, vcc, v53, v47, vcc
	global_load_dwordx4 v[78:81], v[46:47], off
	s_waitcnt vmcnt(0)
	v_fmac_f64_e32 v[76:77], v[12:13], v[78:79]
	v_fmac_f64_e32 v[74:75], v[14:15], v[78:79]
	;; [unrolled: 1-line block ×4, first 2 shown]
	global_load_dwordx4 v[12:15], v[68:69], off offset:512
	v_fmac_f64_e32 v[76:77], v[4:5], v[80:81]
	v_fmac_f64_e32 v[74:75], v[6:7], v[80:81]
	;; [unrolled: 1-line block ×4, first 2 shown]
	global_load_dwordx4 v[78:81], v[68:69], off offset:592
	global_load_dwordx4 v[90:93], v[68:69], off offset:576
	;; [unrolled: 1-line block ×6, first 2 shown]
	s_waitcnt vmcnt(3)
	v_fmac_f64_e32 v[76:77], v[32:33], v[0:1]
	v_fmac_f64_e32 v[74:75], v[34:35], v[0:1]
	;; [unrolled: 1-line block ×4, first 2 shown]
	v_subrev_co_u32_e32 v0, vcc, s16, v48
	v_subb_co_u32_e32 v1, vcc, v49, v52, vcc
	v_lshlrev_b64 v[0:1], 5, v[0:1]
	v_add_co_u32_e32 v46, vcc, s6, v0
	v_addc_co_u32_e32 v47, vcc, v53, v1, vcc
	v_fmac_f64_e32 v[72:73], v[16:17], v[2:3]
	v_fmac_f64_e32 v[70:71], v[18:19], v[2:3]
	global_load_dwordx4 v[16:19], v[46:47], off
	v_fmac_f64_e32 v[76:77], v[20:21], v[2:3]
	v_fmac_f64_e32 v[74:75], v[22:23], v[2:3]
	global_load_dwordx4 v[32:35], v[68:69], off offset:1072
	global_load_dwordx4 v[24:27], v[68:69], off offset:1056
	;; [unrolled: 1-line block ×4, first 2 shown]
	s_waitcnt vmcnt(4)
	v_fmac_f64_e32 v[76:77], v[12:13], v[16:17]
	v_fmac_f64_e32 v[74:75], v[14:15], v[16:17]
	;; [unrolled: 1-line block ×8, first 2 shown]
	global_load_dwordx4 v[28:31], v[68:69], off offset:1088
	global_load_dwordx4 v[36:39], v[46:47], off offset:16
	v_subrev_co_u32_e32 v46, vcc, s16, v50
	v_subb_co_u32_e32 v47, vcc, v51, v52, vcc
	v_lshlrev_b64 v[46:47], 5, v[46:47]
	v_add_co_u32_e32 v50, vcc, s6, v46
	v_addc_co_u32_e32 v51, vcc, v53, v47, vcc
	global_load_dwordx4 v[46:49], v[50:51], off
	global_load_dwordx4 v[40:43], v[68:69], off offset:1552
	global_load_dwordx4 v[12:15], v[68:69], off offset:1584
	;; [unrolled: 1-line block ×3, first 2 shown]
	s_waitcnt vmcnt(4)
	v_fmac_f64_e32 v[72:73], v[78:79], v[36:37]
	v_fmac_f64_e32 v[70:71], v[80:81], v[36:37]
	;; [unrolled: 1-line block ×4, first 2 shown]
	global_load_dwordx4 v[82:85], v[50:51], off offset:16
	v_fmac_f64_e32 v[76:77], v[90:91], v[36:37]
	v_fmac_f64_e32 v[74:75], v[92:93], v[36:37]
	v_fmac_f64_e32 v[76:77], v[86:87], v[38:39]
	v_fmac_f64_e32 v[74:75], v[88:89], v[38:39]
	global_load_dwordx4 v[36:39], v[68:69], off offset:1536
	s_waitcnt vmcnt(5)
	v_fmac_f64_e32 v[76:77], v[94:95], v[46:47]
	v_fmac_f64_e32 v[74:75], v[96:97], v[46:47]
	;; [unrolled: 1-line block ×4, first 2 shown]
	v_subrev_co_u32_e32 v46, vcc, s16, v54
	v_subb_co_u32_e32 v47, vcc, v55, v52, vcc
	v_lshlrev_b64 v[46:47], 5, v[46:47]
	v_add_co_u32_e32 v54, vcc, s6, v46
	v_addc_co_u32_e32 v55, vcc, v53, v47, vcc
	global_load_dwordx4 v[78:81], v[68:69], off offset:1632
	global_load_dwordx4 v[20:23], v[68:69], off offset:1616
	v_fmac_f64_e32 v[76:77], v[24:25], v[48:49]
	v_fmac_f64_e32 v[74:75], v[26:27], v[48:49]
	global_load_dwordx4 v[24:27], v[68:69], off offset:1600
	v_fmac_f64_e32 v[72:73], v[32:33], v[48:49]
	v_fmac_f64_e32 v[70:71], v[34:35], v[48:49]
	global_load_dwordx4 v[32:35], v[54:55], off
	global_load_dwordx4 v[46:49], v[54:55], off offset:16
	s_waitcnt vmcnt(6)
	v_fmac_f64_e32 v[76:77], v[28:29], v[82:83]
	v_fmac_f64_e32 v[74:75], v[30:31], v[82:83]
	global_load_dwordx4 v[28:31], v[68:69], off offset:1648
	v_fmac_f64_e32 v[72:73], v[8:9], v[82:83]
	v_fmac_f64_e32 v[70:71], v[10:11], v[82:83]
	;; [unrolled: 1-line block ×6, first 2 shown]
	v_add_co_u32_e32 v68, vcc, s7, v68
	v_addc_co_u32_e32 v69, vcc, 0, v69, vcc
	v_add_co_u32_e32 v44, vcc, 0x80, v44
	v_addc_co_u32_e32 v45, vcc, 0, v45, vcc
	s_waitcnt vmcnt(2)
	v_fmac_f64_e32 v[76:77], v[36:37], v[32:33]
	v_fmac_f64_e32 v[74:75], v[38:39], v[32:33]
	;; [unrolled: 1-line block ×8, first 2 shown]
	s_waitcnt vmcnt(1)
	v_fmac_f64_e32 v[76:77], v[24:25], v[46:47]
	v_fmac_f64_e32 v[74:75], v[26:27], v[46:47]
	;; [unrolled: 1-line block ×6, first 2 shown]
	s_waitcnt vmcnt(0)
	v_fmac_f64_e32 v[72:73], v[28:29], v[48:49]
	v_fmac_f64_e32 v[70:71], v[30:31], v[48:49]
	s_andn2_b64 exec, exec, s[10:11]
	s_cbranch_execnz .LBB45_35
; %bb.36:
	s_or_b64 exec, exec, s[10:11]
.LBB45_37:
	s_or_b64 exec, exec, s[8:9]
.LBB45_38:
	s_or_b64 exec, exec, s[2:3]
.LBB45_39:
	v_mov_b32_dpp v0, v76 row_shr:1 row_mask:0xf bank_mask:0xf
	v_mov_b32_dpp v1, v77 row_shr:1 row_mask:0xf bank_mask:0xf
	;; [unrolled: 1-line block ×8, first 2 shown]
	v_add_f64 v[0:1], v[76:77], v[0:1]
	v_add_f64 v[4:5], v[74:75], v[4:5]
	;; [unrolled: 1-line block ×4, first 2 shown]
	v_mov_b32_dpp v2, v0 row_shr:2 row_mask:0xf bank_mask:0xf
	v_mov_b32_dpp v3, v1 row_shr:2 row_mask:0xf bank_mask:0xf
	;; [unrolled: 1-line block ×8, first 2 shown]
	v_cmp_eq_u32_e32 vcc, 3, v62
	s_and_b64 exec, exec, vcc
	s_cbranch_execz .LBB45_10
; %bb.40:
	s_load_dwordx2 s[0:1], s[4:5], 0x58
	v_add_f64 v[0:1], v[0:1], v[2:3]
	v_add_f64 v[2:3], v[4:5], v[6:7]
	v_add_f64 v[8:9], v[8:9], v[10:11]
	v_add_f64 v[10:11], v[12:13], v[14:15]
	v_cmp_eq_f64_e32 vcc, 0, v[56:57]
	v_mul_f64 v[4:5], v[58:59], v[0:1]
	v_mul_f64 v[6:7], v[58:59], v[2:3]
	;; [unrolled: 1-line block ×4, first 2 shown]
	v_lshlrev_b64 v[8:9], 5, v[60:61]
	s_and_saveexec_b64 s[2:3], vcc
	s_xor_b64 s[2:3], exec, s[2:3]
	s_cbranch_execz .LBB45_42
; %bb.41:
	s_waitcnt lgkmcnt(0)
	v_mov_b32_e32 v10, s1
	v_add_co_u32_e32 v8, vcc, s0, v8
	v_addc_co_u32_e32 v9, vcc, v10, v9, vcc
	global_store_dwordx4 v[8:9], v[4:7], off
	global_store_dwordx4 v[8:9], v[0:3], off offset:16
                                        ; implicit-def: $vgpr8_vgpr9
                                        ; implicit-def: $vgpr56_vgpr57
                                        ; implicit-def: $vgpr4_vgpr5
                                        ; implicit-def: $vgpr0_vgpr1
.LBB45_42:
	s_andn2_saveexec_b64 s[2:3], s[2:3]
	s_cbranch_execz .LBB45_10
; %bb.43:
	s_waitcnt lgkmcnt(0)
	v_mov_b32_e32 v10, s1
	v_add_co_u32_e32 v16, vcc, s0, v8
	v_addc_co_u32_e32 v17, vcc, v10, v9, vcc
	global_load_dwordx4 v[8:11], v[16:17], off
	global_load_dwordx4 v[12:15], v[16:17], off offset:16
	s_waitcnt vmcnt(1)
	v_fmac_f64_e32 v[4:5], v[56:57], v[8:9]
	v_fmac_f64_e32 v[6:7], v[56:57], v[10:11]
	s_waitcnt vmcnt(0)
	v_fmac_f64_e32 v[0:1], v[56:57], v[12:13]
	v_fmac_f64_e32 v[2:3], v[56:57], v[14:15]
	global_store_dwordx4 v[16:17], v[4:7], off
	global_store_dwordx4 v[16:17], v[0:3], off offset:16
	s_endpgm
	.section	.rodata,"a",@progbits
	.p2align	6, 0x0
	.amdhsa_kernel _ZN9rocsparseL18bsrxmvn_4x4_kernelILj128ELj4EdlldddEEvT3_20rocsparse_direction_NS_24const_host_device_scalarIT1_EES1_PKS1_PKT2_SA_S7_PKT4_PKT5_S5_PT6_21rocsparse_index_base_b
		.amdhsa_group_segment_fixed_size 0
		.amdhsa_private_segment_fixed_size 0
		.amdhsa_kernarg_size 104
		.amdhsa_user_sgpr_count 6
		.amdhsa_user_sgpr_private_segment_buffer 1
		.amdhsa_user_sgpr_dispatch_ptr 0
		.amdhsa_user_sgpr_queue_ptr 0
		.amdhsa_user_sgpr_kernarg_segment_ptr 1
		.amdhsa_user_sgpr_dispatch_id 0
		.amdhsa_user_sgpr_flat_scratch_init 0
		.amdhsa_user_sgpr_kernarg_preload_length 0
		.amdhsa_user_sgpr_kernarg_preload_offset 0
		.amdhsa_user_sgpr_private_segment_size 0
		.amdhsa_uses_dynamic_stack 0
		.amdhsa_system_sgpr_private_segment_wavefront_offset 0
		.amdhsa_system_sgpr_workgroup_id_x 1
		.amdhsa_system_sgpr_workgroup_id_y 0
		.amdhsa_system_sgpr_workgroup_id_z 0
		.amdhsa_system_sgpr_workgroup_info 0
		.amdhsa_system_vgpr_workitem_id 0
		.amdhsa_next_free_vgpr 106
		.amdhsa_next_free_sgpr 22
		.amdhsa_accum_offset 108
		.amdhsa_reserve_vcc 1
		.amdhsa_reserve_flat_scratch 0
		.amdhsa_float_round_mode_32 0
		.amdhsa_float_round_mode_16_64 0
		.amdhsa_float_denorm_mode_32 3
		.amdhsa_float_denorm_mode_16_64 3
		.amdhsa_dx10_clamp 1
		.amdhsa_ieee_mode 1
		.amdhsa_fp16_overflow 0
		.amdhsa_tg_split 0
		.amdhsa_exception_fp_ieee_invalid_op 0
		.amdhsa_exception_fp_denorm_src 0
		.amdhsa_exception_fp_ieee_div_zero 0
		.amdhsa_exception_fp_ieee_overflow 0
		.amdhsa_exception_fp_ieee_underflow 0
		.amdhsa_exception_fp_ieee_inexact 0
		.amdhsa_exception_int_div_zero 0
	.end_amdhsa_kernel
	.section	.text._ZN9rocsparseL18bsrxmvn_4x4_kernelILj128ELj4EdlldddEEvT3_20rocsparse_direction_NS_24const_host_device_scalarIT1_EES1_PKS1_PKT2_SA_S7_PKT4_PKT5_S5_PT6_21rocsparse_index_base_b,"axG",@progbits,_ZN9rocsparseL18bsrxmvn_4x4_kernelILj128ELj4EdlldddEEvT3_20rocsparse_direction_NS_24const_host_device_scalarIT1_EES1_PKS1_PKT2_SA_S7_PKT4_PKT5_S5_PT6_21rocsparse_index_base_b,comdat
.Lfunc_end45:
	.size	_ZN9rocsparseL18bsrxmvn_4x4_kernelILj128ELj4EdlldddEEvT3_20rocsparse_direction_NS_24const_host_device_scalarIT1_EES1_PKS1_PKT2_SA_S7_PKT4_PKT5_S5_PT6_21rocsparse_index_base_b, .Lfunc_end45-_ZN9rocsparseL18bsrxmvn_4x4_kernelILj128ELj4EdlldddEEvT3_20rocsparse_direction_NS_24const_host_device_scalarIT1_EES1_PKS1_PKT2_SA_S7_PKT4_PKT5_S5_PT6_21rocsparse_index_base_b
                                        ; -- End function
	.section	.AMDGPU.csdata,"",@progbits
; Kernel info:
; codeLenInByte = 3688
; NumSgprs: 26
; NumVgprs: 106
; NumAgprs: 0
; TotalNumVgprs: 106
; ScratchSize: 0
; MemoryBound: 1
; FloatMode: 240
; IeeeMode: 1
; LDSByteSize: 0 bytes/workgroup (compile time only)
; SGPRBlocks: 3
; VGPRBlocks: 13
; NumSGPRsForWavesPerEU: 26
; NumVGPRsForWavesPerEU: 106
; AccumOffset: 108
; Occupancy: 4
; WaveLimiterHint : 1
; COMPUTE_PGM_RSRC2:SCRATCH_EN: 0
; COMPUTE_PGM_RSRC2:USER_SGPR: 6
; COMPUTE_PGM_RSRC2:TRAP_HANDLER: 0
; COMPUTE_PGM_RSRC2:TGID_X_EN: 1
; COMPUTE_PGM_RSRC2:TGID_Y_EN: 0
; COMPUTE_PGM_RSRC2:TGID_Z_EN: 0
; COMPUTE_PGM_RSRC2:TIDIG_COMP_CNT: 0
; COMPUTE_PGM_RSRC3_GFX90A:ACCUM_OFFSET: 26
; COMPUTE_PGM_RSRC3_GFX90A:TG_SPLIT: 0
	.section	.text._ZN9rocsparseL18bsrxmvn_4x4_kernelILj128ELj8EdlldddEEvT3_20rocsparse_direction_NS_24const_host_device_scalarIT1_EES1_PKS1_PKT2_SA_S7_PKT4_PKT5_S5_PT6_21rocsparse_index_base_b,"axG",@progbits,_ZN9rocsparseL18bsrxmvn_4x4_kernelILj128ELj8EdlldddEEvT3_20rocsparse_direction_NS_24const_host_device_scalarIT1_EES1_PKS1_PKT2_SA_S7_PKT4_PKT5_S5_PT6_21rocsparse_index_base_b,comdat
	.globl	_ZN9rocsparseL18bsrxmvn_4x4_kernelILj128ELj8EdlldddEEvT3_20rocsparse_direction_NS_24const_host_device_scalarIT1_EES1_PKS1_PKT2_SA_S7_PKT4_PKT5_S5_PT6_21rocsparse_index_base_b ; -- Begin function _ZN9rocsparseL18bsrxmvn_4x4_kernelILj128ELj8EdlldddEEvT3_20rocsparse_direction_NS_24const_host_device_scalarIT1_EES1_PKS1_PKT2_SA_S7_PKT4_PKT5_S5_PT6_21rocsparse_index_base_b
	.p2align	8
	.type	_ZN9rocsparseL18bsrxmvn_4x4_kernelILj128ELj8EdlldddEEvT3_20rocsparse_direction_NS_24const_host_device_scalarIT1_EES1_PKS1_PKT2_SA_S7_PKT4_PKT5_S5_PT6_21rocsparse_index_base_b,@function
_ZN9rocsparseL18bsrxmvn_4x4_kernelILj128ELj8EdlldddEEvT3_20rocsparse_direction_NS_24const_host_device_scalarIT1_EES1_PKS1_PKT2_SA_S7_PKT4_PKT5_S5_PT6_21rocsparse_index_base_b: ; @_ZN9rocsparseL18bsrxmvn_4x4_kernelILj128ELj8EdlldddEEvT3_20rocsparse_direction_NS_24const_host_device_scalarIT1_EES1_PKS1_PKT2_SA_S7_PKT4_PKT5_S5_PT6_21rocsparse_index_base_b
; %bb.0:
	s_load_dwordx2 s[16:17], s[4:5], 0x60
	s_load_dwordx4 s[0:3], s[4:5], 0x10
	s_load_dwordx2 s[8:9], s[4:5], 0x50
	s_waitcnt lgkmcnt(0)
	s_bitcmp1_b32 s17, 0
	s_cselect_b64 s[12:13], -1, 0
	s_xor_b64 s[10:11], s[12:13], -1
	s_and_b64 vcc, exec, s[12:13]
	v_pk_mov_b32 v[58:59], s[0:1], s[0:1] op_sel:[0,1]
	s_cbranch_vccnz .LBB46_2
; %bb.1:
	v_pk_mov_b32 v[2:3], s[0:1], s[0:1] op_sel:[0,1]
	flat_load_dwordx2 v[58:59], v[2:3]
.LBB46_2:
	s_andn2_b64 vcc, exec, s[10:11]
	v_pk_mov_b32 v[56:57], s[8:9], s[8:9] op_sel:[0,1]
	s_cbranch_vccnz .LBB46_4
; %bb.3:
	v_pk_mov_b32 v[2:3], s[8:9], s[8:9] op_sel:[0,1]
	flat_load_dwordx2 v[56:57], v[2:3]
.LBB46_4:
	s_waitcnt vmcnt(0) lgkmcnt(0)
	v_cmp_neq_f64_e32 vcc, 0, v[58:59]
	v_cmp_neq_f64_e64 s[0:1], 1.0, v[56:57]
	s_mov_b64 s[8:9], 0
	s_or_b64 s[0:1], vcc, s[0:1]
	s_and_saveexec_b64 s[10:11], s[0:1]
	s_cbranch_execz .LBB46_10
; %bb.5:
	s_load_dwordx2 s[10:11], s[4:5], 0x20
	v_lshrrev_b32_e32 v1, 3, v0
	v_lshl_or_b32 v2, s6, 4, v1
	v_mov_b32_e32 v3, 0
	s_mov_b64 s[0:1], 0
	s_waitcnt lgkmcnt(0)
	s_cmp_lg_u64 s[10:11], 0
	s_cbranch_scc0 .LBB46_11
; %bb.6:
	v_cmp_gt_i64_e32 vcc, s[2:3], v[2:3]
                                        ; implicit-def: $vgpr60_vgpr61
	s_and_saveexec_b64 s[2:3], vcc
	s_xor_b64 s[2:3], exec, s[2:3]
                                        ; implicit-def: $sgpr18_sgpr19
	s_cbranch_execz .LBB46_8
; %bb.7:
	v_lshlrev_b64 v[4:5], 3, v[2:3]
	v_mov_b32_e32 v1, s11
	v_add_co_u32_e32 v4, vcc, s10, v4
	v_addc_co_u32_e32 v5, vcc, v1, v5, vcc
	global_load_dwordx2 v[4:5], v[4:5], off
	s_mov_b64 s[0:1], exec
	s_mov_b32 s19, 0
	s_waitcnt vmcnt(0)
	v_subrev_co_u32_e32 v60, vcc, s16, v4
	v_subbrev_co_u32_e32 v61, vcc, 0, v5, vcc
.LBB46_8:
	s_or_b64 exec, exec, s[2:3]
	s_mov_b64 s[8:9], s[0:1]
.LBB46_9:
	s_and_b64 exec, exec, s[8:9]
	s_cbranch_execnz .LBB46_15
.LBB46_10:
	s_endpgm
.LBB46_11:
                                        ; implicit-def: $vgpr60_vgpr61
                                        ; implicit-def: $sgpr18_sgpr19
	s_cbranch_execz .LBB46_9
; %bb.12:
	s_load_dwordx2 s[0:1], s[4:5], 0x0
                                        ; implicit-def: $vgpr60_vgpr61
	s_waitcnt lgkmcnt(0)
	v_cmp_gt_i64_e32 vcc, s[0:1], v[2:3]
	s_and_saveexec_b64 s[0:1], vcc
                                        ; implicit-def: $sgpr18_sgpr19
; %bb.13:
	s_mov_b32 s19, 0
	s_or_b64 s[8:9], s[8:9], exec
	v_pk_mov_b32 v[60:61], v[2:3], v[2:3] op_sel:[0,1]
; %bb.14:
	s_or_b64 exec, exec, s[0:1]
	s_and_b64 exec, exec, s[8:9]
	s_cbranch_execz .LBB46_10
.LBB46_15:
	s_load_dwordx8 s[8:15], s[4:5], 0x28
	v_lshlrev_b64 v[2:3], 3, v[60:61]
	v_and_b32_e32 v62, 7, v0
	v_mov_b32_e32 v0, s19
	s_waitcnt lgkmcnt(0)
	v_mov_b32_e32 v1, s9
	v_add_co_u32_e32 v4, vcc, s8, v2
	v_addc_co_u32_e32 v5, vcc, v1, v3, vcc
	v_add_co_u32_e32 v1, vcc, 8, v4
	global_load_dwordx2 v[78:79], v[4:5], off
	v_addc_co_u32_e32 v4, vcc, 0, v5, vcc
	v_mov_b32_e32 v5, s11
	v_add_co_u32_e32 v2, vcc, s10, v2
	s_cmp_eq_u64 s[10:11], 0
	v_addc_co_u32_e32 v3, vcc, v5, v3, vcc
	s_cselect_b64 vcc, -1, 0
	v_cndmask_b32_e32 v3, v3, v4, vcc
	v_cndmask_b32_e32 v2, v2, v1, vcc
	global_load_dwordx2 v[2:3], v[2:3], off
	s_load_dword s0, s[4:5], 0x8
	s_load_dwordx2 s[6:7], s[4:5], 0x48
	v_mov_b32_e32 v4, s15
	s_waitcnt lgkmcnt(0)
	s_cmp_eq_u32 s0, 1
	s_waitcnt vmcnt(1)
	v_subrev_co_u32_e32 v1, vcc, s16, v78
	v_subb_co_u32_e32 v5, vcc, v79, v0, vcc
	v_add_co_u32_e32 v64, vcc, v1, v62
	v_addc_co_u32_e32 v65, vcc, 0, v5, vcc
	s_waitcnt vmcnt(0)
	v_subrev_co_u32_e32 v66, vcc, s16, v2
	v_subb_co_u32_e32 v67, vcc, v3, v0, vcc
	v_lshlrev_b64 v[0:1], 7, v[64:65]
	v_add_co_u32_e32 v68, vcc, s14, v0
	v_addc_co_u32_e32 v69, vcc, v4, v1, vcc
	v_cmp_lt_i64_e64 s[0:1], v[64:65], v[66:67]
	s_cbranch_scc1 .LBB46_27
; %bb.16:
	v_pk_mov_b32 v[70:71], 0, 0
	s_mov_b64 s[8:9], 0
	v_pk_mov_b32 v[72:73], v[70:71], v[70:71] op_sel:[0,1]
	v_pk_mov_b32 v[74:75], v[70:71], v[70:71] op_sel:[0,1]
	v_pk_mov_b32 v[76:77], v[70:71], v[70:71] op_sel:[0,1]
	s_and_saveexec_b64 s[10:11], s[0:1]
	s_cbranch_execz .LBB46_26
; %bb.17:
	v_or_b32_e32 v0, 8, v62
	v_mov_b32_e32 v1, s19
	v_subrev_co_u32_e32 v0, vcc, s16, v0
	v_subb_co_u32_e32 v1, vcc, 0, v1, vcc
	v_add_co_u32_e32 v0, vcc, v0, v78
	v_addc_co_u32_e32 v1, vcc, v1, v79, vcc
	v_cmp_gt_i64_e32 vcc, v[0:1], v[66:67]
	v_cndmask_b32_e32 v1, v67, v1, vcc
	v_cndmask_b32_e32 v0, v66, v0, vcc
	v_mov_b32_e32 v4, s19
	v_sub_co_u32_e32 v5, vcc, s16, v62
	v_not_b32_e32 v3, v78
	v_subbrev_co_u32_e32 v4, vcc, 0, v4, vcc
	v_not_b32_e32 v2, v79
	v_add_co_u32_e32 v3, vcc, v5, v3
	v_addc_co_u32_e32 v2, vcc, v4, v2, vcc
	v_add_co_u32_e32 v0, vcc, v3, v0
	v_addc_co_u32_e32 v1, vcc, v2, v1, vcc
	v_lshrrev_b32_e32 v2, 3, v0
	v_add_u32_e32 v2, 1, v2
	v_and_b32_e32 v2, 3, v2
	v_pk_mov_b32 v[76:77], 0, 0
	v_cmp_ne_u32_e32 vcc, 0, v2
	s_mov_b64 s[20:21], 0
	v_pk_mov_b32 v[74:75], v[76:77], v[76:77] op_sel:[0,1]
	v_pk_mov_b32 v[72:73], v[76:77], v[76:77] op_sel:[0,1]
	;; [unrolled: 1-line block ×5, first 2 shown]
	s_and_saveexec_b64 s[14:15], vcc
	s_cbranch_execz .LBB46_21
; %bb.18:
	v_lshlrev_b64 v[4:5], 3, v[64:65]
	v_mov_b32_e32 v6, s13
	v_add_co_u32_e32 v4, vcc, s12, v4
	v_pk_mov_b32 v[70:71], 0, 0
	v_mov_b32_e32 v3, 0
	v_addc_co_u32_e32 v5, vcc, v6, v5, vcc
	v_lshlrev_b32_e32 v2, 4, v2
	s_movk_i32 s17, 0x400
	v_mov_b32_e32 v6, s19
	v_mov_b32_e32 v7, s7
	v_pk_mov_b32 v[82:83], v[68:69], v[68:69] op_sel:[0,1]
	v_pk_mov_b32 v[80:81], v[64:65], v[64:65] op_sel:[0,1]
	;; [unrolled: 1-line block ×5, first 2 shown]
.LBB46_19:                              ; =>This Inner Loop Header: Depth=1
	global_load_dwordx2 v[40:41], v[4:5], off
	global_load_dwordx4 v[8:11], v[82:83], off offset:48
	global_load_dwordx4 v[12:15], v[82:83], off offset:32
	global_load_dwordx4 v[16:19], v[82:83], off offset:16
	global_load_dwordx4 v[20:23], v[82:83], off
	global_load_dwordx4 v[24:27], v[82:83], off offset:112
	global_load_dwordx4 v[28:31], v[82:83], off offset:96
	;; [unrolled: 1-line block ×4, first 2 shown]
	v_add_co_u32_e64 v80, s[2:3], 8, v80
	v_addc_co_u32_e64 v81, s[2:3], 0, v81, s[2:3]
	v_add_co_u32_e64 v4, s[2:3], 64, v4
	v_addc_co_u32_e64 v5, s[2:3], 0, v5, s[2:3]
	v_add_co_u32_e64 v2, s[2:3], -16, v2
	v_addc_co_u32_e64 v3, s[2:3], -1, v3, s[2:3]
	s_waitcnt vmcnt(8)
	v_subrev_co_u32_e32 v40, vcc, s16, v40
	v_subb_co_u32_e32 v41, vcc, v41, v6, vcc
	v_lshlrev_b64 v[40:41], 5, v[40:41]
	v_add_co_u32_e32 v48, vcc, s6, v40
	v_addc_co_u32_e32 v49, vcc, v7, v41, vcc
	global_load_dwordx4 v[40:43], v[48:49], off
	global_load_dwordx4 v[44:47], v[48:49], off offset:16
	v_add_co_u32_e32 v82, vcc, s17, v82
	v_addc_co_u32_e32 v83, vcc, 0, v83, vcc
	v_cmp_eq_u64_e32 vcc, 0, v[2:3]
	s_or_b64 s[20:21], vcc, s[20:21]
	s_waitcnt vmcnt(1)
	v_fmac_f64_e32 v[76:77], v[20:21], v[40:41]
	v_fmac_f64_e32 v[74:75], v[12:13], v[40:41]
	;; [unrolled: 1-line block ×8, first 2 shown]
	s_waitcnt vmcnt(0)
	v_fmac_f64_e32 v[76:77], v[16:17], v[44:45]
	v_fmac_f64_e32 v[74:75], v[8:9], v[44:45]
	;; [unrolled: 1-line block ×8, first 2 shown]
	s_andn2_b64 exec, exec, s[20:21]
	s_cbranch_execnz .LBB46_19
; %bb.20:
	s_or_b64 exec, exec, s[20:21]
.LBB46_21:
	s_or_b64 exec, exec, s[14:15]
	v_cmp_lt_u64_e32 vcc, 23, v[0:1]
	s_and_saveexec_b64 s[14:15], vcc
	s_cbranch_execz .LBB46_25
; %bb.22:
	v_lshlrev_b64 v[0:1], 3, v[80:81]
	v_mov_b32_e32 v2, s13
	v_add_co_u32_e32 v0, vcc, s12, v0
	v_addc_co_u32_e32 v1, vcc, v1, v2, vcc
	v_add_co_u32_e32 v84, vcc, 0x80, v0
	v_addc_co_u32_e32 v85, vcc, 0, v1, vcc
	s_mov_b64 s[20:21], 0
	v_mov_b32_e32 v63, s19
	v_mov_b32_e32 v88, s7
	s_movk_i32 s17, 0x1000
.LBB46_23:                              ; =>This Inner Loop Header: Depth=1
	global_load_dwordx2 v[86:87], v[84:85], off offset:-128
	global_load_dwordx4 v[0:3], v[82:83], off offset:48
	global_load_dwordx4 v[12:15], v[82:83], off offset:32
	;; [unrolled: 1-line block ×3, first 2 shown]
	global_load_dwordx4 v[90:93], v[82:83], off
	global_load_dwordx4 v[28:31], v[82:83], off offset:112
	global_load_dwordx4 v[36:39], v[82:83], off offset:96
	;; [unrolled: 1-line block ×11, first 2 shown]
	s_waitcnt vmcnt(15)
	v_subrev_co_u32_e32 v86, vcc, s16, v86
	v_subb_co_u32_e32 v87, vcc, v87, v63, vcc
	v_lshlrev_b64 v[86:87], 5, v[86:87]
	v_add_co_u32_e32 v98, vcc, s6, v86
	v_addc_co_u32_e32 v99, vcc, v88, v87, vcc
	global_load_dwordx4 v[94:97], v[98:99], off
	global_load_dwordx2 v[100:101], v[84:85], off offset:-64
	global_load_dwordx2 v[102:103], v[84:85], off
	global_load_dwordx2 v[86:87], v[84:85], off offset:64
	s_waitcnt vmcnt(3)
	v_fmac_f64_e32 v[76:77], v[90:91], v[94:95]
	v_fmac_f64_e32 v[74:75], v[12:13], v[94:95]
	;; [unrolled: 1-line block ×7, first 2 shown]
	global_load_dwordx4 v[44:47], v[82:83], off offset:1088
	v_fmac_f64_e32 v[70:71], v[38:39], v[96:97]
	global_load_dwordx4 v[12:15], v[82:83], off offset:2096
	global_load_dwordx4 v[90:93], v[82:83], off offset:2080
	;; [unrolled: 1-line block ×4, first 2 shown]
	s_waitcnt vmcnt(1)
	v_fmac_f64_e32 v[70:71], v[28:29], v[36:37]
	v_subrev_co_u32_e32 v28, vcc, s16, v100
	v_subb_co_u32_e32 v29, vcc, v101, v63, vcc
	v_lshlrev_b64 v[28:29], 5, v[28:29]
	v_add_co_u32_e32 v104, vcc, s6, v28
	v_addc_co_u32_e32 v105, vcc, v88, v29, vcc
	global_load_dwordx4 v[98:101], v[104:105], off
	v_fmac_f64_e32 v[76:77], v[4:5], v[36:37]
	v_fmac_f64_e32 v[74:75], v[0:1], v[36:37]
	;; [unrolled: 1-line block ×6, first 2 shown]
	global_load_dwordx4 v[4:7], v[82:83], off offset:2064
	global_load_dwordx4 v[0:3], v[82:83], off offset:2160
	v_fmac_f64_e32 v[70:71], v[30:31], v[38:39]
	global_load_dwordx4 v[36:39], v[82:83], off offset:2144
	global_load_dwordx4 v[28:31], v[82:83], off offset:2128
	;; [unrolled: 1-line block ×3, first 2 shown]
	s_waitcnt vmcnt(5)
	v_fmac_f64_e32 v[76:77], v[48:49], v[98:99]
	v_fmac_f64_e32 v[74:75], v[40:41], v[98:99]
	v_fmac_f64_e32 v[72:73], v[44:45], v[98:99]
	v_fmac_f64_e32 v[76:77], v[50:51], v[100:101]
	global_load_dwordx4 v[48:51], v[82:83], off offset:2112
	v_fmac_f64_e32 v[74:75], v[42:43], v[100:101]
	v_fmac_f64_e32 v[72:73], v[46:47], v[100:101]
	global_load_dwordx4 v[40:43], v[82:83], off offset:3104
	global_load_dwordx4 v[44:47], v[104:105], off offset:16
	v_fmac_f64_e32 v[70:71], v[52:53], v[98:99]
	v_fmac_f64_e32 v[70:71], v[54:55], v[100:101]
	global_load_dwordx4 v[52:55], v[82:83], off offset:3152
	s_waitcnt vmcnt(1)
	v_fmac_f64_e32 v[76:77], v[24:25], v[44:45]
	v_fmac_f64_e32 v[74:75], v[16:17], v[44:45]
	;; [unrolled: 1-line block ×4, first 2 shown]
	v_subrev_co_u32_e32 v44, vcc, s16, v102
	v_subb_co_u32_e32 v45, vcc, v103, v63, vcc
	v_lshlrev_b64 v[44:45], 5, v[44:45]
	v_add_co_u32_e32 v98, vcc, s6, v44
	v_addc_co_u32_e32 v99, vcc, v88, v45, vcc
	v_fmac_f64_e32 v[76:77], v[26:27], v[46:47]
	v_fmac_f64_e32 v[74:75], v[18:19], v[46:47]
	;; [unrolled: 1-line block ×4, first 2 shown]
	global_load_dwordx4 v[44:47], v[98:99], off
	v_subrev_co_u32_e32 v86, vcc, s16, v86
	v_subb_co_u32_e32 v87, vcc, v87, v63, vcc
	v_lshlrev_b64 v[86:87], 5, v[86:87]
	v_add_co_u32_e32 v86, vcc, s6, v86
	v_addc_co_u32_e32 v87, vcc, v88, v87, vcc
	global_load_dwordx4 v[24:27], v[82:83], off offset:3088
	global_load_dwordx4 v[16:19], v[82:83], off offset:3072
	global_load_dwordx4 v[20:23], v[82:83], off offset:3184
	global_load_dwordx4 v[8:11], v[82:83], off offset:3168
	s_waitcnt vmcnt(4)
	v_fmac_f64_e32 v[76:77], v[94:95], v[44:45]
	v_fmac_f64_e32 v[76:77], v[96:97], v[46:47]
	global_load_dwordx4 v[94:97], v[98:99], off offset:16
	v_fmac_f64_e32 v[74:75], v[90:91], v[44:45]
	v_fmac_f64_e32 v[72:73], v[48:49], v[44:45]
	;; [unrolled: 1-line block ×3, first 2 shown]
	global_load_dwordx4 v[90:93], v[82:83], off offset:3136
	v_fmac_f64_e32 v[72:73], v[50:51], v[46:47]
	global_load_dwordx4 v[48:51], v[86:87], off
	v_fmac_f64_e32 v[70:71], v[36:37], v[44:45]
	v_fmac_f64_e32 v[70:71], v[38:39], v[46:47]
	global_load_dwordx4 v[36:39], v[86:87], off offset:16
	v_add_co_u32_e32 v82, vcc, s17, v82
	s_mov_b64 s[2:3], vcc
	v_add_co_u32_e32 v80, vcc, 32, v80
	v_addc_co_u32_e32 v81, vcc, 0, v81, vcc
	v_addc_co_u32_e64 v83, s[2:3], 0, v83, s[2:3]
	v_add_co_u32_e32 v84, vcc, 0x100, v84
	v_cmp_ge_i64_e64 s[2:3], v[80:81], v[66:67]
	v_addc_co_u32_e32 v85, vcc, 0, v85, vcc
	s_or_b64 s[20:21], s[2:3], s[20:21]
	s_waitcnt vmcnt(3)
	v_fmac_f64_e32 v[76:77], v[4:5], v[94:95]
	v_fmac_f64_e32 v[74:75], v[12:13], v[94:95]
	v_fmac_f64_e32 v[72:73], v[28:29], v[94:95]
	v_fmac_f64_e32 v[70:71], v[0:1], v[94:95]
	v_fmac_f64_e32 v[76:77], v[6:7], v[96:97]
	v_fmac_f64_e32 v[74:75], v[14:15], v[96:97]
	v_fmac_f64_e32 v[72:73], v[30:31], v[96:97]
	v_fmac_f64_e32 v[70:71], v[2:3], v[96:97]
	s_waitcnt vmcnt(1)
	v_fmac_f64_e32 v[76:77], v[16:17], v[48:49]
	v_fmac_f64_e32 v[74:75], v[40:41], v[48:49]
	v_fmac_f64_e32 v[72:73], v[90:91], v[48:49]
	v_fmac_f64_e32 v[70:71], v[8:9], v[48:49]
	v_fmac_f64_e32 v[76:77], v[18:19], v[50:51]
	v_fmac_f64_e32 v[74:75], v[42:43], v[50:51]
	v_fmac_f64_e32 v[72:73], v[92:93], v[50:51]
	v_fmac_f64_e32 v[70:71], v[10:11], v[50:51]
	;; [unrolled: 9-line block ×3, first 2 shown]
	s_andn2_b64 exec, exec, s[20:21]
	s_cbranch_execnz .LBB46_23
; %bb.24:
	s_or_b64 exec, exec, s[20:21]
.LBB46_25:
	s_or_b64 exec, exec, s[14:15]
.LBB46_26:
	s_or_b64 exec, exec, s[10:11]
	s_andn2_b64 vcc, exec, s[8:9]
	s_cbranch_vccz .LBB46_28
	s_branch .LBB46_39
.LBB46_27:
                                        ; implicit-def: $vgpr70_vgpr71
                                        ; implicit-def: $vgpr72_vgpr73
                                        ; implicit-def: $vgpr74_vgpr75
                                        ; implicit-def: $vgpr76_vgpr77
.LBB46_28:
	v_pk_mov_b32 v[70:71], 0, 0
	v_pk_mov_b32 v[72:73], v[70:71], v[70:71] op_sel:[0,1]
	v_pk_mov_b32 v[74:75], v[70:71], v[70:71] op_sel:[0,1]
	;; [unrolled: 1-line block ×3, first 2 shown]
	s_and_saveexec_b64 s[2:3], s[0:1]
	s_cbranch_execz .LBB46_38
; %bb.29:
	v_or_b32_e32 v0, 8, v62
	v_mov_b32_e32 v1, s19
	v_subrev_co_u32_e32 v0, vcc, s16, v0
	v_subb_co_u32_e32 v1, vcc, 0, v1, vcc
	v_add_co_u32_e32 v0, vcc, v0, v78
	v_addc_co_u32_e32 v1, vcc, v1, v79, vcc
	v_cmp_gt_i64_e32 vcc, v[0:1], v[66:67]
	v_cndmask_b32_e32 v1, v67, v1, vcc
	v_cndmask_b32_e32 v0, v66, v0, vcc
	v_mov_b32_e32 v4, s19
	v_sub_co_u32_e32 v5, vcc, s16, v62
	v_not_b32_e32 v3, v78
	v_subbrev_co_u32_e32 v4, vcc, 0, v4, vcc
	v_not_b32_e32 v2, v79
	v_add_co_u32_e32 v3, vcc, v5, v3
	v_addc_co_u32_e32 v2, vcc, v4, v2, vcc
	v_add_co_u32_e32 v0, vcc, v3, v0
	v_addc_co_u32_e32 v1, vcc, v2, v1, vcc
	v_lshrrev_b32_e32 v2, 3, v0
	v_add_u32_e32 v2, 1, v2
	v_and_b32_e32 v2, 3, v2
	v_pk_mov_b32 v[76:77], 0, 0
	v_cmp_ne_u32_e32 vcc, 0, v2
	s_mov_b64 s[10:11], 0
	v_pk_mov_b32 v[74:75], v[76:77], v[76:77] op_sel:[0,1]
	v_pk_mov_b32 v[72:73], v[76:77], v[76:77] op_sel:[0,1]
	v_pk_mov_b32 v[70:71], v[76:77], v[76:77] op_sel:[0,1]
	s_and_saveexec_b64 s[8:9], vcc
	s_cbranch_execz .LBB46_33
; %bb.30:
	v_lshlrev_b64 v[4:5], 3, v[64:65]
	v_mov_b32_e32 v6, s13
	v_add_co_u32_e32 v4, vcc, s12, v4
	v_pk_mov_b32 v[70:71], 0, 0
	v_mov_b32_e32 v3, 0
	v_addc_co_u32_e32 v5, vcc, v6, v5, vcc
	v_lshlrev_b32_e32 v2, 4, v2
	s_movk_i32 s14, 0x400
	v_mov_b32_e32 v6, s19
	v_mov_b32_e32 v7, s7
	v_pk_mov_b32 v[72:73], v[70:71], v[70:71] op_sel:[0,1]
	v_pk_mov_b32 v[74:75], v[70:71], v[70:71] op_sel:[0,1]
	;; [unrolled: 1-line block ×3, first 2 shown]
.LBB46_31:                              ; =>This Inner Loop Header: Depth=1
	global_load_dwordx2 v[32:33], v[4:5], off
	global_load_dwordx4 v[8:11], v[68:69], off offset:48
	global_load_dwordx4 v[12:15], v[68:69], off offset:32
	;; [unrolled: 1-line block ×3, first 2 shown]
	global_load_dwordx4 v[20:23], v[68:69], off
	global_load_dwordx4 v[24:27], v[68:69], off offset:80
	global_load_dwordx4 v[28:31], v[68:69], off offset:64
	v_add_co_u32_e64 v64, s[0:1], 8, v64
	v_addc_co_u32_e64 v65, s[0:1], 0, v65, s[0:1]
	v_add_co_u32_e64 v4, s[0:1], 64, v4
	v_addc_co_u32_e64 v5, s[0:1], 0, v5, s[0:1]
	v_add_co_u32_e64 v2, s[0:1], -16, v2
	v_addc_co_u32_e64 v3, s[0:1], -1, v3, s[0:1]
	s_waitcnt vmcnt(6)
	v_subrev_co_u32_e32 v32, vcc, s16, v32
	v_subb_co_u32_e32 v33, vcc, v33, v6, vcc
	v_lshlrev_b64 v[32:33], 5, v[32:33]
	v_add_co_u32_e32 v48, vcc, s6, v32
	v_addc_co_u32_e32 v49, vcc, v7, v33, vcc
	global_load_dwordx4 v[32:35], v[48:49], off
	global_load_dwordx4 v[36:39], v[48:49], off offset:16
	global_load_dwordx4 v[40:43], v[68:69], off offset:96
	;; [unrolled: 1-line block ×3, first 2 shown]
	v_add_co_u32_e32 v68, vcc, s14, v68
	v_addc_co_u32_e32 v69, vcc, 0, v69, vcc
	v_cmp_eq_u64_e32 vcc, 0, v[2:3]
	s_or_b64 s[10:11], vcc, s[10:11]
	s_waitcnt vmcnt(3)
	v_fmac_f64_e32 v[76:77], v[20:21], v[32:33]
	v_fmac_f64_e32 v[74:75], v[22:23], v[32:33]
	;; [unrolled: 1-line block ×8, first 2 shown]
	s_waitcnt vmcnt(2)
	v_fmac_f64_e32 v[76:77], v[28:29], v[36:37]
	v_fmac_f64_e32 v[74:75], v[30:31], v[36:37]
	;; [unrolled: 1-line block ×4, first 2 shown]
	s_waitcnt vmcnt(1)
	v_fmac_f64_e32 v[76:77], v[40:41], v[38:39]
	v_fmac_f64_e32 v[74:75], v[42:43], v[38:39]
	s_waitcnt vmcnt(0)
	v_fmac_f64_e32 v[72:73], v[44:45], v[38:39]
	v_fmac_f64_e32 v[70:71], v[46:47], v[38:39]
	s_andn2_b64 exec, exec, s[10:11]
	s_cbranch_execnz .LBB46_31
; %bb.32:
	s_or_b64 exec, exec, s[10:11]
.LBB46_33:
	s_or_b64 exec, exec, s[8:9]
	v_cmp_lt_u64_e32 vcc, 23, v[0:1]
	s_and_saveexec_b64 s[8:9], vcc
	s_cbranch_execz .LBB46_37
; %bb.34:
	v_lshlrev_b64 v[0:1], 3, v[64:65]
	v_mov_b32_e32 v2, s13
	v_add_co_u32_e32 v0, vcc, s12, v0
	v_addc_co_u32_e32 v1, vcc, v1, v2, vcc
	v_add_co_u32_e32 v44, vcc, 0x80, v0
	v_addc_co_u32_e32 v45, vcc, 0, v1, vcc
	s_mov_b64 s[10:11], 0
	v_mov_b32_e32 v52, s19
	v_mov_b32_e32 v53, s7
	s_movk_i32 s7, 0x1000
.LBB46_35:                              ; =>This Inner Loop Header: Depth=1
	global_load_dwordx2 v[46:47], v[44:45], off offset:-128
	global_load_dwordx4 v[0:3], v[68:69], off offset:48
	global_load_dwordx4 v[4:7], v[68:69], off offset:32
	;; [unrolled: 1-line block ×3, first 2 shown]
	global_load_dwordx4 v[12:15], v[68:69], off
	global_load_dwordx4 v[16:19], v[68:69], off offset:112
	global_load_dwordx4 v[20:23], v[68:69], off offset:96
	;; [unrolled: 1-line block ×7, first 2 shown]
	global_load_dwordx2 v[48:49], v[44:45], off offset:-64
	global_load_dwordx2 v[50:51], v[44:45], off
	global_load_dwordx2 v[54:55], v[44:45], off offset:64
	global_load_dwordx4 v[82:85], v[68:69], off offset:1136
	v_add_co_u32_e64 v64, s[0:1], 32, v64
	v_addc_co_u32_e64 v65, s[0:1], 0, v65, s[0:1]
	v_cmp_ge_i64_e64 s[0:1], v[64:65], v[66:67]
	s_or_b64 s[10:11], s[0:1], s[10:11]
	global_load_dwordx4 v[86:89], v[68:69], off offset:1120
	s_waitcnt vmcnt(16)
	v_subrev_co_u32_e32 v46, vcc, s16, v46
	v_subb_co_u32_e32 v47, vcc, v47, v52, vcc
	v_lshlrev_b64 v[46:47], 5, v[46:47]
	v_add_co_u32_e32 v46, vcc, s6, v46
	v_addc_co_u32_e32 v47, vcc, v53, v47, vcc
	global_load_dwordx4 v[78:81], v[46:47], off
	s_waitcnt vmcnt(0)
	v_fmac_f64_e32 v[76:77], v[12:13], v[78:79]
	v_fmac_f64_e32 v[74:75], v[14:15], v[78:79]
	;; [unrolled: 1-line block ×4, first 2 shown]
	global_load_dwordx4 v[12:15], v[68:69], off offset:1024
	v_fmac_f64_e32 v[76:77], v[4:5], v[80:81]
	v_fmac_f64_e32 v[74:75], v[6:7], v[80:81]
	;; [unrolled: 1-line block ×4, first 2 shown]
	global_load_dwordx4 v[78:81], v[68:69], off offset:1104
	global_load_dwordx4 v[90:93], v[68:69], off offset:1088
	;; [unrolled: 1-line block ×6, first 2 shown]
	s_waitcnt vmcnt(3)
	v_fmac_f64_e32 v[76:77], v[32:33], v[0:1]
	v_fmac_f64_e32 v[74:75], v[34:35], v[0:1]
	;; [unrolled: 1-line block ×4, first 2 shown]
	v_subrev_co_u32_e32 v0, vcc, s16, v48
	v_subb_co_u32_e32 v1, vcc, v49, v52, vcc
	v_lshlrev_b64 v[0:1], 5, v[0:1]
	v_add_co_u32_e32 v46, vcc, s6, v0
	v_addc_co_u32_e32 v47, vcc, v53, v1, vcc
	v_fmac_f64_e32 v[72:73], v[16:17], v[2:3]
	v_fmac_f64_e32 v[70:71], v[18:19], v[2:3]
	global_load_dwordx4 v[16:19], v[46:47], off
	v_fmac_f64_e32 v[76:77], v[20:21], v[2:3]
	v_fmac_f64_e32 v[74:75], v[22:23], v[2:3]
	global_load_dwordx4 v[32:35], v[68:69], off offset:2096
	global_load_dwordx4 v[24:27], v[68:69], off offset:2080
	;; [unrolled: 1-line block ×4, first 2 shown]
	s_waitcnt vmcnt(4)
	v_fmac_f64_e32 v[76:77], v[12:13], v[16:17]
	v_fmac_f64_e32 v[74:75], v[14:15], v[16:17]
	;; [unrolled: 1-line block ×8, first 2 shown]
	global_load_dwordx4 v[28:31], v[68:69], off offset:2112
	global_load_dwordx4 v[36:39], v[46:47], off offset:16
	v_subrev_co_u32_e32 v46, vcc, s16, v50
	v_subb_co_u32_e32 v47, vcc, v51, v52, vcc
	v_lshlrev_b64 v[46:47], 5, v[46:47]
	v_add_co_u32_e32 v50, vcc, s6, v46
	v_addc_co_u32_e32 v51, vcc, v53, v47, vcc
	global_load_dwordx4 v[46:49], v[50:51], off
	global_load_dwordx4 v[40:43], v[68:69], off offset:3088
	global_load_dwordx4 v[12:15], v[68:69], off offset:3120
	;; [unrolled: 1-line block ×3, first 2 shown]
	s_waitcnt vmcnt(4)
	v_fmac_f64_e32 v[72:73], v[78:79], v[36:37]
	v_fmac_f64_e32 v[70:71], v[80:81], v[36:37]
	;; [unrolled: 1-line block ×4, first 2 shown]
	global_load_dwordx4 v[82:85], v[50:51], off offset:16
	v_fmac_f64_e32 v[76:77], v[90:91], v[36:37]
	v_fmac_f64_e32 v[74:75], v[92:93], v[36:37]
	;; [unrolled: 1-line block ×4, first 2 shown]
	global_load_dwordx4 v[36:39], v[68:69], off offset:3072
	s_waitcnt vmcnt(5)
	v_fmac_f64_e32 v[76:77], v[94:95], v[46:47]
	v_fmac_f64_e32 v[74:75], v[96:97], v[46:47]
	;; [unrolled: 1-line block ×4, first 2 shown]
	v_subrev_co_u32_e32 v46, vcc, s16, v54
	v_subb_co_u32_e32 v47, vcc, v55, v52, vcc
	v_lshlrev_b64 v[46:47], 5, v[46:47]
	v_add_co_u32_e32 v54, vcc, s6, v46
	v_addc_co_u32_e32 v55, vcc, v53, v47, vcc
	global_load_dwordx4 v[78:81], v[68:69], off offset:3168
	global_load_dwordx4 v[20:23], v[68:69], off offset:3152
	v_fmac_f64_e32 v[76:77], v[24:25], v[48:49]
	v_fmac_f64_e32 v[74:75], v[26:27], v[48:49]
	global_load_dwordx4 v[24:27], v[68:69], off offset:3136
	v_fmac_f64_e32 v[72:73], v[32:33], v[48:49]
	v_fmac_f64_e32 v[70:71], v[34:35], v[48:49]
	global_load_dwordx4 v[32:35], v[54:55], off
	global_load_dwordx4 v[46:49], v[54:55], off offset:16
	s_waitcnt vmcnt(6)
	v_fmac_f64_e32 v[76:77], v[28:29], v[82:83]
	v_fmac_f64_e32 v[74:75], v[30:31], v[82:83]
	global_load_dwordx4 v[28:31], v[68:69], off offset:3184
	v_fmac_f64_e32 v[72:73], v[8:9], v[82:83]
	v_fmac_f64_e32 v[70:71], v[10:11], v[82:83]
	;; [unrolled: 1-line block ×6, first 2 shown]
	v_add_co_u32_e32 v68, vcc, s7, v68
	v_addc_co_u32_e32 v69, vcc, 0, v69, vcc
	v_add_co_u32_e32 v44, vcc, 0x100, v44
	v_addc_co_u32_e32 v45, vcc, 0, v45, vcc
	s_waitcnt vmcnt(2)
	v_fmac_f64_e32 v[76:77], v[36:37], v[32:33]
	v_fmac_f64_e32 v[74:75], v[38:39], v[32:33]
	;; [unrolled: 1-line block ×8, first 2 shown]
	s_waitcnt vmcnt(1)
	v_fmac_f64_e32 v[76:77], v[24:25], v[46:47]
	v_fmac_f64_e32 v[74:75], v[26:27], v[46:47]
	;; [unrolled: 1-line block ×6, first 2 shown]
	s_waitcnt vmcnt(0)
	v_fmac_f64_e32 v[72:73], v[28:29], v[48:49]
	v_fmac_f64_e32 v[70:71], v[30:31], v[48:49]
	s_andn2_b64 exec, exec, s[10:11]
	s_cbranch_execnz .LBB46_35
; %bb.36:
	s_or_b64 exec, exec, s[10:11]
.LBB46_37:
	s_or_b64 exec, exec, s[8:9]
.LBB46_38:
	s_or_b64 exec, exec, s[2:3]
.LBB46_39:
	v_mov_b32_dpp v0, v76 row_shr:1 row_mask:0xf bank_mask:0xf
	v_mov_b32_dpp v1, v77 row_shr:1 row_mask:0xf bank_mask:0xf
	;; [unrolled: 1-line block ×8, first 2 shown]
	v_add_f64 v[0:1], v[76:77], v[0:1]
	v_add_f64 v[4:5], v[74:75], v[4:5]
	;; [unrolled: 1-line block ×4, first 2 shown]
	v_mov_b32_dpp v2, v0 row_shr:2 row_mask:0xf bank_mask:0xf
	v_mov_b32_dpp v3, v1 row_shr:2 row_mask:0xf bank_mask:0xf
	v_mov_b32_dpp v6, v4 row_shr:2 row_mask:0xf bank_mask:0xf
	v_mov_b32_dpp v7, v5 row_shr:2 row_mask:0xf bank_mask:0xf
	v_mov_b32_dpp v10, v8 row_shr:2 row_mask:0xf bank_mask:0xf
	v_mov_b32_dpp v11, v9 row_shr:2 row_mask:0xf bank_mask:0xf
	v_mov_b32_dpp v14, v12 row_shr:2 row_mask:0xf bank_mask:0xf
	v_mov_b32_dpp v15, v13 row_shr:2 row_mask:0xf bank_mask:0xf
	v_add_f64 v[0:1], v[0:1], v[2:3]
	v_add_f64 v[4:5], v[4:5], v[6:7]
	v_add_f64 v[8:9], v[8:9], v[10:11]
	v_add_f64 v[12:13], v[12:13], v[14:15]
	v_mov_b32_dpp v2, v0 row_shr:4 row_mask:0xf bank_mask:0xe
	v_mov_b32_dpp v3, v1 row_shr:4 row_mask:0xf bank_mask:0xe
	;; [unrolled: 1-line block ×8, first 2 shown]
	v_cmp_eq_u32_e32 vcc, 7, v62
	s_and_b64 exec, exec, vcc
	s_cbranch_execz .LBB46_10
; %bb.40:
	s_load_dwordx2 s[0:1], s[4:5], 0x58
	v_add_f64 v[0:1], v[0:1], v[2:3]
	v_add_f64 v[2:3], v[4:5], v[6:7]
	;; [unrolled: 1-line block ×4, first 2 shown]
	v_cmp_eq_f64_e32 vcc, 0, v[56:57]
	v_mul_f64 v[4:5], v[58:59], v[0:1]
	v_mul_f64 v[6:7], v[58:59], v[2:3]
	;; [unrolled: 1-line block ×4, first 2 shown]
	v_lshlrev_b64 v[8:9], 5, v[60:61]
	s_and_saveexec_b64 s[2:3], vcc
	s_xor_b64 s[2:3], exec, s[2:3]
	s_cbranch_execz .LBB46_42
; %bb.41:
	s_waitcnt lgkmcnt(0)
	v_mov_b32_e32 v10, s1
	v_add_co_u32_e32 v8, vcc, s0, v8
	v_addc_co_u32_e32 v9, vcc, v10, v9, vcc
	global_store_dwordx4 v[8:9], v[4:7], off
	global_store_dwordx4 v[8:9], v[0:3], off offset:16
                                        ; implicit-def: $vgpr8_vgpr9
                                        ; implicit-def: $vgpr56_vgpr57
                                        ; implicit-def: $vgpr4_vgpr5
                                        ; implicit-def: $vgpr0_vgpr1
.LBB46_42:
	s_andn2_saveexec_b64 s[2:3], s[2:3]
	s_cbranch_execz .LBB46_10
; %bb.43:
	s_waitcnt lgkmcnt(0)
	v_mov_b32_e32 v10, s1
	v_add_co_u32_e32 v16, vcc, s0, v8
	v_addc_co_u32_e32 v17, vcc, v10, v9, vcc
	global_load_dwordx4 v[8:11], v[16:17], off
	global_load_dwordx4 v[12:15], v[16:17], off offset:16
	s_waitcnt vmcnt(1)
	v_fmac_f64_e32 v[4:5], v[56:57], v[8:9]
	v_fmac_f64_e32 v[6:7], v[56:57], v[10:11]
	s_waitcnt vmcnt(0)
	v_fmac_f64_e32 v[0:1], v[56:57], v[12:13]
	v_fmac_f64_e32 v[2:3], v[56:57], v[14:15]
	global_store_dwordx4 v[16:17], v[4:7], off
	global_store_dwordx4 v[16:17], v[0:3], off offset:16
	s_endpgm
	.section	.rodata,"a",@progbits
	.p2align	6, 0x0
	.amdhsa_kernel _ZN9rocsparseL18bsrxmvn_4x4_kernelILj128ELj8EdlldddEEvT3_20rocsparse_direction_NS_24const_host_device_scalarIT1_EES1_PKS1_PKT2_SA_S7_PKT4_PKT5_S5_PT6_21rocsparse_index_base_b
		.amdhsa_group_segment_fixed_size 0
		.amdhsa_private_segment_fixed_size 0
		.amdhsa_kernarg_size 104
		.amdhsa_user_sgpr_count 6
		.amdhsa_user_sgpr_private_segment_buffer 1
		.amdhsa_user_sgpr_dispatch_ptr 0
		.amdhsa_user_sgpr_queue_ptr 0
		.amdhsa_user_sgpr_kernarg_segment_ptr 1
		.amdhsa_user_sgpr_dispatch_id 0
		.amdhsa_user_sgpr_flat_scratch_init 0
		.amdhsa_user_sgpr_kernarg_preload_length 0
		.amdhsa_user_sgpr_kernarg_preload_offset 0
		.amdhsa_user_sgpr_private_segment_size 0
		.amdhsa_uses_dynamic_stack 0
		.amdhsa_system_sgpr_private_segment_wavefront_offset 0
		.amdhsa_system_sgpr_workgroup_id_x 1
		.amdhsa_system_sgpr_workgroup_id_y 0
		.amdhsa_system_sgpr_workgroup_id_z 0
		.amdhsa_system_sgpr_workgroup_info 0
		.amdhsa_system_vgpr_workitem_id 0
		.amdhsa_next_free_vgpr 106
		.amdhsa_next_free_sgpr 22
		.amdhsa_accum_offset 108
		.amdhsa_reserve_vcc 1
		.amdhsa_reserve_flat_scratch 0
		.amdhsa_float_round_mode_32 0
		.amdhsa_float_round_mode_16_64 0
		.amdhsa_float_denorm_mode_32 3
		.amdhsa_float_denorm_mode_16_64 3
		.amdhsa_dx10_clamp 1
		.amdhsa_ieee_mode 1
		.amdhsa_fp16_overflow 0
		.amdhsa_tg_split 0
		.amdhsa_exception_fp_ieee_invalid_op 0
		.amdhsa_exception_fp_denorm_src 0
		.amdhsa_exception_fp_ieee_div_zero 0
		.amdhsa_exception_fp_ieee_overflow 0
		.amdhsa_exception_fp_ieee_underflow 0
		.amdhsa_exception_fp_ieee_inexact 0
		.amdhsa_exception_int_div_zero 0
	.end_amdhsa_kernel
	.section	.text._ZN9rocsparseL18bsrxmvn_4x4_kernelILj128ELj8EdlldddEEvT3_20rocsparse_direction_NS_24const_host_device_scalarIT1_EES1_PKS1_PKT2_SA_S7_PKT4_PKT5_S5_PT6_21rocsparse_index_base_b,"axG",@progbits,_ZN9rocsparseL18bsrxmvn_4x4_kernelILj128ELj8EdlldddEEvT3_20rocsparse_direction_NS_24const_host_device_scalarIT1_EES1_PKS1_PKT2_SA_S7_PKT4_PKT5_S5_PT6_21rocsparse_index_base_b,comdat
.Lfunc_end46:
	.size	_ZN9rocsparseL18bsrxmvn_4x4_kernelILj128ELj8EdlldddEEvT3_20rocsparse_direction_NS_24const_host_device_scalarIT1_EES1_PKS1_PKT2_SA_S7_PKT4_PKT5_S5_PT6_21rocsparse_index_base_b, .Lfunc_end46-_ZN9rocsparseL18bsrxmvn_4x4_kernelILj128ELj8EdlldddEEvT3_20rocsparse_direction_NS_24const_host_device_scalarIT1_EES1_PKS1_PKT2_SA_S7_PKT4_PKT5_S5_PT6_21rocsparse_index_base_b
                                        ; -- End function
	.section	.AMDGPU.csdata,"",@progbits
; Kernel info:
; codeLenInByte = 3792
; NumSgprs: 26
; NumVgprs: 106
; NumAgprs: 0
; TotalNumVgprs: 106
; ScratchSize: 0
; MemoryBound: 1
; FloatMode: 240
; IeeeMode: 1
; LDSByteSize: 0 bytes/workgroup (compile time only)
; SGPRBlocks: 3
; VGPRBlocks: 13
; NumSGPRsForWavesPerEU: 26
; NumVGPRsForWavesPerEU: 106
; AccumOffset: 108
; Occupancy: 4
; WaveLimiterHint : 1
; COMPUTE_PGM_RSRC2:SCRATCH_EN: 0
; COMPUTE_PGM_RSRC2:USER_SGPR: 6
; COMPUTE_PGM_RSRC2:TRAP_HANDLER: 0
; COMPUTE_PGM_RSRC2:TGID_X_EN: 1
; COMPUTE_PGM_RSRC2:TGID_Y_EN: 0
; COMPUTE_PGM_RSRC2:TGID_Z_EN: 0
; COMPUTE_PGM_RSRC2:TIDIG_COMP_CNT: 0
; COMPUTE_PGM_RSRC3_GFX90A:ACCUM_OFFSET: 26
; COMPUTE_PGM_RSRC3_GFX90A:TG_SPLIT: 0
	.section	.text._ZN9rocsparseL18bsrxmvn_4x4_kernelILj128ELj16EdlldddEEvT3_20rocsparse_direction_NS_24const_host_device_scalarIT1_EES1_PKS1_PKT2_SA_S7_PKT4_PKT5_S5_PT6_21rocsparse_index_base_b,"axG",@progbits,_ZN9rocsparseL18bsrxmvn_4x4_kernelILj128ELj16EdlldddEEvT3_20rocsparse_direction_NS_24const_host_device_scalarIT1_EES1_PKS1_PKT2_SA_S7_PKT4_PKT5_S5_PT6_21rocsparse_index_base_b,comdat
	.globl	_ZN9rocsparseL18bsrxmvn_4x4_kernelILj128ELj16EdlldddEEvT3_20rocsparse_direction_NS_24const_host_device_scalarIT1_EES1_PKS1_PKT2_SA_S7_PKT4_PKT5_S5_PT6_21rocsparse_index_base_b ; -- Begin function _ZN9rocsparseL18bsrxmvn_4x4_kernelILj128ELj16EdlldddEEvT3_20rocsparse_direction_NS_24const_host_device_scalarIT1_EES1_PKS1_PKT2_SA_S7_PKT4_PKT5_S5_PT6_21rocsparse_index_base_b
	.p2align	8
	.type	_ZN9rocsparseL18bsrxmvn_4x4_kernelILj128ELj16EdlldddEEvT3_20rocsparse_direction_NS_24const_host_device_scalarIT1_EES1_PKS1_PKT2_SA_S7_PKT4_PKT5_S5_PT6_21rocsparse_index_base_b,@function
_ZN9rocsparseL18bsrxmvn_4x4_kernelILj128ELj16EdlldddEEvT3_20rocsparse_direction_NS_24const_host_device_scalarIT1_EES1_PKS1_PKT2_SA_S7_PKT4_PKT5_S5_PT6_21rocsparse_index_base_b: ; @_ZN9rocsparseL18bsrxmvn_4x4_kernelILj128ELj16EdlldddEEvT3_20rocsparse_direction_NS_24const_host_device_scalarIT1_EES1_PKS1_PKT2_SA_S7_PKT4_PKT5_S5_PT6_21rocsparse_index_base_b
; %bb.0:
	s_load_dwordx2 s[16:17], s[4:5], 0x60
	s_load_dwordx4 s[0:3], s[4:5], 0x10
	s_load_dwordx2 s[8:9], s[4:5], 0x50
	s_waitcnt lgkmcnt(0)
	s_bitcmp1_b32 s17, 0
	s_cselect_b64 s[12:13], -1, 0
	s_xor_b64 s[10:11], s[12:13], -1
	s_and_b64 vcc, exec, s[12:13]
	v_pk_mov_b32 v[58:59], s[0:1], s[0:1] op_sel:[0,1]
	s_cbranch_vccnz .LBB47_2
; %bb.1:
	v_pk_mov_b32 v[2:3], s[0:1], s[0:1] op_sel:[0,1]
	flat_load_dwordx2 v[58:59], v[2:3]
.LBB47_2:
	s_andn2_b64 vcc, exec, s[10:11]
	v_pk_mov_b32 v[56:57], s[8:9], s[8:9] op_sel:[0,1]
	s_cbranch_vccnz .LBB47_4
; %bb.3:
	v_pk_mov_b32 v[2:3], s[8:9], s[8:9] op_sel:[0,1]
	flat_load_dwordx2 v[56:57], v[2:3]
.LBB47_4:
	s_waitcnt vmcnt(0) lgkmcnt(0)
	v_cmp_neq_f64_e32 vcc, 0, v[58:59]
	v_cmp_neq_f64_e64 s[0:1], 1.0, v[56:57]
	s_mov_b64 s[8:9], 0
	s_or_b64 s[0:1], vcc, s[0:1]
	s_and_saveexec_b64 s[10:11], s[0:1]
	s_cbranch_execz .LBB47_10
; %bb.5:
	s_load_dwordx2 s[10:11], s[4:5], 0x20
	v_lshrrev_b32_e32 v1, 4, v0
	v_lshl_or_b32 v2, s6, 3, v1
	v_mov_b32_e32 v3, 0
	s_mov_b64 s[0:1], 0
	s_waitcnt lgkmcnt(0)
	s_cmp_lg_u64 s[10:11], 0
	s_cbranch_scc0 .LBB47_11
; %bb.6:
	v_cmp_gt_i64_e32 vcc, s[2:3], v[2:3]
                                        ; implicit-def: $vgpr60_vgpr61
	s_and_saveexec_b64 s[2:3], vcc
	s_xor_b64 s[2:3], exec, s[2:3]
                                        ; implicit-def: $sgpr18_sgpr19
	s_cbranch_execz .LBB47_8
; %bb.7:
	v_lshlrev_b64 v[4:5], 3, v[2:3]
	v_mov_b32_e32 v1, s11
	v_add_co_u32_e32 v4, vcc, s10, v4
	v_addc_co_u32_e32 v5, vcc, v1, v5, vcc
	global_load_dwordx2 v[4:5], v[4:5], off
	s_mov_b64 s[0:1], exec
	s_mov_b32 s19, 0
	s_waitcnt vmcnt(0)
	v_subrev_co_u32_e32 v60, vcc, s16, v4
	v_subbrev_co_u32_e32 v61, vcc, 0, v5, vcc
.LBB47_8:
	s_or_b64 exec, exec, s[2:3]
	s_mov_b64 s[8:9], s[0:1]
.LBB47_9:
	s_and_b64 exec, exec, s[8:9]
	s_cbranch_execnz .LBB47_15
.LBB47_10:
	s_endpgm
.LBB47_11:
                                        ; implicit-def: $vgpr60_vgpr61
                                        ; implicit-def: $sgpr18_sgpr19
	s_cbranch_execz .LBB47_9
; %bb.12:
	s_load_dwordx2 s[0:1], s[4:5], 0x0
                                        ; implicit-def: $vgpr60_vgpr61
	s_waitcnt lgkmcnt(0)
	v_cmp_gt_i64_e32 vcc, s[0:1], v[2:3]
	s_and_saveexec_b64 s[0:1], vcc
                                        ; implicit-def: $sgpr18_sgpr19
; %bb.13:
	s_mov_b32 s19, 0
	s_or_b64 s[8:9], s[8:9], exec
	v_pk_mov_b32 v[60:61], v[2:3], v[2:3] op_sel:[0,1]
; %bb.14:
	s_or_b64 exec, exec, s[0:1]
	s_and_b64 exec, exec, s[8:9]
	s_cbranch_execz .LBB47_10
.LBB47_15:
	s_load_dwordx8 s[8:15], s[4:5], 0x28
	v_lshlrev_b64 v[2:3], 3, v[60:61]
	v_and_b32_e32 v62, 15, v0
	v_mov_b32_e32 v0, s19
	s_waitcnt lgkmcnt(0)
	v_mov_b32_e32 v1, s9
	v_add_co_u32_e32 v4, vcc, s8, v2
	v_addc_co_u32_e32 v5, vcc, v1, v3, vcc
	v_add_co_u32_e32 v1, vcc, 8, v4
	global_load_dwordx2 v[78:79], v[4:5], off
	v_addc_co_u32_e32 v4, vcc, 0, v5, vcc
	v_mov_b32_e32 v5, s11
	v_add_co_u32_e32 v2, vcc, s10, v2
	s_cmp_eq_u64 s[10:11], 0
	v_addc_co_u32_e32 v3, vcc, v5, v3, vcc
	s_cselect_b64 vcc, -1, 0
	v_cndmask_b32_e32 v3, v3, v4, vcc
	v_cndmask_b32_e32 v2, v2, v1, vcc
	global_load_dwordx2 v[2:3], v[2:3], off
	s_load_dword s0, s[4:5], 0x8
	s_load_dwordx2 s[8:9], s[4:5], 0x48
	v_mov_b32_e32 v4, s15
	s_waitcnt lgkmcnt(0)
	s_cmp_eq_u32 s0, 1
	s_waitcnt vmcnt(1)
	v_subrev_co_u32_e32 v1, vcc, s16, v78
	v_subb_co_u32_e32 v5, vcc, v79, v0, vcc
	v_add_co_u32_e32 v64, vcc, v1, v62
	v_addc_co_u32_e32 v65, vcc, 0, v5, vcc
	s_waitcnt vmcnt(0)
	v_subrev_co_u32_e32 v66, vcc, s16, v2
	v_subb_co_u32_e32 v67, vcc, v3, v0, vcc
	v_lshlrev_b64 v[0:1], 7, v[64:65]
	v_add_co_u32_e32 v68, vcc, s14, v0
	v_addc_co_u32_e32 v69, vcc, v4, v1, vcc
	v_cmp_lt_i64_e64 s[0:1], v[64:65], v[66:67]
	s_cbranch_scc1 .LBB47_27
; %bb.16:
	v_pk_mov_b32 v[70:71], 0, 0
	s_mov_b64 s[10:11], 0
	v_pk_mov_b32 v[72:73], v[70:71], v[70:71] op_sel:[0,1]
	v_pk_mov_b32 v[74:75], v[70:71], v[70:71] op_sel:[0,1]
	;; [unrolled: 1-line block ×3, first 2 shown]
	s_and_saveexec_b64 s[14:15], s[0:1]
	s_cbranch_execz .LBB47_26
; %bb.17:
	v_or_b32_e32 v0, 16, v62
	v_mov_b32_e32 v1, s19
	v_subrev_co_u32_e32 v0, vcc, s16, v0
	v_subb_co_u32_e32 v1, vcc, 0, v1, vcc
	v_add_co_u32_e32 v0, vcc, v0, v78
	v_addc_co_u32_e32 v1, vcc, v1, v79, vcc
	v_cmp_gt_i64_e32 vcc, v[0:1], v[66:67]
	v_cndmask_b32_e32 v1, v67, v1, vcc
	v_cndmask_b32_e32 v0, v66, v0, vcc
	v_mov_b32_e32 v4, s19
	v_sub_co_u32_e32 v5, vcc, s16, v62
	v_not_b32_e32 v3, v78
	v_subbrev_co_u32_e32 v4, vcc, 0, v4, vcc
	v_not_b32_e32 v2, v79
	v_add_co_u32_e32 v3, vcc, v5, v3
	v_addc_co_u32_e32 v2, vcc, v4, v2, vcc
	v_add_co_u32_e32 v0, vcc, v3, v0
	v_addc_co_u32_e32 v1, vcc, v2, v1, vcc
	v_lshrrev_b32_e32 v2, 4, v0
	v_add_u32_e32 v2, 1, v2
	v_and_b32_e32 v2, 3, v2
	v_pk_mov_b32 v[76:77], 0, 0
	v_cmp_ne_u32_e32 vcc, 0, v2
	s_mov_b64 s[20:21], 0
	v_pk_mov_b32 v[74:75], v[76:77], v[76:77] op_sel:[0,1]
	v_pk_mov_b32 v[72:73], v[76:77], v[76:77] op_sel:[0,1]
	;; [unrolled: 1-line block ×5, first 2 shown]
	s_and_saveexec_b64 s[6:7], vcc
	s_cbranch_execz .LBB47_21
; %bb.18:
	v_lshlrev_b64 v[4:5], 3, v[64:65]
	v_mov_b32_e32 v6, s13
	v_add_co_u32_e32 v4, vcc, s12, v4
	v_pk_mov_b32 v[70:71], 0, 0
	v_mov_b32_e32 v3, 0
	v_addc_co_u32_e32 v5, vcc, v6, v5, vcc
	v_lshlrev_b32_e32 v2, 4, v2
	s_movk_i32 s17, 0x800
	v_mov_b32_e32 v6, s19
	v_mov_b32_e32 v7, s9
	v_pk_mov_b32 v[82:83], v[68:69], v[68:69] op_sel:[0,1]
	v_pk_mov_b32 v[80:81], v[64:65], v[64:65] op_sel:[0,1]
	;; [unrolled: 1-line block ×5, first 2 shown]
.LBB47_19:                              ; =>This Inner Loop Header: Depth=1
	global_load_dwordx2 v[40:41], v[4:5], off
	global_load_dwordx4 v[8:11], v[82:83], off offset:48
	global_load_dwordx4 v[12:15], v[82:83], off offset:32
	;; [unrolled: 1-line block ×3, first 2 shown]
	global_load_dwordx4 v[20:23], v[82:83], off
	global_load_dwordx4 v[24:27], v[82:83], off offset:112
	global_load_dwordx4 v[28:31], v[82:83], off offset:96
	;; [unrolled: 1-line block ×4, first 2 shown]
	v_add_co_u32_e64 v80, s[2:3], 16, v80
	v_addc_co_u32_e64 v81, s[2:3], 0, v81, s[2:3]
	v_add_co_u32_e64 v2, s[2:3], -16, v2
	v_addc_co_u32_e64 v3, s[2:3], -1, v3, s[2:3]
	v_cmp_eq_u64_e64 s[2:3], 0, v[2:3]
	s_or_b64 s[20:21], s[2:3], s[20:21]
	s_waitcnt vmcnt(8)
	v_subrev_co_u32_e32 v40, vcc, s16, v40
	v_subb_co_u32_e32 v41, vcc, v41, v6, vcc
	v_lshlrev_b64 v[40:41], 5, v[40:41]
	v_add_co_u32_e32 v48, vcc, s8, v40
	v_addc_co_u32_e32 v49, vcc, v7, v41, vcc
	global_load_dwordx4 v[40:43], v[48:49], off
	global_load_dwordx4 v[44:47], v[48:49], off offset:16
	v_add_co_u32_e32 v82, vcc, s17, v82
	v_addc_co_u32_e32 v83, vcc, 0, v83, vcc
	v_add_co_u32_e32 v4, vcc, 0x80, v4
	v_addc_co_u32_e32 v5, vcc, 0, v5, vcc
	s_waitcnt vmcnt(1)
	v_fmac_f64_e32 v[76:77], v[20:21], v[40:41]
	v_fmac_f64_e32 v[74:75], v[12:13], v[40:41]
	;; [unrolled: 1-line block ×8, first 2 shown]
	s_waitcnt vmcnt(0)
	v_fmac_f64_e32 v[76:77], v[16:17], v[44:45]
	v_fmac_f64_e32 v[74:75], v[8:9], v[44:45]
	;; [unrolled: 1-line block ×8, first 2 shown]
	s_andn2_b64 exec, exec, s[20:21]
	s_cbranch_execnz .LBB47_19
; %bb.20:
	s_or_b64 exec, exec, s[20:21]
.LBB47_21:
	s_or_b64 exec, exec, s[6:7]
	v_cmp_lt_u64_e32 vcc, 47, v[0:1]
	s_and_saveexec_b64 s[20:21], vcc
	s_cbranch_execz .LBB47_25
; %bb.22:
	v_lshlrev_b64 v[0:1], 3, v[80:81]
	v_mov_b32_e32 v2, s13
	v_add_co_u32_e32 v0, vcc, s12, v0
	v_addc_co_u32_e32 v1, vcc, v1, v2, vcc
	v_add_co_u32_e32 v84, vcc, 0x100, v0
	v_addc_co_u32_e32 v85, vcc, 0, v1, vcc
	s_mov_b64 s[22:23], 0
	v_mov_b32_e32 v63, s19
	v_mov_b32_e32 v88, s9
	s_movk_i32 s17, 0x1000
.LBB47_23:                              ; =>This Inner Loop Header: Depth=1
	global_load_dwordx2 v[86:87], v[84:85], off offset:-256
	global_load_dwordx4 v[0:3], v[82:83], off offset:48
	global_load_dwordx4 v[12:15], v[82:83], off offset:32
	;; [unrolled: 1-line block ×3, first 2 shown]
	global_load_dwordx4 v[90:93], v[82:83], off
	global_load_dwordx4 v[28:31], v[82:83], off offset:112
	global_load_dwordx4 v[36:39], v[82:83], off offset:96
	;; [unrolled: 1-line block ×11, first 2 shown]
	v_add_co_u32_e64 v80, s[2:3], 64, v80
	s_waitcnt vmcnt(15)
	v_subrev_co_u32_e32 v86, vcc, s16, v86
	v_subb_co_u32_e32 v87, vcc, v87, v63, vcc
	v_lshlrev_b64 v[86:87], 5, v[86:87]
	v_add_co_u32_e32 v98, vcc, s8, v86
	v_addc_co_u32_e32 v99, vcc, v88, v87, vcc
	global_load_dwordx4 v[94:97], v[98:99], off
	v_add_co_u32_e32 v106, vcc, s17, v82
	v_addc_co_u32_e32 v107, vcc, 0, v83, vcc
	global_load_dwordx2 v[102:103], v[84:85], off offset:-128
	global_load_dwordx2 v[104:105], v[84:85], off
	global_load_dwordx2 v[86:87], v[84:85], off offset:128
	s_waitcnt vmcnt(3)
	v_fmac_f64_e32 v[76:77], v[90:91], v[94:95]
	v_fmac_f64_e32 v[74:75], v[12:13], v[94:95]
	;; [unrolled: 1-line block ×5, first 2 shown]
	global_load_dwordx4 v[90:93], v[82:83], off offset:2112
	v_fmac_f64_e32 v[70:71], v[38:39], v[96:97]
	global_load_dwordx4 v[12:15], v[106:107], off offset:48
	global_load_dwordx4 v[36:39], v[98:99], off offset:16
	v_fmac_f64_e32 v[72:73], v[44:45], v[94:95]
	v_fmac_f64_e32 v[72:73], v[46:47], v[96:97]
	global_load_dwordx4 v[94:97], v[106:107], off offset:32
	global_load_dwordx4 v[98:101], v[106:107], off
	global_load_dwordx4 v[44:47], v[106:107], off offset:96
	s_waitcnt vmcnt(3)
	v_fmac_f64_e32 v[70:71], v[28:29], v[36:37]
	v_subrev_co_u32_e32 v28, vcc, s16, v102
	v_subb_co_u32_e32 v29, vcc, v103, v63, vcc
	v_lshlrev_b64 v[28:29], 5, v[28:29]
	v_add_co_u32_e32 v102, vcc, s8, v28
	v_fmac_f64_e32 v[72:73], v[32:33], v[36:37]
	v_addc_co_u32_e32 v103, vcc, v88, v29, vcc
	v_fmac_f64_e32 v[72:73], v[34:35], v[38:39]
	global_load_dwordx4 v[32:35], v[102:103], off
	v_fmac_f64_e32 v[76:77], v[4:5], v[36:37]
	v_fmac_f64_e32 v[74:75], v[0:1], v[36:37]
	;; [unrolled: 1-line block ×5, first 2 shown]
	global_load_dwordx4 v[28:31], v[106:107], off offset:80
	global_load_dwordx4 v[0:3], v[106:107], off offset:16
	;; [unrolled: 1-line block ×3, first 2 shown]
	s_waitcnt vmcnt(3)
	v_fmac_f64_e32 v[76:77], v[48:49], v[32:33]
	v_fmac_f64_e32 v[74:75], v[40:41], v[32:33]
	;; [unrolled: 1-line block ×7, first 2 shown]
	global_load_dwordx4 v[40:43], v[106:107], off offset:64
	v_fmac_f64_e32 v[70:71], v[54:55], v[34:35]
	global_load_dwordx4 v[32:35], v[106:107], off offset:2096
	global_load_dwordx4 v[36:39], v[106:107], off offset:2080
	global_load_dwordx4 v[48:51], v[102:103], off offset:16
	global_load_dwordx4 v[52:55], v[106:107], off offset:2128
	global_load_dwordx4 v[90:93], v[106:107], off offset:2112
	s_waitcnt vmcnt(2)
	v_fmac_f64_e32 v[76:77], v[24:25], v[48:49]
	v_fmac_f64_e32 v[74:75], v[16:17], v[48:49]
	;; [unrolled: 1-line block ×4, first 2 shown]
	v_subrev_co_u32_e32 v48, vcc, s16, v104
	v_subb_co_u32_e32 v49, vcc, v105, v63, vcc
	v_lshlrev_b64 v[48:49], 5, v[48:49]
	v_add_co_u32_e32 v102, vcc, s8, v48
	v_addc_co_u32_e32 v103, vcc, v88, v49, vcc
	v_fmac_f64_e32 v[76:77], v[26:27], v[50:51]
	v_fmac_f64_e32 v[74:75], v[18:19], v[50:51]
	;; [unrolled: 1-line block ×4, first 2 shown]
	global_load_dwordx4 v[48:51], v[102:103], off
	v_subrev_co_u32_e32 v86, vcc, s16, v86
	v_subb_co_u32_e32 v87, vcc, v87, v63, vcc
	v_lshlrev_b64 v[86:87], 5, v[86:87]
	v_add_co_u32_e32 v86, vcc, s8, v86
	v_addc_co_u32_e32 v87, vcc, v88, v87, vcc
	global_load_dwordx4 v[24:27], v[106:107], off offset:2064
	global_load_dwordx4 v[16:19], v[106:107], off offset:2048
	global_load_dwordx4 v[20:23], v[106:107], off offset:2160
	global_load_dwordx4 v[8:11], v[106:107], off offset:2144
	v_add_co_u32_e32 v84, vcc, 0x200, v84
	s_mov_b64 s[6:7], vcc
	v_addc_co_u32_e64 v81, vcc, 0, v81, s[2:3]
	v_addc_co_u32_e64 v85, s[2:3], 0, v85, s[6:7]
	v_add_co_u32_e32 v82, vcc, 0x2000, v82
	v_cmp_ge_i64_e64 s[2:3], v[80:81], v[66:67]
	v_addc_co_u32_e32 v83, vcc, 0, v83, vcc
	s_or_b64 s[22:23], s[2:3], s[22:23]
	s_waitcnt vmcnt(4)
	v_fmac_f64_e32 v[74:75], v[94:95], v[48:49]
	v_fmac_f64_e32 v[74:75], v[96:97], v[50:51]
	global_load_dwordx4 v[94:97], v[102:103], off offset:16
	v_fmac_f64_e32 v[72:73], v[40:41], v[48:49]
	v_fmac_f64_e32 v[72:73], v[42:43], v[50:51]
	global_load_dwordx4 v[40:43], v[86:87], off
	v_fmac_f64_e32 v[70:71], v[44:45], v[48:49]
	v_fmac_f64_e32 v[70:71], v[46:47], v[50:51]
	global_load_dwordx4 v[44:47], v[86:87], off offset:16
	v_fmac_f64_e32 v[76:77], v[98:99], v[48:49]
	v_fmac_f64_e32 v[76:77], v[100:101], v[50:51]
	s_waitcnt vmcnt(2)
	v_fmac_f64_e32 v[76:77], v[0:1], v[94:95]
	v_fmac_f64_e32 v[74:75], v[12:13], v[94:95]
	v_fmac_f64_e32 v[72:73], v[28:29], v[94:95]
	v_fmac_f64_e32 v[70:71], v[4:5], v[94:95]
	v_fmac_f64_e32 v[76:77], v[2:3], v[96:97]
	v_fmac_f64_e32 v[74:75], v[14:15], v[96:97]
	v_fmac_f64_e32 v[72:73], v[30:31], v[96:97]
	v_fmac_f64_e32 v[70:71], v[6:7], v[96:97]
	s_waitcnt vmcnt(1)
	v_fmac_f64_e32 v[76:77], v[16:17], v[40:41]
	v_fmac_f64_e32 v[74:75], v[36:37], v[40:41]
	v_fmac_f64_e32 v[72:73], v[90:91], v[40:41]
	v_fmac_f64_e32 v[70:71], v[8:9], v[40:41]
	v_fmac_f64_e32 v[76:77], v[18:19], v[42:43]
	v_fmac_f64_e32 v[74:75], v[38:39], v[42:43]
	;; [unrolled: 9-line block ×3, first 2 shown]
	v_fmac_f64_e32 v[72:73], v[54:55], v[46:47]
	v_fmac_f64_e32 v[70:71], v[22:23], v[46:47]
	s_andn2_b64 exec, exec, s[22:23]
	s_cbranch_execnz .LBB47_23
; %bb.24:
	s_or_b64 exec, exec, s[22:23]
.LBB47_25:
	s_or_b64 exec, exec, s[20:21]
.LBB47_26:
	s_or_b64 exec, exec, s[14:15]
	s_andn2_b64 vcc, exec, s[10:11]
	s_cbranch_vccz .LBB47_28
	s_branch .LBB47_39
.LBB47_27:
                                        ; implicit-def: $vgpr70_vgpr71
                                        ; implicit-def: $vgpr72_vgpr73
                                        ; implicit-def: $vgpr74_vgpr75
                                        ; implicit-def: $vgpr76_vgpr77
.LBB47_28:
	v_pk_mov_b32 v[70:71], 0, 0
	v_pk_mov_b32 v[72:73], v[70:71], v[70:71] op_sel:[0,1]
	v_pk_mov_b32 v[74:75], v[70:71], v[70:71] op_sel:[0,1]
	;; [unrolled: 1-line block ×3, first 2 shown]
	s_and_saveexec_b64 s[2:3], s[0:1]
	s_cbranch_execz .LBB47_38
; %bb.29:
	v_or_b32_e32 v0, 16, v62
	v_mov_b32_e32 v1, s19
	v_subrev_co_u32_e32 v0, vcc, s16, v0
	v_subb_co_u32_e32 v1, vcc, 0, v1, vcc
	v_add_co_u32_e32 v0, vcc, v0, v78
	v_addc_co_u32_e32 v1, vcc, v1, v79, vcc
	v_cmp_gt_i64_e32 vcc, v[0:1], v[66:67]
	v_cndmask_b32_e32 v1, v67, v1, vcc
	v_cndmask_b32_e32 v0, v66, v0, vcc
	v_mov_b32_e32 v4, s19
	v_sub_co_u32_e32 v5, vcc, s16, v62
	v_not_b32_e32 v3, v78
	v_subbrev_co_u32_e32 v4, vcc, 0, v4, vcc
	v_not_b32_e32 v2, v79
	v_add_co_u32_e32 v3, vcc, v5, v3
	v_addc_co_u32_e32 v2, vcc, v4, v2, vcc
	v_add_co_u32_e32 v0, vcc, v3, v0
	v_addc_co_u32_e32 v1, vcc, v2, v1, vcc
	v_lshrrev_b32_e32 v2, 4, v0
	v_add_u32_e32 v2, 1, v2
	v_and_b32_e32 v2, 3, v2
	v_pk_mov_b32 v[76:77], 0, 0
	v_cmp_ne_u32_e32 vcc, 0, v2
	s_mov_b64 s[10:11], 0
	v_pk_mov_b32 v[74:75], v[76:77], v[76:77] op_sel:[0,1]
	v_pk_mov_b32 v[72:73], v[76:77], v[76:77] op_sel:[0,1]
	;; [unrolled: 1-line block ×3, first 2 shown]
	s_and_saveexec_b64 s[6:7], vcc
	s_cbranch_execz .LBB47_33
; %bb.30:
	v_lshlrev_b64 v[4:5], 3, v[64:65]
	v_mov_b32_e32 v6, s13
	v_add_co_u32_e32 v4, vcc, s12, v4
	v_pk_mov_b32 v[70:71], 0, 0
	v_mov_b32_e32 v3, 0
	v_addc_co_u32_e32 v5, vcc, v6, v5, vcc
	v_lshlrev_b32_e32 v2, 4, v2
	s_movk_i32 s14, 0x800
	v_mov_b32_e32 v6, s19
	v_mov_b32_e32 v7, s9
	v_pk_mov_b32 v[72:73], v[70:71], v[70:71] op_sel:[0,1]
	v_pk_mov_b32 v[74:75], v[70:71], v[70:71] op_sel:[0,1]
	;; [unrolled: 1-line block ×3, first 2 shown]
.LBB47_31:                              ; =>This Inner Loop Header: Depth=1
	global_load_dwordx2 v[32:33], v[4:5], off
	global_load_dwordx4 v[8:11], v[68:69], off offset:48
	global_load_dwordx4 v[12:15], v[68:69], off offset:32
	global_load_dwordx4 v[16:19], v[68:69], off offset:16
	global_load_dwordx4 v[20:23], v[68:69], off
	global_load_dwordx4 v[24:27], v[68:69], off offset:80
	global_load_dwordx4 v[28:31], v[68:69], off offset:64
	v_add_co_u32_e64 v64, s[0:1], 16, v64
	v_addc_co_u32_e64 v65, s[0:1], 0, v65, s[0:1]
	v_add_co_u32_e64 v2, s[0:1], -16, v2
	v_addc_co_u32_e64 v3, s[0:1], -1, v3, s[0:1]
	v_cmp_eq_u64_e64 s[0:1], 0, v[2:3]
	s_or_b64 s[10:11], s[0:1], s[10:11]
	s_waitcnt vmcnt(6)
	v_subrev_co_u32_e32 v32, vcc, s16, v32
	v_subb_co_u32_e32 v33, vcc, v33, v6, vcc
	v_lshlrev_b64 v[32:33], 5, v[32:33]
	v_add_co_u32_e32 v48, vcc, s8, v32
	v_addc_co_u32_e32 v49, vcc, v7, v33, vcc
	global_load_dwordx4 v[32:35], v[48:49], off
	global_load_dwordx4 v[36:39], v[48:49], off offset:16
	global_load_dwordx4 v[40:43], v[68:69], off offset:96
	;; [unrolled: 1-line block ×3, first 2 shown]
	v_add_co_u32_e32 v68, vcc, s14, v68
	v_addc_co_u32_e32 v69, vcc, 0, v69, vcc
	v_add_co_u32_e32 v4, vcc, 0x80, v4
	v_addc_co_u32_e32 v5, vcc, 0, v5, vcc
	s_waitcnt vmcnt(3)
	v_fmac_f64_e32 v[76:77], v[20:21], v[32:33]
	v_fmac_f64_e32 v[74:75], v[22:23], v[32:33]
	;; [unrolled: 1-line block ×8, first 2 shown]
	s_waitcnt vmcnt(2)
	v_fmac_f64_e32 v[76:77], v[28:29], v[36:37]
	v_fmac_f64_e32 v[74:75], v[30:31], v[36:37]
	;; [unrolled: 1-line block ×4, first 2 shown]
	s_waitcnt vmcnt(1)
	v_fmac_f64_e32 v[76:77], v[40:41], v[38:39]
	v_fmac_f64_e32 v[74:75], v[42:43], v[38:39]
	s_waitcnt vmcnt(0)
	v_fmac_f64_e32 v[72:73], v[44:45], v[38:39]
	v_fmac_f64_e32 v[70:71], v[46:47], v[38:39]
	s_andn2_b64 exec, exec, s[10:11]
	s_cbranch_execnz .LBB47_31
; %bb.32:
	s_or_b64 exec, exec, s[10:11]
.LBB47_33:
	s_or_b64 exec, exec, s[6:7]
	v_cmp_lt_u64_e32 vcc, 47, v[0:1]
	s_and_saveexec_b64 s[6:7], vcc
	s_cbranch_execz .LBB47_37
; %bb.34:
	v_lshlrev_b64 v[0:1], 3, v[64:65]
	v_mov_b32_e32 v2, s13
	v_add_co_u32_e32 v0, vcc, s12, v0
	v_addc_co_u32_e32 v1, vcc, v1, v2, vcc
	v_add_co_u32_e32 v44, vcc, 0x100, v0
	v_addc_co_u32_e32 v45, vcc, 0, v1, vcc
	s_mov_b64 s[10:11], 0
	v_mov_b32_e32 v52, s19
	v_mov_b32_e32 v53, s9
	s_movk_i32 s9, 0x1000
.LBB47_35:                              ; =>This Inner Loop Header: Depth=1
	global_load_dwordx2 v[46:47], v[44:45], off offset:-256
	global_load_dwordx4 v[0:3], v[68:69], off offset:48
	global_load_dwordx4 v[4:7], v[68:69], off offset:32
	;; [unrolled: 1-line block ×3, first 2 shown]
	global_load_dwordx4 v[12:15], v[68:69], off
	global_load_dwordx4 v[16:19], v[68:69], off offset:112
	global_load_dwordx4 v[20:23], v[68:69], off offset:96
	;; [unrolled: 1-line block ×7, first 2 shown]
	global_load_dwordx2 v[48:49], v[44:45], off offset:-128
	global_load_dwordx2 v[50:51], v[44:45], off
	global_load_dwordx2 v[54:55], v[44:45], off offset:128
	global_load_dwordx4 v[82:85], v[68:69], off offset:2160
	global_load_dwordx4 v[86:89], v[68:69], off offset:2144
	s_waitcnt vmcnt(16)
	v_subrev_co_u32_e32 v46, vcc, s16, v46
	v_subb_co_u32_e32 v47, vcc, v47, v52, vcc
	v_lshlrev_b64 v[46:47], 5, v[46:47]
	v_add_co_u32_e32 v46, vcc, s8, v46
	v_addc_co_u32_e32 v47, vcc, v53, v47, vcc
	global_load_dwordx4 v[78:81], v[46:47], off
	s_waitcnt vmcnt(0)
	v_fmac_f64_e32 v[76:77], v[12:13], v[78:79]
	v_fmac_f64_e32 v[74:75], v[14:15], v[78:79]
	;; [unrolled: 1-line block ×4, first 2 shown]
	global_load_dwordx4 v[12:15], v[68:69], off offset:2048
	v_fmac_f64_e32 v[76:77], v[4:5], v[80:81]
	v_fmac_f64_e32 v[74:75], v[6:7], v[80:81]
	;; [unrolled: 1-line block ×4, first 2 shown]
	global_load_dwordx4 v[78:81], v[68:69], off offset:2128
	global_load_dwordx4 v[90:93], v[68:69], off offset:2112
	;; [unrolled: 1-line block ×3, first 2 shown]
	s_waitcnt vmcnt(0)
	v_fmac_f64_e32 v[76:77], v[32:33], v[0:1]
	v_add_co_u32_e32 v32, vcc, s9, v68
	v_addc_co_u32_e32 v33, vcc, 0, v69, vcc
	v_fmac_f64_e32 v[74:75], v[34:35], v[0:1]
	v_fmac_f64_e32 v[72:73], v[24:25], v[0:1]
	;; [unrolled: 1-line block ×3, first 2 shown]
	v_subrev_co_u32_e32 v0, vcc, s16, v48
	v_subb_co_u32_e32 v1, vcc, v49, v52, vcc
	v_lshlrev_b64 v[0:1], 5, v[0:1]
	v_fmac_f64_e32 v[72:73], v[16:17], v[2:3]
	v_add_co_u32_e32 v16, vcc, s8, v0
	v_addc_co_u32_e32 v17, vcc, v53, v1, vcc
	global_load_dwordx4 v[6:9], v[16:17], off
	v_fmac_f64_e32 v[76:77], v[20:21], v[2:3]
	v_fmac_f64_e32 v[74:75], v[22:23], v[2:3]
	;; [unrolled: 1-line block ×3, first 2 shown]
	global_load_dwordx4 v[24:27], v[32:33], off
	global_load_dwordx4 v[46:49], v[32:33], off offset:16
	global_load_dwordx4 v[20:23], v[32:33], off offset:48
	;; [unrolled: 1-line block ×4, first 2 shown]
	s_waitcnt vmcnt(5)
	v_fmac_f64_e32 v[76:77], v[12:13], v[6:7]
	v_fmac_f64_e32 v[74:75], v[14:15], v[6:7]
	;; [unrolled: 1-line block ×4, first 2 shown]
	global_load_dwordx4 v[4:7], v[32:33], off offset:96
	v_fmac_f64_e32 v[76:77], v[36:37], v[8:9]
	v_fmac_f64_e32 v[74:75], v[38:39], v[8:9]
	v_fmac_f64_e32 v[72:73], v[28:29], v[8:9]
	v_fmac_f64_e32 v[70:71], v[30:31], v[8:9]
	global_load_dwordx4 v[8:11], v[32:33], off offset:80
	global_load_dwordx4 v[28:31], v[32:33], off offset:64
	global_load_dwordx4 v[34:37], v[16:17], off offset:16
	v_subrev_co_u32_e32 v42, vcc, s16, v50
	v_subb_co_u32_e32 v43, vcc, v51, v52, vcc
	v_subrev_co_u32_e32 v50, vcc, s16, v54
	v_subb_co_u32_e32 v51, vcc, v55, v52, vcc
	v_lshlrev_b64 v[42:43], 5, v[42:43]
	v_add_co_u32_e32 v42, vcc, s8, v42
	v_addc_co_u32_e32 v43, vcc, v53, v43, vcc
	v_lshlrev_b64 v[50:51], 5, v[50:51]
	v_add_co_u32_e32 v50, vcc, s8, v50
	global_load_dwordx4 v[12:15], v[32:33], off offset:2096
	global_load_dwordx4 v[16:19], v[32:33], off offset:2080
	;; [unrolled: 1-line block ×3, first 2 shown]
	v_addc_co_u32_e32 v51, vcc, v53, v51, vcc
	v_add_co_u32_e32 v64, vcc, 64, v64
	v_addc_co_u32_e32 v65, vcc, 0, v65, vcc
	v_add_co_u32_e32 v44, vcc, 0x200, v44
	v_addc_co_u32_e32 v45, vcc, 0, v45, vcc
	v_cmp_ge_i64_e64 s[0:1], v[64:65], v[66:67]
	v_add_co_u32_e32 v68, vcc, 0x2000, v68
	v_addc_co_u32_e32 v69, vcc, 0, v69, vcc
	s_or_b64 s[10:11], s[0:1], s[10:11]
	s_waitcnt vmcnt(3)
	v_fmac_f64_e32 v[72:73], v[78:79], v[34:35]
	v_fmac_f64_e32 v[70:71], v[80:81], v[34:35]
	global_load_dwordx4 v[78:81], v[42:43], off
	v_fmac_f64_e32 v[76:77], v[90:91], v[34:35]
	v_fmac_f64_e32 v[74:75], v[92:93], v[34:35]
	v_fmac_f64_e32 v[76:77], v[86:87], v[36:37]
	v_fmac_f64_e32 v[74:75], v[88:89], v[36:37]
	v_fmac_f64_e32 v[72:73], v[82:83], v[36:37]
	v_fmac_f64_e32 v[70:71], v[84:85], v[36:37]
	global_load_dwordx4 v[34:37], v[32:33], off offset:2048
	global_load_dwordx4 v[82:85], v[32:33], off offset:2112
	s_waitcnt vmcnt(2)
	v_fmac_f64_e32 v[76:77], v[24:25], v[78:79]
	v_fmac_f64_e32 v[74:75], v[26:27], v[78:79]
	;; [unrolled: 1-line block ×4, first 2 shown]
	global_load_dwordx4 v[24:27], v[32:33], off offset:2144
	global_load_dwordx4 v[46:49], v[32:33], off offset:2128
	v_fmac_f64_e32 v[76:77], v[94:95], v[80:81]
	v_fmac_f64_e32 v[74:75], v[96:97], v[80:81]
	;; [unrolled: 1-line block ×4, first 2 shown]
	global_load_dwordx4 v[20:23], v[42:43], off offset:16
	global_load_dwordx4 v[78:81], v[50:51], off
	global_load_dwordx4 v[86:89], v[50:51], off offset:16
	s_waitcnt vmcnt(2)
	v_fmac_f64_e32 v[76:77], v[28:29], v[20:21]
	v_fmac_f64_e32 v[74:75], v[30:31], v[20:21]
	global_load_dwordx4 v[28:31], v[32:33], off offset:2160
	v_fmac_f64_e32 v[72:73], v[8:9], v[20:21]
	v_fmac_f64_e32 v[70:71], v[10:11], v[20:21]
	;; [unrolled: 1-line block ×6, first 2 shown]
	s_waitcnt vmcnt(2)
	v_fmac_f64_e32 v[76:77], v[34:35], v[78:79]
	v_fmac_f64_e32 v[74:75], v[36:37], v[78:79]
	;; [unrolled: 1-line block ×8, first 2 shown]
	s_waitcnt vmcnt(1)
	v_fmac_f64_e32 v[76:77], v[82:83], v[86:87]
	v_fmac_f64_e32 v[74:75], v[84:85], v[86:87]
	;; [unrolled: 1-line block ×6, first 2 shown]
	s_waitcnt vmcnt(0)
	v_fmac_f64_e32 v[72:73], v[28:29], v[88:89]
	v_fmac_f64_e32 v[70:71], v[30:31], v[88:89]
	s_andn2_b64 exec, exec, s[10:11]
	s_cbranch_execnz .LBB47_35
; %bb.36:
	s_or_b64 exec, exec, s[10:11]
.LBB47_37:
	s_or_b64 exec, exec, s[6:7]
.LBB47_38:
	s_or_b64 exec, exec, s[2:3]
.LBB47_39:
	v_mov_b32_dpp v0, v76 row_shr:1 row_mask:0xf bank_mask:0xf
	v_mov_b32_dpp v1, v77 row_shr:1 row_mask:0xf bank_mask:0xf
	v_mov_b32_dpp v4, v74 row_shr:1 row_mask:0xf bank_mask:0xf
	v_mov_b32_dpp v5, v75 row_shr:1 row_mask:0xf bank_mask:0xf
	v_mov_b32_dpp v8, v72 row_shr:1 row_mask:0xf bank_mask:0xf
	v_mov_b32_dpp v9, v73 row_shr:1 row_mask:0xf bank_mask:0xf
	v_mov_b32_dpp v12, v70 row_shr:1 row_mask:0xf bank_mask:0xf
	v_mov_b32_dpp v13, v71 row_shr:1 row_mask:0xf bank_mask:0xf
	v_add_f64 v[0:1], v[76:77], v[0:1]
	v_add_f64 v[4:5], v[74:75], v[4:5]
	v_add_f64 v[8:9], v[72:73], v[8:9]
	v_add_f64 v[12:13], v[70:71], v[12:13]
	v_mov_b32_dpp v2, v0 row_shr:2 row_mask:0xf bank_mask:0xf
	v_mov_b32_dpp v3, v1 row_shr:2 row_mask:0xf bank_mask:0xf
	v_mov_b32_dpp v6, v4 row_shr:2 row_mask:0xf bank_mask:0xf
	v_mov_b32_dpp v7, v5 row_shr:2 row_mask:0xf bank_mask:0xf
	v_mov_b32_dpp v10, v8 row_shr:2 row_mask:0xf bank_mask:0xf
	v_mov_b32_dpp v11, v9 row_shr:2 row_mask:0xf bank_mask:0xf
	v_mov_b32_dpp v14, v12 row_shr:2 row_mask:0xf bank_mask:0xf
	v_mov_b32_dpp v15, v13 row_shr:2 row_mask:0xf bank_mask:0xf
	v_add_f64 v[0:1], v[0:1], v[2:3]
	v_add_f64 v[4:5], v[4:5], v[6:7]
	v_add_f64 v[8:9], v[8:9], v[10:11]
	v_add_f64 v[12:13], v[12:13], v[14:15]
	;; [unrolled: 12-line block ×3, first 2 shown]
	v_mov_b32_dpp v2, v0 row_shr:8 row_mask:0xf bank_mask:0xc
	v_mov_b32_dpp v3, v1 row_shr:8 row_mask:0xf bank_mask:0xc
	;; [unrolled: 1-line block ×8, first 2 shown]
	v_cmp_eq_u32_e32 vcc, 15, v62
	s_and_b64 exec, exec, vcc
	s_cbranch_execz .LBB47_10
; %bb.40:
	s_load_dwordx2 s[0:1], s[4:5], 0x58
	v_add_f64 v[0:1], v[0:1], v[2:3]
	v_add_f64 v[2:3], v[4:5], v[6:7]
	;; [unrolled: 1-line block ×4, first 2 shown]
	v_cmp_eq_f64_e32 vcc, 0, v[56:57]
	v_mul_f64 v[4:5], v[58:59], v[0:1]
	v_mul_f64 v[6:7], v[58:59], v[2:3]
	;; [unrolled: 1-line block ×4, first 2 shown]
	v_lshlrev_b64 v[8:9], 5, v[60:61]
	s_and_saveexec_b64 s[2:3], vcc
	s_xor_b64 s[2:3], exec, s[2:3]
	s_cbranch_execz .LBB47_42
; %bb.41:
	s_waitcnt lgkmcnt(0)
	v_mov_b32_e32 v10, s1
	v_add_co_u32_e32 v8, vcc, s0, v8
	v_addc_co_u32_e32 v9, vcc, v10, v9, vcc
	global_store_dwordx4 v[8:9], v[4:7], off
	global_store_dwordx4 v[8:9], v[0:3], off offset:16
                                        ; implicit-def: $vgpr8_vgpr9
                                        ; implicit-def: $vgpr56_vgpr57
                                        ; implicit-def: $vgpr4_vgpr5
                                        ; implicit-def: $vgpr0_vgpr1
.LBB47_42:
	s_andn2_saveexec_b64 s[2:3], s[2:3]
	s_cbranch_execz .LBB47_10
; %bb.43:
	s_waitcnt lgkmcnt(0)
	v_mov_b32_e32 v10, s1
	v_add_co_u32_e32 v16, vcc, s0, v8
	v_addc_co_u32_e32 v17, vcc, v10, v9, vcc
	global_load_dwordx4 v[8:11], v[16:17], off
	global_load_dwordx4 v[12:15], v[16:17], off offset:16
	s_waitcnt vmcnt(1)
	v_fmac_f64_e32 v[4:5], v[56:57], v[8:9]
	v_fmac_f64_e32 v[6:7], v[56:57], v[10:11]
	s_waitcnt vmcnt(0)
	v_fmac_f64_e32 v[0:1], v[56:57], v[12:13]
	v_fmac_f64_e32 v[2:3], v[56:57], v[14:15]
	global_store_dwordx4 v[16:17], v[4:7], off
	global_store_dwordx4 v[16:17], v[0:3], off offset:16
	s_endpgm
	.section	.rodata,"a",@progbits
	.p2align	6, 0x0
	.amdhsa_kernel _ZN9rocsparseL18bsrxmvn_4x4_kernelILj128ELj16EdlldddEEvT3_20rocsparse_direction_NS_24const_host_device_scalarIT1_EES1_PKS1_PKT2_SA_S7_PKT4_PKT5_S5_PT6_21rocsparse_index_base_b
		.amdhsa_group_segment_fixed_size 0
		.amdhsa_private_segment_fixed_size 0
		.amdhsa_kernarg_size 104
		.amdhsa_user_sgpr_count 6
		.amdhsa_user_sgpr_private_segment_buffer 1
		.amdhsa_user_sgpr_dispatch_ptr 0
		.amdhsa_user_sgpr_queue_ptr 0
		.amdhsa_user_sgpr_kernarg_segment_ptr 1
		.amdhsa_user_sgpr_dispatch_id 0
		.amdhsa_user_sgpr_flat_scratch_init 0
		.amdhsa_user_sgpr_kernarg_preload_length 0
		.amdhsa_user_sgpr_kernarg_preload_offset 0
		.amdhsa_user_sgpr_private_segment_size 0
		.amdhsa_uses_dynamic_stack 0
		.amdhsa_system_sgpr_private_segment_wavefront_offset 0
		.amdhsa_system_sgpr_workgroup_id_x 1
		.amdhsa_system_sgpr_workgroup_id_y 0
		.amdhsa_system_sgpr_workgroup_id_z 0
		.amdhsa_system_sgpr_workgroup_info 0
		.amdhsa_system_vgpr_workitem_id 0
		.amdhsa_next_free_vgpr 108
		.amdhsa_next_free_sgpr 24
		.amdhsa_accum_offset 108
		.amdhsa_reserve_vcc 1
		.amdhsa_reserve_flat_scratch 0
		.amdhsa_float_round_mode_32 0
		.amdhsa_float_round_mode_16_64 0
		.amdhsa_float_denorm_mode_32 3
		.amdhsa_float_denorm_mode_16_64 3
		.amdhsa_dx10_clamp 1
		.amdhsa_ieee_mode 1
		.amdhsa_fp16_overflow 0
		.amdhsa_tg_split 0
		.amdhsa_exception_fp_ieee_invalid_op 0
		.amdhsa_exception_fp_denorm_src 0
		.amdhsa_exception_fp_ieee_div_zero 0
		.amdhsa_exception_fp_ieee_overflow 0
		.amdhsa_exception_fp_ieee_underflow 0
		.amdhsa_exception_fp_ieee_inexact 0
		.amdhsa_exception_int_div_zero 0
	.end_amdhsa_kernel
	.section	.text._ZN9rocsparseL18bsrxmvn_4x4_kernelILj128ELj16EdlldddEEvT3_20rocsparse_direction_NS_24const_host_device_scalarIT1_EES1_PKS1_PKT2_SA_S7_PKT4_PKT5_S5_PT6_21rocsparse_index_base_b,"axG",@progbits,_ZN9rocsparseL18bsrxmvn_4x4_kernelILj128ELj16EdlldddEEvT3_20rocsparse_direction_NS_24const_host_device_scalarIT1_EES1_PKS1_PKT2_SA_S7_PKT4_PKT5_S5_PT6_21rocsparse_index_base_b,comdat
.Lfunc_end47:
	.size	_ZN9rocsparseL18bsrxmvn_4x4_kernelILj128ELj16EdlldddEEvT3_20rocsparse_direction_NS_24const_host_device_scalarIT1_EES1_PKS1_PKT2_SA_S7_PKT4_PKT5_S5_PT6_21rocsparse_index_base_b, .Lfunc_end47-_ZN9rocsparseL18bsrxmvn_4x4_kernelILj128ELj16EdlldddEEvT3_20rocsparse_direction_NS_24const_host_device_scalarIT1_EES1_PKS1_PKT2_SA_S7_PKT4_PKT5_S5_PT6_21rocsparse_index_base_b
                                        ; -- End function
	.section	.AMDGPU.csdata,"",@progbits
; Kernel info:
; codeLenInByte = 3912
; NumSgprs: 28
; NumVgprs: 108
; NumAgprs: 0
; TotalNumVgprs: 108
; ScratchSize: 0
; MemoryBound: 1
; FloatMode: 240
; IeeeMode: 1
; LDSByteSize: 0 bytes/workgroup (compile time only)
; SGPRBlocks: 3
; VGPRBlocks: 13
; NumSGPRsForWavesPerEU: 28
; NumVGPRsForWavesPerEU: 108
; AccumOffset: 108
; Occupancy: 4
; WaveLimiterHint : 1
; COMPUTE_PGM_RSRC2:SCRATCH_EN: 0
; COMPUTE_PGM_RSRC2:USER_SGPR: 6
; COMPUTE_PGM_RSRC2:TRAP_HANDLER: 0
; COMPUTE_PGM_RSRC2:TGID_X_EN: 1
; COMPUTE_PGM_RSRC2:TGID_Y_EN: 0
; COMPUTE_PGM_RSRC2:TGID_Z_EN: 0
; COMPUTE_PGM_RSRC2:TIDIG_COMP_CNT: 0
; COMPUTE_PGM_RSRC3_GFX90A:ACCUM_OFFSET: 26
; COMPUTE_PGM_RSRC3_GFX90A:TG_SPLIT: 0
	.section	.text._ZN9rocsparseL18bsrxmvn_4x4_kernelILj128ELj32EdlldddEEvT3_20rocsparse_direction_NS_24const_host_device_scalarIT1_EES1_PKS1_PKT2_SA_S7_PKT4_PKT5_S5_PT6_21rocsparse_index_base_b,"axG",@progbits,_ZN9rocsparseL18bsrxmvn_4x4_kernelILj128ELj32EdlldddEEvT3_20rocsparse_direction_NS_24const_host_device_scalarIT1_EES1_PKS1_PKT2_SA_S7_PKT4_PKT5_S5_PT6_21rocsparse_index_base_b,comdat
	.globl	_ZN9rocsparseL18bsrxmvn_4x4_kernelILj128ELj32EdlldddEEvT3_20rocsparse_direction_NS_24const_host_device_scalarIT1_EES1_PKS1_PKT2_SA_S7_PKT4_PKT5_S5_PT6_21rocsparse_index_base_b ; -- Begin function _ZN9rocsparseL18bsrxmvn_4x4_kernelILj128ELj32EdlldddEEvT3_20rocsparse_direction_NS_24const_host_device_scalarIT1_EES1_PKS1_PKT2_SA_S7_PKT4_PKT5_S5_PT6_21rocsparse_index_base_b
	.p2align	8
	.type	_ZN9rocsparseL18bsrxmvn_4x4_kernelILj128ELj32EdlldddEEvT3_20rocsparse_direction_NS_24const_host_device_scalarIT1_EES1_PKS1_PKT2_SA_S7_PKT4_PKT5_S5_PT6_21rocsparse_index_base_b,@function
_ZN9rocsparseL18bsrxmvn_4x4_kernelILj128ELj32EdlldddEEvT3_20rocsparse_direction_NS_24const_host_device_scalarIT1_EES1_PKS1_PKT2_SA_S7_PKT4_PKT5_S5_PT6_21rocsparse_index_base_b: ; @_ZN9rocsparseL18bsrxmvn_4x4_kernelILj128ELj32EdlldddEEvT3_20rocsparse_direction_NS_24const_host_device_scalarIT1_EES1_PKS1_PKT2_SA_S7_PKT4_PKT5_S5_PT6_21rocsparse_index_base_b
; %bb.0:
	s_load_dwordx2 s[16:17], s[4:5], 0x60
	s_load_dwordx4 s[0:3], s[4:5], 0x10
	s_load_dwordx2 s[8:9], s[4:5], 0x50
	s_waitcnt lgkmcnt(0)
	s_bitcmp1_b32 s17, 0
	s_cselect_b64 s[12:13], -1, 0
	s_xor_b64 s[10:11], s[12:13], -1
	s_and_b64 vcc, exec, s[12:13]
	v_pk_mov_b32 v[34:35], s[0:1], s[0:1] op_sel:[0,1]
	s_cbranch_vccnz .LBB48_2
; %bb.1:
	v_pk_mov_b32 v[2:3], s[0:1], s[0:1] op_sel:[0,1]
	flat_load_dwordx2 v[34:35], v[2:3]
.LBB48_2:
	s_andn2_b64 vcc, exec, s[10:11]
	v_pk_mov_b32 v[32:33], s[8:9], s[8:9] op_sel:[0,1]
	s_cbranch_vccnz .LBB48_4
; %bb.3:
	v_pk_mov_b32 v[2:3], s[8:9], s[8:9] op_sel:[0,1]
	flat_load_dwordx2 v[32:33], v[2:3]
.LBB48_4:
	s_waitcnt vmcnt(0) lgkmcnt(0)
	v_cmp_neq_f64_e32 vcc, 0, v[34:35]
	v_cmp_neq_f64_e64 s[0:1], 1.0, v[32:33]
	s_mov_b64 s[8:9], 0
	s_or_b64 s[0:1], vcc, s[0:1]
	s_and_saveexec_b64 s[10:11], s[0:1]
	s_cbranch_execz .LBB48_10
; %bb.5:
	s_load_dwordx2 s[10:11], s[4:5], 0x20
	v_lshrrev_b32_e32 v1, 5, v0
	v_lshl_or_b32 v2, s6, 2, v1
	v_mov_b32_e32 v3, 0
	s_mov_b64 s[0:1], 0
	s_waitcnt lgkmcnt(0)
	s_cmp_lg_u64 s[10:11], 0
	s_cbranch_scc0 .LBB48_11
; %bb.6:
	v_cmp_gt_i64_e32 vcc, s[2:3], v[2:3]
                                        ; implicit-def: $vgpr36_vgpr37
	s_and_saveexec_b64 s[2:3], vcc
	s_xor_b64 s[2:3], exec, s[2:3]
                                        ; implicit-def: $sgpr18_sgpr19
	s_cbranch_execz .LBB48_8
; %bb.7:
	v_lshlrev_b64 v[4:5], 3, v[2:3]
	v_mov_b32_e32 v1, s11
	v_add_co_u32_e32 v4, vcc, s10, v4
	v_addc_co_u32_e32 v5, vcc, v1, v5, vcc
	global_load_dwordx2 v[4:5], v[4:5], off
	s_mov_b64 s[0:1], exec
	s_mov_b32 s19, 0
	s_waitcnt vmcnt(0)
	v_subrev_co_u32_e32 v36, vcc, s16, v4
	v_subbrev_co_u32_e32 v37, vcc, 0, v5, vcc
.LBB48_8:
	s_or_b64 exec, exec, s[2:3]
	s_mov_b64 s[8:9], s[0:1]
.LBB48_9:
	s_and_b64 exec, exec, s[8:9]
	s_cbranch_execnz .LBB48_15
.LBB48_10:
	s_endpgm
.LBB48_11:
                                        ; implicit-def: $vgpr36_vgpr37
                                        ; implicit-def: $sgpr18_sgpr19
	s_cbranch_execz .LBB48_9
; %bb.12:
	s_load_dwordx2 s[0:1], s[4:5], 0x0
                                        ; implicit-def: $vgpr36_vgpr37
	s_waitcnt lgkmcnt(0)
	v_cmp_gt_i64_e32 vcc, s[0:1], v[2:3]
	s_and_saveexec_b64 s[0:1], vcc
                                        ; implicit-def: $sgpr18_sgpr19
; %bb.13:
	s_mov_b32 s19, 0
	s_or_b64 s[8:9], s[8:9], exec
	v_pk_mov_b32 v[36:37], v[2:3], v[2:3] op_sel:[0,1]
; %bb.14:
	s_or_b64 exec, exec, s[0:1]
	s_and_b64 exec, exec, s[8:9]
	s_cbranch_execz .LBB48_10
.LBB48_15:
	s_load_dwordx8 s[8:15], s[4:5], 0x28
	v_lshlrev_b64 v[2:3], 3, v[36:37]
	v_and_b32_e32 v38, 31, v0
	v_mov_b32_e32 v0, s19
	s_waitcnt lgkmcnt(0)
	v_mov_b32_e32 v1, s9
	v_add_co_u32_e32 v4, vcc, s8, v2
	v_addc_co_u32_e32 v5, vcc, v1, v3, vcc
	v_add_co_u32_e32 v1, vcc, 8, v4
	global_load_dwordx2 v[54:55], v[4:5], off
	v_addc_co_u32_e32 v4, vcc, 0, v5, vcc
	v_mov_b32_e32 v5, s11
	v_add_co_u32_e32 v2, vcc, s10, v2
	s_cmp_eq_u64 s[10:11], 0
	v_addc_co_u32_e32 v3, vcc, v5, v3, vcc
	s_cselect_b64 vcc, -1, 0
	v_cndmask_b32_e32 v3, v3, v4, vcc
	v_cndmask_b32_e32 v2, v2, v1, vcc
	global_load_dwordx2 v[2:3], v[2:3], off
	s_load_dword s0, s[4:5], 0x8
	s_load_dwordx2 s[8:9], s[4:5], 0x48
	v_mov_b32_e32 v4, s15
	s_waitcnt lgkmcnt(0)
	s_cmp_eq_u32 s0, 1
	s_waitcnt vmcnt(1)
	v_subrev_co_u32_e32 v1, vcc, s16, v54
	v_subb_co_u32_e32 v5, vcc, v55, v0, vcc
	v_add_co_u32_e32 v40, vcc, v1, v38
	v_addc_co_u32_e32 v41, vcc, 0, v5, vcc
	s_waitcnt vmcnt(0)
	v_subrev_co_u32_e32 v42, vcc, s16, v2
	v_subb_co_u32_e32 v43, vcc, v3, v0, vcc
	v_lshlrev_b64 v[0:1], 7, v[40:41]
	v_add_co_u32_e32 v44, vcc, s14, v0
	v_addc_co_u32_e32 v45, vcc, v4, v1, vcc
	v_cmp_lt_i64_e64 s[0:1], v[40:41], v[42:43]
	s_cbranch_scc1 .LBB48_27
; %bb.16:
	v_pk_mov_b32 v[46:47], 0, 0
	s_mov_b64 s[10:11], 0
	v_pk_mov_b32 v[48:49], v[46:47], v[46:47] op_sel:[0,1]
	v_pk_mov_b32 v[50:51], v[46:47], v[46:47] op_sel:[0,1]
	;; [unrolled: 1-line block ×3, first 2 shown]
	s_and_saveexec_b64 s[14:15], s[0:1]
	s_cbranch_execz .LBB48_26
; %bb.17:
	v_or_b32_e32 v0, 32, v38
	v_mov_b32_e32 v1, s19
	v_subrev_co_u32_e32 v0, vcc, s16, v0
	v_subb_co_u32_e32 v1, vcc, 0, v1, vcc
	v_add_co_u32_e32 v0, vcc, v0, v54
	v_addc_co_u32_e32 v1, vcc, v1, v55, vcc
	v_cmp_gt_i64_e32 vcc, v[0:1], v[42:43]
	v_cndmask_b32_e32 v1, v43, v1, vcc
	v_cndmask_b32_e32 v0, v42, v0, vcc
	v_mov_b32_e32 v4, s19
	v_sub_co_u32_e32 v5, vcc, s16, v38
	v_not_b32_e32 v3, v54
	v_subbrev_co_u32_e32 v4, vcc, 0, v4, vcc
	v_not_b32_e32 v2, v55
	v_add_co_u32_e32 v3, vcc, v5, v3
	v_addc_co_u32_e32 v2, vcc, v4, v2, vcc
	v_add_co_u32_e32 v0, vcc, v3, v0
	v_addc_co_u32_e32 v1, vcc, v2, v1, vcc
	v_lshrrev_b32_e32 v2, 5, v0
	v_add_u32_e32 v2, 1, v2
	v_and_b32_e32 v2, 3, v2
	v_pk_mov_b32 v[52:53], 0, 0
	v_cmp_ne_u32_e32 vcc, 0, v2
	s_mov_b64 s[20:21], 0
	v_pk_mov_b32 v[50:51], v[52:53], v[52:53] op_sel:[0,1]
	v_pk_mov_b32 v[48:49], v[52:53], v[52:53] op_sel:[0,1]
	;; [unrolled: 1-line block ×5, first 2 shown]
	s_and_saveexec_b64 s[6:7], vcc
	s_cbranch_execz .LBB48_21
; %bb.18:
	v_lshlrev_b64 v[4:5], 3, v[40:41]
	v_mov_b32_e32 v6, s13
	v_add_co_u32_e32 v4, vcc, s12, v4
	v_pk_mov_b32 v[46:47], 0, 0
	v_mov_b32_e32 v3, 0
	v_addc_co_u32_e32 v5, vcc, v6, v5, vcc
	v_lshlrev_b32_e32 v2, 4, v2
	s_movk_i32 s17, 0x1000
	v_mov_b32_e32 v6, s19
	v_mov_b32_e32 v7, s9
	v_pk_mov_b32 v[58:59], v[44:45], v[44:45] op_sel:[0,1]
	v_pk_mov_b32 v[56:57], v[40:41], v[40:41] op_sel:[0,1]
	;; [unrolled: 1-line block ×5, first 2 shown]
.LBB48_19:                              ; =>This Inner Loop Header: Depth=1
	global_load_dwordx2 v[68:69], v[4:5], off
	global_load_dwordx4 v[8:11], v[58:59], off offset:48
	global_load_dwordx4 v[12:15], v[58:59], off offset:32
	;; [unrolled: 1-line block ×3, first 2 shown]
	global_load_dwordx4 v[20:23], v[58:59], off
	global_load_dwordx4 v[24:27], v[58:59], off offset:112
	global_load_dwordx4 v[28:31], v[58:59], off offset:96
	;; [unrolled: 1-line block ×4, first 2 shown]
	v_add_co_u32_e64 v56, s[2:3], 32, v56
	v_addc_co_u32_e64 v57, s[2:3], 0, v57, s[2:3]
	v_add_co_u32_e64 v2, s[2:3], -16, v2
	v_addc_co_u32_e64 v3, s[2:3], -1, v3, s[2:3]
	v_cmp_eq_u64_e64 s[2:3], 0, v[2:3]
	s_or_b64 s[20:21], s[2:3], s[20:21]
	s_waitcnt vmcnt(8)
	v_subrev_co_u32_e32 v68, vcc, s16, v68
	v_subb_co_u32_e32 v69, vcc, v69, v6, vcc
	v_lshlrev_b64 v[68:69], 5, v[68:69]
	v_add_co_u32_e32 v76, vcc, s8, v68
	v_addc_co_u32_e32 v77, vcc, v7, v69, vcc
	global_load_dwordx4 v[68:71], v[76:77], off
	global_load_dwordx4 v[72:75], v[76:77], off offset:16
	v_add_co_u32_e32 v58, vcc, s17, v58
	v_addc_co_u32_e32 v59, vcc, 0, v59, vcc
	v_add_co_u32_e32 v4, vcc, 0x100, v4
	v_addc_co_u32_e32 v5, vcc, 0, v5, vcc
	s_waitcnt vmcnt(1)
	v_fmac_f64_e32 v[52:53], v[20:21], v[68:69]
	v_fmac_f64_e32 v[50:51], v[12:13], v[68:69]
	;; [unrolled: 1-line block ×8, first 2 shown]
	s_waitcnt vmcnt(0)
	v_fmac_f64_e32 v[52:53], v[16:17], v[72:73]
	v_fmac_f64_e32 v[50:51], v[8:9], v[72:73]
	;; [unrolled: 1-line block ×8, first 2 shown]
	s_andn2_b64 exec, exec, s[20:21]
	s_cbranch_execnz .LBB48_19
; %bb.20:
	s_or_b64 exec, exec, s[20:21]
.LBB48_21:
	s_or_b64 exec, exec, s[6:7]
	s_mov_b64 s[2:3], 0x5f
	v_cmp_lt_u64_e32 vcc, s[2:3], v[0:1]
	s_and_saveexec_b64 s[20:21], vcc
	s_cbranch_execz .LBB48_25
; %bb.22:
	v_lshlrev_b64 v[0:1], 3, v[56:57]
	v_mov_b32_e32 v2, s13
	v_add_co_u32_e32 v0, vcc, s12, v0
	v_addc_co_u32_e32 v1, vcc, v1, v2, vcc
	v_add_co_u32_e32 v60, vcc, 0x200, v0
	v_addc_co_u32_e32 v61, vcc, 0, v1, vcc
	s_mov_b64 s[22:23], 0
	v_mov_b32_e32 v39, s19
	v_mov_b32_e32 v76, s9
	s_movk_i32 s17, 0x1000
	s_movk_i32 s18, 0x2000
	;; [unrolled: 1-line block ×3, first 2 shown]
.LBB48_23:                              ; =>This Inner Loop Header: Depth=1
	global_load_dwordx2 v[64:65], v[60:61], off offset:-512
	global_load_dwordx4 v[4:7], v[58:59], off offset:32
	global_load_dwordx4 v[0:3], v[58:59], off offset:16
	global_load_dwordx4 v[8:11], v[58:59], off
	global_load_dwordx4 v[12:15], v[58:59], off offset:112
	global_load_dwordx4 v[24:27], v[58:59], off offset:96
	;; [unrolled: 1-line block ×5, first 2 shown]
	v_add_co_u32_e32 v62, vcc, s18, v58
	v_add_co_u32_e64 v74, s[6:7], s24, v58
	v_addc_co_u32_e32 v63, vcc, 0, v59, vcc
	v_addc_co_u32_e64 v75, vcc, 0, v59, s[6:7]
	v_add_co_u32_e64 v68, s[2:3], s17, v58
	v_addc_co_u32_e64 v69, s[2:3], 0, v59, s[2:3]
	global_load_dwordx2 v[70:71], v[60:61], off offset:-256
	global_load_dwordx2 v[66:67], v[60:61], off
	global_load_dwordx2 v[72:73], v[60:61], off offset:256
	global_load_dwordx4 v[78:81], v[68:69], off offset:32
	global_load_dwordx4 v[82:85], v[68:69], off offset:16
	;; [unrolled: 1-line block ×5, first 2 shown]
	s_waitcnt vmcnt(16)
	v_subrev_co_u32_e32 v64, vcc, s16, v64
	v_subb_co_u32_e32 v65, vcc, v65, v39, vcc
	v_lshlrev_b64 v[64:65], 5, v[64:65]
	v_add_co_u32_e32 v64, vcc, s8, v64
	v_addc_co_u32_e32 v65, vcc, v76, v65, vcc
	global_load_dwordx4 v[94:97], v[64:65], off
	s_waitcnt vmcnt(0)
	v_fmac_f64_e32 v[52:53], v[8:9], v[94:95]
	v_fmac_f64_e32 v[50:51], v[4:5], v[94:95]
	v_fmac_f64_e32 v[48:49], v[28:29], v[94:95]
	v_fmac_f64_e32 v[46:47], v[24:25], v[94:95]
	v_fmac_f64_e32 v[52:53], v[10:11], v[96:97]
	v_fmac_f64_e32 v[50:51], v[6:7], v[96:97]
	global_load_dwordx4 v[4:7], v[62:63], off offset:112
	v_fmac_f64_e32 v[48:49], v[30:31], v[96:97]
	global_load_dwordx4 v[28:31], v[68:69], off offset:48
	v_fmac_f64_e32 v[46:47], v[26:27], v[96:97]
	global_load_dwordx4 v[94:97], v[68:69], off offset:64
	global_load_dwordx4 v[24:27], v[62:63], off offset:-4096
	global_load_dwordx4 v[8:11], v[64:65], off offset:16
	global_load_dwordx4 v[102:105], v[62:63], off
	global_load_dwordx4 v[106:109], v[62:63], off offset:32
	s_waitcnt vmcnt(2)
	v_fmac_f64_e32 v[46:47], v[12:13], v[8:9]
	v_subrev_co_u32_e32 v12, vcc, s16, v70
	v_subb_co_u32_e32 v13, vcc, v71, v39, vcc
	v_lshlrev_b64 v[12:13], 5, v[12:13]
	v_add_co_u32_e32 v110, vcc, s8, v12
	v_fmac_f64_e32 v[48:49], v[16:17], v[8:9]
	v_addc_co_u32_e32 v111, vcc, v76, v13, vcc
	v_fmac_f64_e32 v[48:49], v[18:19], v[10:11]
	global_load_dwordx4 v[16:19], v[110:111], off
	v_fmac_f64_e32 v[52:53], v[0:1], v[8:9]
	v_fmac_f64_e32 v[50:51], v[20:21], v[8:9]
	;; [unrolled: 1-line block ×5, first 2 shown]
	global_load_dwordx4 v[8:11], v[62:63], off offset:16
	global_load_dwordx4 v[0:3], v[62:63], off offset:48
	v_subrev_co_u32_e32 v66, vcc, s16, v66
	v_subb_co_u32_e32 v67, vcc, v67, v39, vcc
	v_lshlrev_b64 v[66:67], 5, v[66:67]
	v_add_co_u32_e32 v66, vcc, s8, v66
	v_addc_co_u32_e32 v67, vcc, v76, v67, vcc
	v_subrev_co_u32_e32 v72, vcc, s16, v72
	v_subb_co_u32_e32 v73, vcc, v73, v39, vcc
	v_lshlrev_b64 v[72:73], 5, v[72:73]
	global_load_dwordx4 v[12:15], v[62:63], off offset:80
	s_waitcnt vmcnt(3)
	v_fmac_f64_e32 v[52:53], v[24:25], v[16:17]
	v_fmac_f64_e32 v[50:51], v[78:79], v[16:17]
	;; [unrolled: 1-line block ×5, first 2 shown]
	global_load_dwordx4 v[24:27], v[62:63], off offset:96
	v_fmac_f64_e32 v[50:51], v[80:81], v[18:19]
	v_fmac_f64_e32 v[48:49], v[96:97], v[18:19]
	global_load_dwordx4 v[62:65], v[62:63], off offset:64
	v_fmac_f64_e32 v[46:47], v[92:93], v[18:19]
	global_load_dwordx4 v[20:23], v[74:75], off
	global_load_dwordx4 v[16:19], v[74:75], off offset:48
	global_load_dwordx4 v[68:71], v[110:111], off offset:16
	;; [unrolled: 1-line block ×5, first 2 shown]
	s_waitcnt vmcnt(3)
	v_fmac_f64_e32 v[46:47], v[86:87], v[68:69]
	v_fmac_f64_e32 v[46:47], v[88:89], v[70:71]
	global_load_dwordx4 v[86:89], v[66:67], off
	v_fmac_f64_e32 v[52:53], v[82:83], v[68:69]
	v_fmac_f64_e32 v[50:51], v[28:29], v[68:69]
	;; [unrolled: 1-line block ×3, first 2 shown]
	v_add_co_u32_e32 v98, vcc, s8, v72
	v_fmac_f64_e32 v[52:53], v[84:85], v[70:71]
	v_fmac_f64_e32 v[50:51], v[30:31], v[70:71]
	global_load_dwordx4 v[28:31], v[74:75], off offset:112
	global_load_dwordx4 v[82:85], v[74:75], off offset:96
	v_fmac_f64_e32 v[48:49], v[100:101], v[70:71]
	global_load_dwordx4 v[68:71], v[74:75], off offset:80
	v_addc_co_u32_e32 v99, vcc, v76, v73, vcc
	global_load_dwordx4 v[72:75], v[66:67], off offset:16
	v_add_co_u32_e32 v56, vcc, 0x80, v56
	s_mov_b64 s[2:3], vcc
	v_add_co_u32_e32 v60, vcc, 0x400, v60
	s_mov_b64 s[6:7], vcc
	v_addc_co_u32_e64 v57, vcc, 0, v57, s[2:3]
	v_addc_co_u32_e64 v61, s[2:3], 0, v61, s[6:7]
	v_add_co_u32_e32 v58, vcc, 0x4000, v58
	v_cmp_ge_i64_e64 s[2:3], v[56:57], v[42:43]
	v_addc_co_u32_e32 v59, vcc, 0, v59, vcc
	s_or_b64 s[22:23], s[2:3], s[22:23]
	s_waitcnt vmcnt(4)
	v_fmac_f64_e32 v[48:49], v[62:63], v[86:87]
	v_fmac_f64_e32 v[48:49], v[64:65], v[88:89]
	global_load_dwordx4 v[62:65], v[98:99], off
	v_fmac_f64_e32 v[46:47], v[24:25], v[86:87]
	v_fmac_f64_e32 v[46:47], v[26:27], v[88:89]
	global_load_dwordx4 v[24:27], v[98:99], off offset:16
	v_fmac_f64_e32 v[52:53], v[102:103], v[86:87]
	v_fmac_f64_e32 v[50:51], v[106:107], v[86:87]
	v_fmac_f64_e32 v[52:53], v[104:105], v[88:89]
	v_fmac_f64_e32 v[50:51], v[108:109], v[88:89]
	s_waitcnt vmcnt(2)
	v_fmac_f64_e32 v[52:53], v[8:9], v[72:73]
	v_fmac_f64_e32 v[50:51], v[0:1], v[72:73]
	v_fmac_f64_e32 v[48:49], v[12:13], v[72:73]
	v_fmac_f64_e32 v[46:47], v[4:5], v[72:73]
	v_fmac_f64_e32 v[52:53], v[10:11], v[74:75]
	v_fmac_f64_e32 v[50:51], v[2:3], v[74:75]
	v_fmac_f64_e32 v[48:49], v[14:15], v[74:75]
	v_fmac_f64_e32 v[46:47], v[6:7], v[74:75]
	s_waitcnt vmcnt(1)
	v_fmac_f64_e32 v[52:53], v[20:21], v[62:63]
	v_fmac_f64_e32 v[50:51], v[78:79], v[62:63]
	v_fmac_f64_e32 v[48:49], v[90:91], v[62:63]
	v_fmac_f64_e32 v[46:47], v[82:83], v[62:63]
	v_fmac_f64_e32 v[52:53], v[22:23], v[64:65]
	v_fmac_f64_e32 v[50:51], v[80:81], v[64:65]
	v_fmac_f64_e32 v[48:49], v[92:93], v[64:65]
	v_fmac_f64_e32 v[46:47], v[84:85], v[64:65]
	s_waitcnt vmcnt(0)
	v_fmac_f64_e32 v[52:53], v[94:95], v[24:25]
	v_fmac_f64_e32 v[50:51], v[16:17], v[24:25]
	v_fmac_f64_e32 v[48:49], v[68:69], v[24:25]
	v_fmac_f64_e32 v[46:47], v[28:29], v[24:25]
	v_fmac_f64_e32 v[52:53], v[96:97], v[26:27]
	v_fmac_f64_e32 v[50:51], v[18:19], v[26:27]
	;; [unrolled: 1-line block ×4, first 2 shown]
	s_andn2_b64 exec, exec, s[22:23]
	s_cbranch_execnz .LBB48_23
; %bb.24:
	s_or_b64 exec, exec, s[22:23]
.LBB48_25:
	s_or_b64 exec, exec, s[20:21]
.LBB48_26:
	s_or_b64 exec, exec, s[14:15]
	s_andn2_b64 vcc, exec, s[10:11]
	s_cbranch_vccz .LBB48_28
	s_branch .LBB48_39
.LBB48_27:
                                        ; implicit-def: $vgpr46_vgpr47
                                        ; implicit-def: $vgpr48_vgpr49
                                        ; implicit-def: $vgpr50_vgpr51
                                        ; implicit-def: $vgpr52_vgpr53
.LBB48_28:
	v_pk_mov_b32 v[46:47], 0, 0
	v_pk_mov_b32 v[48:49], v[46:47], v[46:47] op_sel:[0,1]
	v_pk_mov_b32 v[50:51], v[46:47], v[46:47] op_sel:[0,1]
	;; [unrolled: 1-line block ×3, first 2 shown]
	s_and_saveexec_b64 s[2:3], s[0:1]
	s_cbranch_execz .LBB48_38
; %bb.29:
	v_or_b32_e32 v0, 32, v38
	v_mov_b32_e32 v1, s19
	v_subrev_co_u32_e32 v0, vcc, s16, v0
	v_subb_co_u32_e32 v1, vcc, 0, v1, vcc
	v_add_co_u32_e32 v0, vcc, v0, v54
	v_addc_co_u32_e32 v1, vcc, v1, v55, vcc
	v_cmp_gt_i64_e32 vcc, v[0:1], v[42:43]
	v_cndmask_b32_e32 v1, v43, v1, vcc
	v_cndmask_b32_e32 v0, v42, v0, vcc
	v_mov_b32_e32 v4, s19
	v_sub_co_u32_e32 v5, vcc, s16, v38
	v_not_b32_e32 v3, v54
	v_subbrev_co_u32_e32 v4, vcc, 0, v4, vcc
	v_not_b32_e32 v2, v55
	v_add_co_u32_e32 v3, vcc, v5, v3
	v_addc_co_u32_e32 v2, vcc, v4, v2, vcc
	v_add_co_u32_e32 v0, vcc, v3, v0
	v_addc_co_u32_e32 v1, vcc, v2, v1, vcc
	v_lshrrev_b32_e32 v2, 5, v0
	v_add_u32_e32 v2, 1, v2
	v_and_b32_e32 v2, 3, v2
	v_pk_mov_b32 v[52:53], 0, 0
	v_cmp_ne_u32_e32 vcc, 0, v2
	s_mov_b64 s[10:11], 0
	v_pk_mov_b32 v[50:51], v[52:53], v[52:53] op_sel:[0,1]
	v_pk_mov_b32 v[48:49], v[52:53], v[52:53] op_sel:[0,1]
	;; [unrolled: 1-line block ×3, first 2 shown]
	s_and_saveexec_b64 s[6:7], vcc
	s_cbranch_execz .LBB48_33
; %bb.30:
	v_lshlrev_b64 v[4:5], 3, v[40:41]
	v_mov_b32_e32 v6, s13
	v_add_co_u32_e32 v4, vcc, s12, v4
	v_pk_mov_b32 v[46:47], 0, 0
	v_mov_b32_e32 v3, 0
	v_addc_co_u32_e32 v5, vcc, v6, v5, vcc
	v_lshlrev_b32_e32 v2, 4, v2
	s_movk_i32 s14, 0x1000
	v_mov_b32_e32 v6, s19
	v_mov_b32_e32 v7, s9
	v_pk_mov_b32 v[48:49], v[46:47], v[46:47] op_sel:[0,1]
	v_pk_mov_b32 v[50:51], v[46:47], v[46:47] op_sel:[0,1]
	;; [unrolled: 1-line block ×3, first 2 shown]
.LBB48_31:                              ; =>This Inner Loop Header: Depth=1
	global_load_dwordx2 v[54:55], v[4:5], off
	global_load_dwordx4 v[8:11], v[44:45], off offset:48
	global_load_dwordx4 v[12:15], v[44:45], off offset:32
	;; [unrolled: 1-line block ×3, first 2 shown]
	global_load_dwordx4 v[20:23], v[44:45], off
	global_load_dwordx4 v[24:27], v[44:45], off offset:80
	global_load_dwordx4 v[28:31], v[44:45], off offset:64
	v_add_co_u32_e64 v40, s[0:1], 32, v40
	v_addc_co_u32_e64 v41, s[0:1], 0, v41, s[0:1]
	v_add_co_u32_e64 v2, s[0:1], -16, v2
	v_addc_co_u32_e64 v3, s[0:1], -1, v3, s[0:1]
	v_cmp_eq_u64_e64 s[0:1], 0, v[2:3]
	s_or_b64 s[10:11], s[0:1], s[10:11]
	s_waitcnt vmcnt(6)
	v_subrev_co_u32_e32 v54, vcc, s16, v54
	v_subb_co_u32_e32 v55, vcc, v55, v6, vcc
	v_lshlrev_b64 v[54:55], 5, v[54:55]
	v_add_co_u32_e32 v70, vcc, s8, v54
	v_addc_co_u32_e32 v71, vcc, v7, v55, vcc
	global_load_dwordx4 v[54:57], v[70:71], off
	global_load_dwordx4 v[58:61], v[70:71], off offset:16
	global_load_dwordx4 v[62:65], v[44:45], off offset:96
	global_load_dwordx4 v[66:69], v[44:45], off offset:112
	v_add_co_u32_e32 v44, vcc, s14, v44
	v_addc_co_u32_e32 v45, vcc, 0, v45, vcc
	v_add_co_u32_e32 v4, vcc, 0x100, v4
	v_addc_co_u32_e32 v5, vcc, 0, v5, vcc
	s_waitcnt vmcnt(3)
	v_fmac_f64_e32 v[52:53], v[20:21], v[54:55]
	v_fmac_f64_e32 v[50:51], v[22:23], v[54:55]
	;; [unrolled: 1-line block ×8, first 2 shown]
	s_waitcnt vmcnt(2)
	v_fmac_f64_e32 v[52:53], v[28:29], v[58:59]
	v_fmac_f64_e32 v[50:51], v[30:31], v[58:59]
	;; [unrolled: 1-line block ×4, first 2 shown]
	s_waitcnt vmcnt(1)
	v_fmac_f64_e32 v[52:53], v[62:63], v[60:61]
	v_fmac_f64_e32 v[50:51], v[64:65], v[60:61]
	s_waitcnt vmcnt(0)
	v_fmac_f64_e32 v[48:49], v[66:67], v[60:61]
	v_fmac_f64_e32 v[46:47], v[68:69], v[60:61]
	s_andn2_b64 exec, exec, s[10:11]
	s_cbranch_execnz .LBB48_31
; %bb.32:
	s_or_b64 exec, exec, s[10:11]
.LBB48_33:
	s_or_b64 exec, exec, s[6:7]
	s_mov_b64 s[0:1], 0x5f
	v_cmp_lt_u64_e32 vcc, s[0:1], v[0:1]
	s_and_saveexec_b64 s[6:7], vcc
	s_cbranch_execz .LBB48_37
; %bb.34:
	v_lshlrev_b64 v[0:1], 3, v[40:41]
	v_mov_b32_e32 v2, s13
	v_add_co_u32_e32 v0, vcc, s12, v0
	v_addc_co_u32_e32 v1, vcc, v1, v2, vcc
	v_add_co_u32_e32 v54, vcc, 0x200, v0
	v_addc_co_u32_e32 v55, vcc, 0, v1, vcc
	s_mov_b64 s[10:11], 0
	v_mov_b32_e32 v39, s19
	v_mov_b32_e32 v68, s9
	s_movk_i32 s9, 0x1000
	s_movk_i32 s12, 0x2000
	;; [unrolled: 1-line block ×3, first 2 shown]
.LBB48_35:                              ; =>This Inner Loop Header: Depth=1
	global_load_dwordx2 v[56:57], v[54:55], off offset:-512
	global_load_dwordx4 v[0:3], v[44:45], off offset:32
	global_load_dwordx4 v[4:7], v[44:45], off offset:16
	;; [unrolled: 1-line block ×7, first 2 shown]
	v_add_co_u32_e32 v62, vcc, s9, v44
	v_addc_co_u32_e32 v63, vcc, 0, v45, vcc
	v_add_co_u32_e32 v58, vcc, s12, v44
	v_addc_co_u32_e32 v59, vcc, 0, v45, vcc
	;; [unrolled: 2-line block ×3, first 2 shown]
	global_load_dwordx2 v[60:61], v[54:55], off offset:-256
	global_load_dwordx2 v[66:67], v[54:55], off
	global_load_dwordx2 v[94:95], v[54:55], off offset:256
	global_load_dwordx4 v[70:73], v[44:45], off
	global_load_dwordx4 v[74:77], v[62:63], off offset:32
	global_load_dwordx4 v[16:19], v[58:59], off offset:112
	;; [unrolled: 1-line block ×4, first 2 shown]
	s_waitcnt vmcnt(15)
	v_subrev_co_u32_e32 v56, vcc, s16, v56
	v_subb_co_u32_e32 v57, vcc, v57, v39, vcc
	v_lshlrev_b64 v[56:57], 5, v[56:57]
	v_add_co_u32_e32 v56, vcc, s8, v56
	v_addc_co_u32_e32 v57, vcc, v68, v57, vcc
	global_load_dwordx4 v[78:81], v[56:57], off
	s_waitcnt vmcnt(0)
	v_fmac_f64_e32 v[52:53], v[70:71], v[78:79]
	v_fmac_f64_e32 v[50:51], v[72:73], v[78:79]
	;; [unrolled: 1-line block ×4, first 2 shown]
	global_load_dwordx4 v[70:73], v[62:63], off offset:16
	v_fmac_f64_e32 v[52:53], v[0:1], v[80:81]
	v_fmac_f64_e32 v[50:51], v[2:3], v[80:81]
	;; [unrolled: 1-line block ×4, first 2 shown]
	global_load_dwordx4 v[28:31], v[62:63], off offset:80
	global_load_dwordx4 v[0:3], v[56:57], off offset:16
	s_waitcnt vmcnt(0)
	v_fmac_f64_e32 v[52:53], v[24:25], v[0:1]
	v_fmac_f64_e32 v[50:51], v[26:27], v[0:1]
	;; [unrolled: 1-line block ×4, first 2 shown]
	v_subrev_co_u32_e32 v0, vcc, s16, v60
	v_subb_co_u32_e32 v1, vcc, v61, v39, vcc
	v_lshlrev_b64 v[0:1], 5, v[0:1]
	v_fmac_f64_e32 v[52:53], v[12:13], v[2:3]
	v_add_co_u32_e32 v12, vcc, s8, v0
	v_addc_co_u32_e32 v13, vcc, v68, v1, vcc
	global_load_dwordx4 v[24:27], v[62:63], off offset:48
	global_load_dwordx4 v[78:81], v[62:63], off offset:64
	global_load_dwordx4 v[4:7], v[58:59], off offset:-4096
	global_load_dwordx4 v[20:23], v[58:59], off
	v_fmac_f64_e32 v[48:49], v[8:9], v[2:3]
	v_fmac_f64_e32 v[46:47], v[10:11], v[2:3]
	global_load_dwordx4 v[8:11], v[12:13], off
	v_fmac_f64_e32 v[50:51], v[14:15], v[2:3]
	global_load_dwordx4 v[90:93], v[58:59], off offset:32
	global_load_dwordx4 v[60:63], v[58:59], off offset:16
	;; [unrolled: 1-line block ×3, first 2 shown]
	v_subrev_co_u32_e32 v66, vcc, s16, v66
	v_subb_co_u32_e32 v67, vcc, v67, v39, vcc
	v_lshlrev_b64 v[66:67], 5, v[66:67]
	s_waitcnt vmcnt(3)
	v_fmac_f64_e32 v[52:53], v[4:5], v[8:9]
	v_fmac_f64_e32 v[50:51], v[6:7], v[8:9]
	global_load_dwordx4 v[4:7], v[58:59], off offset:80
	v_fmac_f64_e32 v[48:49], v[70:71], v[8:9]
	v_fmac_f64_e32 v[46:47], v[72:73], v[8:9]
	;; [unrolled: 1-line block ×6, first 2 shown]
	global_load_dwordx4 v[24:27], v[58:59], off offset:48
	global_load_dwordx4 v[70:73], v[58:59], off offset:64
	;; [unrolled: 1-line block ×4, first 2 shown]
	s_waitcnt vmcnt(1)
	v_fmac_f64_e32 v[52:53], v[78:79], v[74:75]
	global_load_dwordx4 v[12:15], v[64:65], off offset:32
	v_fmac_f64_e32 v[50:51], v[80:81], v[74:75]
	v_fmac_f64_e32 v[48:49], v[28:29], v[74:75]
	;; [unrolled: 1-line block ×3, first 2 shown]
	v_subrev_co_u32_e32 v74, vcc, s16, v94
	v_subb_co_u32_e32 v75, vcc, v95, v39, vcc
	v_add_co_u32_e32 v66, vcc, s8, v66
	v_lshlrev_b64 v[74:75], 5, v[74:75]
	v_addc_co_u32_e32 v67, vcc, v68, v67, vcc
	v_fmac_f64_e32 v[52:53], v[86:87], v[76:77]
	v_add_co_u32_e32 v86, vcc, s8, v74
	v_fmac_f64_e32 v[50:51], v[88:89], v[76:77]
	v_fmac_f64_e32 v[48:49], v[82:83], v[76:77]
	;; [unrolled: 1-line block ×3, first 2 shown]
	v_addc_co_u32_e32 v87, vcc, v68, v75, vcc
	global_load_dwordx4 v[74:77], v[66:67], off
	global_load_dwordx4 v[28:31], v[64:65], off
	global_load_dwordx4 v[56:59], v[64:65], off offset:16
	v_add_co_u32_e32 v40, vcc, 0x80, v40
	v_addc_co_u32_e32 v41, vcc, 0, v41, vcc
	v_add_co_u32_e32 v54, vcc, 0x400, v54
	v_addc_co_u32_e32 v55, vcc, 0, v55, vcc
	v_cmp_ge_i64_e64 s[0:1], v[40:41], v[42:43]
	v_add_co_u32_e32 v44, vcc, 0x4000, v44
	v_addc_co_u32_e32 v45, vcc, 0, v45, vcc
	s_or_b64 s[10:11], s[0:1], s[10:11]
	global_load_dwordx4 v[78:81], v[64:65], off offset:64
	s_waitcnt vmcnt(3)
	v_fmac_f64_e32 v[52:53], v[20:21], v[74:75]
	v_fmac_f64_e32 v[50:51], v[22:23], v[74:75]
	;; [unrolled: 1-line block ×4, first 2 shown]
	global_load_dwordx4 v[20:23], v[64:65], off offset:96
	global_load_dwordx4 v[60:63], v[64:65], off offset:80
	v_fmac_f64_e32 v[52:53], v[90:91], v[76:77]
	v_fmac_f64_e32 v[50:51], v[92:93], v[76:77]
	;; [unrolled: 1-line block ×4, first 2 shown]
	global_load_dwordx4 v[24:27], v[66:67], off offset:16
	global_load_dwordx4 v[74:77], v[86:87], off
	global_load_dwordx4 v[82:85], v[86:87], off offset:16
	s_waitcnt vmcnt(2)
	v_fmac_f64_e32 v[52:53], v[70:71], v[24:25]
	global_load_dwordx4 v[64:67], v[64:65], off offset:112
	v_fmac_f64_e32 v[50:51], v[72:73], v[24:25]
	v_fmac_f64_e32 v[48:49], v[4:5], v[24:25]
	;; [unrolled: 1-line block ×7, first 2 shown]
	s_waitcnt vmcnt(2)
	v_fmac_f64_e32 v[52:53], v[28:29], v[74:75]
	v_fmac_f64_e32 v[50:51], v[30:31], v[74:75]
	;; [unrolled: 1-line block ×8, first 2 shown]
	s_waitcnt vmcnt(1)
	v_fmac_f64_e32 v[52:53], v[78:79], v[82:83]
	v_fmac_f64_e32 v[50:51], v[80:81], v[82:83]
	;; [unrolled: 1-line block ×6, first 2 shown]
	s_waitcnt vmcnt(0)
	v_fmac_f64_e32 v[48:49], v[64:65], v[84:85]
	v_fmac_f64_e32 v[46:47], v[66:67], v[84:85]
	s_andn2_b64 exec, exec, s[10:11]
	s_cbranch_execnz .LBB48_35
; %bb.36:
	s_or_b64 exec, exec, s[10:11]
.LBB48_37:
	s_or_b64 exec, exec, s[6:7]
.LBB48_38:
	s_or_b64 exec, exec, s[2:3]
.LBB48_39:
	v_mov_b32_dpp v0, v52 row_shr:1 row_mask:0xf bank_mask:0xf
	v_mov_b32_dpp v1, v53 row_shr:1 row_mask:0xf bank_mask:0xf
	v_mov_b32_dpp v4, v50 row_shr:1 row_mask:0xf bank_mask:0xf
	v_mov_b32_dpp v5, v51 row_shr:1 row_mask:0xf bank_mask:0xf
	v_mov_b32_dpp v8, v48 row_shr:1 row_mask:0xf bank_mask:0xf
	v_mov_b32_dpp v9, v49 row_shr:1 row_mask:0xf bank_mask:0xf
	v_mov_b32_dpp v12, v46 row_shr:1 row_mask:0xf bank_mask:0xf
	v_mov_b32_dpp v13, v47 row_shr:1 row_mask:0xf bank_mask:0xf
	v_add_f64 v[0:1], v[52:53], v[0:1]
	v_add_f64 v[4:5], v[50:51], v[4:5]
	v_add_f64 v[8:9], v[48:49], v[8:9]
	v_add_f64 v[12:13], v[46:47], v[12:13]
	v_mov_b32_dpp v2, v0 row_shr:2 row_mask:0xf bank_mask:0xf
	v_mov_b32_dpp v3, v1 row_shr:2 row_mask:0xf bank_mask:0xf
	v_mov_b32_dpp v6, v4 row_shr:2 row_mask:0xf bank_mask:0xf
	v_mov_b32_dpp v7, v5 row_shr:2 row_mask:0xf bank_mask:0xf
	v_mov_b32_dpp v10, v8 row_shr:2 row_mask:0xf bank_mask:0xf
	v_mov_b32_dpp v11, v9 row_shr:2 row_mask:0xf bank_mask:0xf
	v_mov_b32_dpp v14, v12 row_shr:2 row_mask:0xf bank_mask:0xf
	v_mov_b32_dpp v15, v13 row_shr:2 row_mask:0xf bank_mask:0xf
	v_add_f64 v[0:1], v[0:1], v[2:3]
	v_add_f64 v[4:5], v[4:5], v[6:7]
	v_add_f64 v[8:9], v[8:9], v[10:11]
	v_add_f64 v[12:13], v[12:13], v[14:15]
	;; [unrolled: 12-line block ×4, first 2 shown]
	v_mov_b32_dpp v2, v0 row_bcast:15 row_mask:0xa bank_mask:0xf
	v_mov_b32_dpp v3, v1 row_bcast:15 row_mask:0xa bank_mask:0xf
	;; [unrolled: 1-line block ×8, first 2 shown]
	v_cmp_eq_u32_e32 vcc, 31, v38
	s_and_b64 exec, exec, vcc
	s_cbranch_execz .LBB48_10
; %bb.40:
	s_load_dwordx2 s[0:1], s[4:5], 0x58
	v_add_f64 v[0:1], v[0:1], v[2:3]
	v_add_f64 v[2:3], v[4:5], v[6:7]
	;; [unrolled: 1-line block ×4, first 2 shown]
	v_cmp_eq_f64_e32 vcc, 0, v[32:33]
	v_mul_f64 v[4:5], v[34:35], v[0:1]
	v_mul_f64 v[6:7], v[34:35], v[2:3]
	;; [unrolled: 1-line block ×4, first 2 shown]
	v_lshlrev_b64 v[8:9], 5, v[36:37]
	s_and_saveexec_b64 s[2:3], vcc
	s_xor_b64 s[2:3], exec, s[2:3]
	s_cbranch_execz .LBB48_42
; %bb.41:
	s_waitcnt lgkmcnt(0)
	v_mov_b32_e32 v10, s1
	v_add_co_u32_e32 v8, vcc, s0, v8
	v_addc_co_u32_e32 v9, vcc, v10, v9, vcc
	global_store_dwordx4 v[8:9], v[4:7], off
	global_store_dwordx4 v[8:9], v[0:3], off offset:16
                                        ; implicit-def: $vgpr8_vgpr9
                                        ; implicit-def: $vgpr32_vgpr33
                                        ; implicit-def: $vgpr4_vgpr5
                                        ; implicit-def: $vgpr0_vgpr1
.LBB48_42:
	s_andn2_saveexec_b64 s[2:3], s[2:3]
	s_cbranch_execz .LBB48_10
; %bb.43:
	s_waitcnt lgkmcnt(0)
	v_mov_b32_e32 v10, s1
	v_add_co_u32_e32 v16, vcc, s0, v8
	v_addc_co_u32_e32 v17, vcc, v10, v9, vcc
	global_load_dwordx4 v[8:11], v[16:17], off
	global_load_dwordx4 v[12:15], v[16:17], off offset:16
	s_waitcnt vmcnt(1)
	v_fmac_f64_e32 v[4:5], v[32:33], v[8:9]
	v_fmac_f64_e32 v[6:7], v[32:33], v[10:11]
	s_waitcnt vmcnt(0)
	v_fmac_f64_e32 v[0:1], v[32:33], v[12:13]
	v_fmac_f64_e32 v[2:3], v[32:33], v[14:15]
	global_store_dwordx4 v[16:17], v[4:7], off
	global_store_dwordx4 v[16:17], v[0:3], off offset:16
	s_endpgm
	.section	.rodata,"a",@progbits
	.p2align	6, 0x0
	.amdhsa_kernel _ZN9rocsparseL18bsrxmvn_4x4_kernelILj128ELj32EdlldddEEvT3_20rocsparse_direction_NS_24const_host_device_scalarIT1_EES1_PKS1_PKT2_SA_S7_PKT4_PKT5_S5_PT6_21rocsparse_index_base_b
		.amdhsa_group_segment_fixed_size 0
		.amdhsa_private_segment_fixed_size 0
		.amdhsa_kernarg_size 104
		.amdhsa_user_sgpr_count 6
		.amdhsa_user_sgpr_private_segment_buffer 1
		.amdhsa_user_sgpr_dispatch_ptr 0
		.amdhsa_user_sgpr_queue_ptr 0
		.amdhsa_user_sgpr_kernarg_segment_ptr 1
		.amdhsa_user_sgpr_dispatch_id 0
		.amdhsa_user_sgpr_flat_scratch_init 0
		.amdhsa_user_sgpr_kernarg_preload_length 0
		.amdhsa_user_sgpr_kernarg_preload_offset 0
		.amdhsa_user_sgpr_private_segment_size 0
		.amdhsa_uses_dynamic_stack 0
		.amdhsa_system_sgpr_private_segment_wavefront_offset 0
		.amdhsa_system_sgpr_workgroup_id_x 1
		.amdhsa_system_sgpr_workgroup_id_y 0
		.amdhsa_system_sgpr_workgroup_id_z 0
		.amdhsa_system_sgpr_workgroup_info 0
		.amdhsa_system_vgpr_workitem_id 0
		.amdhsa_next_free_vgpr 112
		.amdhsa_next_free_sgpr 25
		.amdhsa_accum_offset 112
		.amdhsa_reserve_vcc 1
		.amdhsa_reserve_flat_scratch 0
		.amdhsa_float_round_mode_32 0
		.amdhsa_float_round_mode_16_64 0
		.amdhsa_float_denorm_mode_32 3
		.amdhsa_float_denorm_mode_16_64 3
		.amdhsa_dx10_clamp 1
		.amdhsa_ieee_mode 1
		.amdhsa_fp16_overflow 0
		.amdhsa_tg_split 0
		.amdhsa_exception_fp_ieee_invalid_op 0
		.amdhsa_exception_fp_denorm_src 0
		.amdhsa_exception_fp_ieee_div_zero 0
		.amdhsa_exception_fp_ieee_overflow 0
		.amdhsa_exception_fp_ieee_underflow 0
		.amdhsa_exception_fp_ieee_inexact 0
		.amdhsa_exception_int_div_zero 0
	.end_amdhsa_kernel
	.section	.text._ZN9rocsparseL18bsrxmvn_4x4_kernelILj128ELj32EdlldddEEvT3_20rocsparse_direction_NS_24const_host_device_scalarIT1_EES1_PKS1_PKT2_SA_S7_PKT4_PKT5_S5_PT6_21rocsparse_index_base_b,"axG",@progbits,_ZN9rocsparseL18bsrxmvn_4x4_kernelILj128ELj32EdlldddEEvT3_20rocsparse_direction_NS_24const_host_device_scalarIT1_EES1_PKS1_PKT2_SA_S7_PKT4_PKT5_S5_PT6_21rocsparse_index_base_b,comdat
.Lfunc_end48:
	.size	_ZN9rocsparseL18bsrxmvn_4x4_kernelILj128ELj32EdlldddEEvT3_20rocsparse_direction_NS_24const_host_device_scalarIT1_EES1_PKS1_PKT2_SA_S7_PKT4_PKT5_S5_PT6_21rocsparse_index_base_b, .Lfunc_end48-_ZN9rocsparseL18bsrxmvn_4x4_kernelILj128ELj32EdlldddEEvT3_20rocsparse_direction_NS_24const_host_device_scalarIT1_EES1_PKS1_PKT2_SA_S7_PKT4_PKT5_S5_PT6_21rocsparse_index_base_b
                                        ; -- End function
	.section	.AMDGPU.csdata,"",@progbits
; Kernel info:
; codeLenInByte = 4096
; NumSgprs: 29
; NumVgprs: 112
; NumAgprs: 0
; TotalNumVgprs: 112
; ScratchSize: 0
; MemoryBound: 1
; FloatMode: 240
; IeeeMode: 1
; LDSByteSize: 0 bytes/workgroup (compile time only)
; SGPRBlocks: 3
; VGPRBlocks: 13
; NumSGPRsForWavesPerEU: 29
; NumVGPRsForWavesPerEU: 112
; AccumOffset: 112
; Occupancy: 4
; WaveLimiterHint : 1
; COMPUTE_PGM_RSRC2:SCRATCH_EN: 0
; COMPUTE_PGM_RSRC2:USER_SGPR: 6
; COMPUTE_PGM_RSRC2:TRAP_HANDLER: 0
; COMPUTE_PGM_RSRC2:TGID_X_EN: 1
; COMPUTE_PGM_RSRC2:TGID_Y_EN: 0
; COMPUTE_PGM_RSRC2:TGID_Z_EN: 0
; COMPUTE_PGM_RSRC2:TIDIG_COMP_CNT: 0
; COMPUTE_PGM_RSRC3_GFX90A:ACCUM_OFFSET: 27
; COMPUTE_PGM_RSRC3_GFX90A:TG_SPLIT: 0
	.section	.text._ZN9rocsparseL18bsrxmvn_4x4_kernelILj128ELj64EdlldddEEvT3_20rocsparse_direction_NS_24const_host_device_scalarIT1_EES1_PKS1_PKT2_SA_S7_PKT4_PKT5_S5_PT6_21rocsparse_index_base_b,"axG",@progbits,_ZN9rocsparseL18bsrxmvn_4x4_kernelILj128ELj64EdlldddEEvT3_20rocsparse_direction_NS_24const_host_device_scalarIT1_EES1_PKS1_PKT2_SA_S7_PKT4_PKT5_S5_PT6_21rocsparse_index_base_b,comdat
	.globl	_ZN9rocsparseL18bsrxmvn_4x4_kernelILj128ELj64EdlldddEEvT3_20rocsparse_direction_NS_24const_host_device_scalarIT1_EES1_PKS1_PKT2_SA_S7_PKT4_PKT5_S5_PT6_21rocsparse_index_base_b ; -- Begin function _ZN9rocsparseL18bsrxmvn_4x4_kernelILj128ELj64EdlldddEEvT3_20rocsparse_direction_NS_24const_host_device_scalarIT1_EES1_PKS1_PKT2_SA_S7_PKT4_PKT5_S5_PT6_21rocsparse_index_base_b
	.p2align	8
	.type	_ZN9rocsparseL18bsrxmvn_4x4_kernelILj128ELj64EdlldddEEvT3_20rocsparse_direction_NS_24const_host_device_scalarIT1_EES1_PKS1_PKT2_SA_S7_PKT4_PKT5_S5_PT6_21rocsparse_index_base_b,@function
_ZN9rocsparseL18bsrxmvn_4x4_kernelILj128ELj64EdlldddEEvT3_20rocsparse_direction_NS_24const_host_device_scalarIT1_EES1_PKS1_PKT2_SA_S7_PKT4_PKT5_S5_PT6_21rocsparse_index_base_b: ; @_ZN9rocsparseL18bsrxmvn_4x4_kernelILj128ELj64EdlldddEEvT3_20rocsparse_direction_NS_24const_host_device_scalarIT1_EES1_PKS1_PKT2_SA_S7_PKT4_PKT5_S5_PT6_21rocsparse_index_base_b
; %bb.0:
	s_load_dwordx2 s[16:17], s[4:5], 0x60
	s_load_dwordx4 s[0:3], s[4:5], 0x10
	s_load_dwordx2 s[8:9], s[4:5], 0x50
	s_waitcnt lgkmcnt(0)
	s_bitcmp1_b32 s17, 0
	s_cselect_b64 s[12:13], -1, 0
	s_xor_b64 s[10:11], s[12:13], -1
	s_and_b64 vcc, exec, s[12:13]
	v_pk_mov_b32 v[34:35], s[0:1], s[0:1] op_sel:[0,1]
	s_cbranch_vccnz .LBB49_2
; %bb.1:
	v_pk_mov_b32 v[2:3], s[0:1], s[0:1] op_sel:[0,1]
	flat_load_dwordx2 v[34:35], v[2:3]
.LBB49_2:
	s_andn2_b64 vcc, exec, s[10:11]
	v_pk_mov_b32 v[32:33], s[8:9], s[8:9] op_sel:[0,1]
	s_cbranch_vccnz .LBB49_4
; %bb.3:
	v_pk_mov_b32 v[2:3], s[8:9], s[8:9] op_sel:[0,1]
	flat_load_dwordx2 v[32:33], v[2:3]
.LBB49_4:
	s_waitcnt vmcnt(0) lgkmcnt(0)
	v_cmp_neq_f64_e32 vcc, 0, v[34:35]
	v_cmp_neq_f64_e64 s[0:1], 1.0, v[32:33]
	s_mov_b64 s[8:9], 0
	s_or_b64 s[0:1], vcc, s[0:1]
	s_and_saveexec_b64 s[10:11], s[0:1]
	s_cbranch_execz .LBB49_10
; %bb.5:
	s_load_dwordx2 s[10:11], s[4:5], 0x20
	v_lshrrev_b32_e32 v1, 6, v0
	v_lshl_or_b32 v2, s6, 1, v1
	v_mov_b32_e32 v3, 0
	s_mov_b64 s[0:1], 0
	s_waitcnt lgkmcnt(0)
	s_cmp_lg_u64 s[10:11], 0
	s_cbranch_scc0 .LBB49_11
; %bb.6:
	v_cmp_gt_i64_e32 vcc, s[2:3], v[2:3]
                                        ; implicit-def: $vgpr36_vgpr37
	s_and_saveexec_b64 s[2:3], vcc
	s_xor_b64 s[2:3], exec, s[2:3]
                                        ; implicit-def: $sgpr18_sgpr19
	s_cbranch_execz .LBB49_8
; %bb.7:
	v_lshlrev_b64 v[4:5], 3, v[2:3]
	v_mov_b32_e32 v1, s11
	v_add_co_u32_e32 v4, vcc, s10, v4
	v_addc_co_u32_e32 v5, vcc, v1, v5, vcc
	global_load_dwordx2 v[4:5], v[4:5], off
	s_mov_b64 s[0:1], exec
	s_mov_b32 s19, 0
	s_waitcnt vmcnt(0)
	v_subrev_co_u32_e32 v36, vcc, s16, v4
	v_subbrev_co_u32_e32 v37, vcc, 0, v5, vcc
.LBB49_8:
	s_or_b64 exec, exec, s[2:3]
	s_mov_b64 s[8:9], s[0:1]
.LBB49_9:
	s_and_b64 exec, exec, s[8:9]
	s_cbranch_execnz .LBB49_15
.LBB49_10:
	s_endpgm
.LBB49_11:
                                        ; implicit-def: $vgpr36_vgpr37
                                        ; implicit-def: $sgpr18_sgpr19
	s_cbranch_execz .LBB49_9
; %bb.12:
	s_load_dwordx2 s[0:1], s[4:5], 0x0
                                        ; implicit-def: $vgpr36_vgpr37
	s_waitcnt lgkmcnt(0)
	v_cmp_gt_i64_e32 vcc, s[0:1], v[2:3]
	s_and_saveexec_b64 s[0:1], vcc
                                        ; implicit-def: $sgpr18_sgpr19
; %bb.13:
	s_mov_b32 s19, 0
	s_or_b64 s[8:9], s[8:9], exec
	v_pk_mov_b32 v[36:37], v[2:3], v[2:3] op_sel:[0,1]
; %bb.14:
	s_or_b64 exec, exec, s[0:1]
	s_and_b64 exec, exec, s[8:9]
	s_cbranch_execz .LBB49_10
.LBB49_15:
	s_load_dwordx8 s[8:15], s[4:5], 0x28
	v_lshlrev_b64 v[2:3], 3, v[36:37]
	v_and_b32_e32 v38, 63, v0
	v_mov_b32_e32 v0, s19
	s_waitcnt lgkmcnt(0)
	v_mov_b32_e32 v1, s9
	v_add_co_u32_e32 v4, vcc, s8, v2
	v_addc_co_u32_e32 v5, vcc, v1, v3, vcc
	v_add_co_u32_e32 v1, vcc, 8, v4
	global_load_dwordx2 v[54:55], v[4:5], off
	v_addc_co_u32_e32 v4, vcc, 0, v5, vcc
	v_mov_b32_e32 v5, s11
	v_add_co_u32_e32 v2, vcc, s10, v2
	s_cmp_eq_u64 s[10:11], 0
	v_addc_co_u32_e32 v3, vcc, v5, v3, vcc
	s_cselect_b64 vcc, -1, 0
	v_cndmask_b32_e32 v3, v3, v4, vcc
	v_cndmask_b32_e32 v2, v2, v1, vcc
	global_load_dwordx2 v[2:3], v[2:3], off
	s_load_dword s0, s[4:5], 0x8
	s_load_dwordx2 s[8:9], s[4:5], 0x48
	v_mov_b32_e32 v4, s15
	s_waitcnt lgkmcnt(0)
	s_cmp_eq_u32 s0, 1
	s_waitcnt vmcnt(1)
	v_subrev_co_u32_e32 v1, vcc, s16, v54
	v_subb_co_u32_e32 v5, vcc, v55, v0, vcc
	v_add_co_u32_e32 v42, vcc, v1, v38
	v_addc_co_u32_e32 v43, vcc, 0, v5, vcc
	s_waitcnt vmcnt(0)
	v_subrev_co_u32_e32 v44, vcc, s16, v2
	v_subb_co_u32_e32 v45, vcc, v3, v0, vcc
	v_lshlrev_b64 v[0:1], 7, v[42:43]
	v_add_co_u32_e32 v46, vcc, s14, v0
	v_addc_co_u32_e32 v47, vcc, v4, v1, vcc
	v_cmp_lt_i64_e64 s[0:1], v[42:43], v[44:45]
	s_cbranch_scc1 .LBB49_27
; %bb.16:
	v_pk_mov_b32 v[40:41], 0, 0
	s_mov_b64 s[10:11], 0
	v_pk_mov_b32 v[48:49], v[40:41], v[40:41] op_sel:[0,1]
	v_pk_mov_b32 v[50:51], v[40:41], v[40:41] op_sel:[0,1]
	;; [unrolled: 1-line block ×3, first 2 shown]
	s_and_saveexec_b64 s[14:15], s[0:1]
	s_cbranch_execz .LBB49_26
; %bb.17:
	v_or_b32_e32 v0, 64, v38
	v_mov_b32_e32 v1, s19
	v_subrev_co_u32_e32 v0, vcc, s16, v0
	v_subb_co_u32_e32 v1, vcc, 0, v1, vcc
	v_add_co_u32_e32 v0, vcc, v0, v54
	v_addc_co_u32_e32 v1, vcc, v1, v55, vcc
	v_cmp_gt_i64_e32 vcc, v[0:1], v[44:45]
	v_cndmask_b32_e32 v1, v45, v1, vcc
	v_cndmask_b32_e32 v0, v44, v0, vcc
	v_mov_b32_e32 v4, s19
	v_sub_co_u32_e32 v5, vcc, s16, v38
	v_not_b32_e32 v3, v54
	v_subbrev_co_u32_e32 v4, vcc, 0, v4, vcc
	v_not_b32_e32 v2, v55
	v_add_co_u32_e32 v3, vcc, v5, v3
	v_addc_co_u32_e32 v2, vcc, v4, v2, vcc
	v_add_co_u32_e32 v0, vcc, v3, v0
	v_addc_co_u32_e32 v1, vcc, v2, v1, vcc
	v_lshrrev_b32_e32 v2, 6, v0
	v_add_u32_e32 v2, 1, v2
	v_and_b32_e32 v2, 3, v2
	v_pk_mov_b32 v[52:53], 0, 0
	v_cmp_ne_u32_e32 vcc, 0, v2
	s_mov_b64 s[20:21], 0
	v_pk_mov_b32 v[50:51], v[52:53], v[52:53] op_sel:[0,1]
	v_pk_mov_b32 v[48:49], v[52:53], v[52:53] op_sel:[0,1]
	;; [unrolled: 1-line block ×5, first 2 shown]
	s_and_saveexec_b64 s[6:7], vcc
	s_cbranch_execz .LBB49_21
; %bb.18:
	v_lshlrev_b64 v[4:5], 3, v[42:43]
	v_mov_b32_e32 v6, s13
	v_add_co_u32_e32 v4, vcc, s12, v4
	v_pk_mov_b32 v[40:41], 0, 0
	v_mov_b32_e32 v3, 0
	v_addc_co_u32_e32 v5, vcc, v6, v5, vcc
	v_lshlrev_b32_e32 v2, 4, v2
	s_movk_i32 s17, 0x2000
	v_mov_b32_e32 v6, s19
	v_mov_b32_e32 v7, s9
	v_pk_mov_b32 v[58:59], v[46:47], v[46:47] op_sel:[0,1]
	v_pk_mov_b32 v[56:57], v[42:43], v[42:43] op_sel:[0,1]
	v_pk_mov_b32 v[48:49], v[40:41], v[40:41] op_sel:[0,1]
	v_pk_mov_b32 v[50:51], v[40:41], v[40:41] op_sel:[0,1]
	v_pk_mov_b32 v[52:53], v[40:41], v[40:41] op_sel:[0,1]
.LBB49_19:                              ; =>This Inner Loop Header: Depth=1
	global_load_dwordx2 v[68:69], v[4:5], off
	global_load_dwordx4 v[8:11], v[58:59], off offset:48
	global_load_dwordx4 v[12:15], v[58:59], off offset:32
	;; [unrolled: 1-line block ×3, first 2 shown]
	global_load_dwordx4 v[20:23], v[58:59], off
	global_load_dwordx4 v[24:27], v[58:59], off offset:112
	global_load_dwordx4 v[28:31], v[58:59], off offset:96
	;; [unrolled: 1-line block ×4, first 2 shown]
	v_add_co_u32_e64 v56, s[2:3], 64, v56
	v_addc_co_u32_e64 v57, s[2:3], 0, v57, s[2:3]
	v_add_co_u32_e64 v2, s[2:3], -16, v2
	v_addc_co_u32_e64 v3, s[2:3], -1, v3, s[2:3]
	v_cmp_eq_u64_e64 s[2:3], 0, v[2:3]
	s_or_b64 s[20:21], s[2:3], s[20:21]
	s_waitcnt vmcnt(8)
	v_subrev_co_u32_e32 v68, vcc, s16, v68
	v_subb_co_u32_e32 v69, vcc, v69, v6, vcc
	v_lshlrev_b64 v[68:69], 5, v[68:69]
	v_add_co_u32_e32 v76, vcc, s8, v68
	v_addc_co_u32_e32 v77, vcc, v7, v69, vcc
	global_load_dwordx4 v[68:71], v[76:77], off
	global_load_dwordx4 v[72:75], v[76:77], off offset:16
	v_add_co_u32_e32 v58, vcc, s17, v58
	v_addc_co_u32_e32 v59, vcc, 0, v59, vcc
	v_add_co_u32_e32 v4, vcc, 0x200, v4
	v_addc_co_u32_e32 v5, vcc, 0, v5, vcc
	s_waitcnt vmcnt(1)
	v_fmac_f64_e32 v[52:53], v[20:21], v[68:69]
	v_fmac_f64_e32 v[50:51], v[12:13], v[68:69]
	;; [unrolled: 1-line block ×8, first 2 shown]
	s_waitcnt vmcnt(0)
	v_fmac_f64_e32 v[52:53], v[16:17], v[72:73]
	v_fmac_f64_e32 v[50:51], v[8:9], v[72:73]
	;; [unrolled: 1-line block ×8, first 2 shown]
	s_andn2_b64 exec, exec, s[20:21]
	s_cbranch_execnz .LBB49_19
; %bb.20:
	s_or_b64 exec, exec, s[20:21]
.LBB49_21:
	s_or_b64 exec, exec, s[6:7]
	s_mov_b64 s[2:3], 0xbf
	v_cmp_lt_u64_e32 vcc, s[2:3], v[0:1]
	s_and_saveexec_b64 s[20:21], vcc
	s_cbranch_execz .LBB49_25
; %bb.22:
	v_lshlrev_b64 v[0:1], 3, v[56:57]
	v_mov_b32_e32 v2, s13
	v_add_co_u32_e32 v0, vcc, s12, v0
	v_addc_co_u32_e32 v1, vcc, v1, v2, vcc
	v_add_co_u32_e32 v60, vcc, 0x400, v0
	v_addc_co_u32_e32 v61, vcc, 0, v1, vcc
	s_mov_b64 s[22:23], 0
	v_mov_b32_e32 v39, s19
	v_mov_b32_e32 v74, s9
	s_movk_i32 s17, 0x2000
	s_movk_i32 s18, 0x4000
	s_movk_i32 s24, 0x6000
.LBB49_23:                              ; =>This Inner Loop Header: Depth=1
	global_load_dwordx2 v[64:65], v[60:61], off offset:-1024
	global_load_dwordx4 v[0:3], v[58:59], off offset:48
	global_load_dwordx4 v[8:11], v[58:59], off offset:32
	;; [unrolled: 1-line block ×3, first 2 shown]
	global_load_dwordx4 v[12:15], v[58:59], off
	global_load_dwordx4 v[16:19], v[58:59], off offset:112
	global_load_dwordx4 v[24:27], v[58:59], off offset:96
	global_load_dwordx4 v[20:23], v[58:59], off offset:80
	global_load_dwordx4 v[28:31], v[58:59], off offset:64
	v_add_co_u32_e32 v62, vcc, s18, v58
	v_add_co_u32_e64 v72, s[6:7], s24, v58
	v_addc_co_u32_e32 v63, vcc, 0, v59, vcc
	v_addc_co_u32_e64 v73, vcc, 0, v59, s[6:7]
	v_add_co_u32_e64 v68, s[2:3], s17, v58
	v_addc_co_u32_e64 v69, s[2:3], 0, v59, s[2:3]
	global_load_dwordx2 v[112:113], v[60:61], off offset:-512
	global_load_dwordx2 v[66:67], v[60:61], off
	global_load_dwordx2 v[70:71], v[60:61], off offset:512
	global_load_dwordx4 v[76:79], v[68:69], off offset:48
	global_load_dwordx4 v[80:83], v[68:69], off offset:32
	global_load_dwordx4 v[84:87], v[68:69], off
	global_load_dwordx4 v[88:91], v[68:69], off offset:16
	global_load_dwordx4 v[96:99], v[68:69], off offset:112
	;; [unrolled: 1-line block ×3, first 2 shown]
	s_waitcnt vmcnt(17)
	v_subrev_co_u32_e32 v64, vcc, s16, v64
	v_subb_co_u32_e32 v65, vcc, v65, v39, vcc
	v_lshlrev_b64 v[64:65], 5, v[64:65]
	v_add_co_u32_e32 v64, vcc, s8, v64
	v_addc_co_u32_e32 v65, vcc, v74, v65, vcc
	global_load_dwordx4 v[92:95], v[64:65], off
	s_waitcnt vmcnt(0)
	v_fmac_f64_e32 v[52:53], v[12:13], v[92:93]
	v_fmac_f64_e32 v[50:51], v[8:9], v[92:93]
	;; [unrolled: 1-line block ×7, first 2 shown]
	global_load_dwordx4 v[28:31], v[68:69], off offset:80
	v_fmac_f64_e32 v[40:41], v[26:27], v[94:95]
	global_load_dwordx4 v[92:95], v[68:69], off offset:64
	global_load_dwordx4 v[8:11], v[62:63], off offset:48
	;; [unrolled: 1-line block ×4, first 2 shown]
	global_load_dwordx4 v[108:111], v[62:63], off
	global_load_dwordx4 v[24:27], v[62:63], off offset:96
	s_waitcnt vmcnt(3)
	v_fmac_f64_e32 v[52:53], v[4:5], v[12:13]
	v_fmac_f64_e32 v[50:51], v[0:1], v[12:13]
	;; [unrolled: 1-line block ×4, first 2 shown]
	v_subrev_co_u32_e32 v12, vcc, s16, v112
	v_subb_co_u32_e32 v13, vcc, v113, v39, vcc
	v_lshlrev_b64 v[12:13], 5, v[12:13]
	v_add_co_u32_e32 v68, vcc, s8, v12
	v_addc_co_u32_e32 v69, vcc, v74, v13, vcc
	v_fmac_f64_e32 v[40:41], v[18:19], v[14:15]
	global_load_dwordx4 v[16:19], v[68:69], off
	v_fmac_f64_e32 v[52:53], v[6:7], v[14:15]
	v_fmac_f64_e32 v[50:51], v[2:3], v[14:15]
	global_load_dwordx4 v[0:3], v[62:63], off offset:16
	v_fmac_f64_e32 v[48:49], v[22:23], v[14:15]
	global_load_dwordx4 v[4:7], v[62:63], off offset:112
	global_load_dwordx4 v[12:15], v[62:63], off offset:80
	v_subrev_co_u32_e32 v66, vcc, s16, v66
	global_load_dwordx4 v[62:65], v[62:63], off offset:64
	v_subb_co_u32_e32 v67, vcc, v67, v39, vcc
	v_lshlrev_b64 v[66:67], 5, v[66:67]
	s_waitcnt vmcnt(4)
	v_fmac_f64_e32 v[52:53], v[84:85], v[16:17]
	v_fmac_f64_e32 v[50:51], v[80:81], v[16:17]
	;; [unrolled: 1-line block ×8, first 2 shown]
	global_load_dwordx4 v[20:23], v[72:73], off
	global_load_dwordx4 v[16:19], v[72:73], off offset:48
	global_load_dwordx4 v[80:83], v[68:69], off offset:16
	;; [unrolled: 1-line block ×4, first 2 shown]
	s_waitcnt vmcnt(2)
	v_fmac_f64_e32 v[40:41], v[96:97], v[80:81]
	v_add_co_u32_e32 v96, vcc, s8, v66
	v_addc_co_u32_e32 v97, vcc, v74, v67, vcc
	global_load_dwordx4 v[66:69], v[96:97], off
	v_subrev_co_u32_e32 v70, vcc, s16, v70
	v_subb_co_u32_e32 v71, vcc, v71, v39, vcc
	v_lshlrev_b64 v[70:71], 5, v[70:71]
	v_fmac_f64_e32 v[52:53], v[88:89], v[80:81]
	v_fmac_f64_e32 v[50:51], v[76:77], v[80:81]
	;; [unrolled: 1-line block ×4, first 2 shown]
	v_add_co_u32_e32 v98, vcc, s8, v70
	v_fmac_f64_e32 v[52:53], v[90:91], v[82:83]
	v_fmac_f64_e32 v[50:51], v[78:79], v[82:83]
	global_load_dwordx4 v[76:79], v[72:73], off offset:112
	v_fmac_f64_e32 v[48:49], v[30:31], v[82:83]
	global_load_dwordx4 v[28:31], v[72:73], off offset:96
	global_load_dwordx4 v[80:83], v[72:73], off offset:80
	;; [unrolled: 1-line block ×3, first 2 shown]
	v_addc_co_u32_e32 v99, vcc, v74, v71, vcc
	global_load_dwordx4 v[70:73], v[96:97], off offset:16
	v_add_co_u32_e32 v56, vcc, 0x100, v56
	s_mov_b64 s[2:3], vcc
	v_add_co_u32_e32 v60, vcc, 0x800, v60
	s_mov_b64 s[6:7], vcc
	v_addc_co_u32_e64 v57, vcc, 0, v57, s[2:3]
	v_addc_co_u32_e64 v61, s[2:3], 0, v61, s[6:7]
	v_add_co_u32_e32 v58, vcc, 0x8000, v58
	v_cmp_ge_i64_e64 s[2:3], v[56:57], v[44:45]
	v_addc_co_u32_e32 v59, vcc, 0, v59, vcc
	s_or_b64 s[22:23], s[2:3], s[22:23]
	s_waitcnt vmcnt(5)
	v_fmac_f64_e32 v[48:49], v[62:63], v[66:67]
	v_fmac_f64_e32 v[48:49], v[64:65], v[68:69]
	global_load_dwordx4 v[62:65], v[98:99], off
	v_fmac_f64_e32 v[40:41], v[24:25], v[66:67]
	v_fmac_f64_e32 v[40:41], v[26:27], v[68:69]
	global_load_dwordx4 v[24:27], v[98:99], off offset:16
	v_fmac_f64_e32 v[52:53], v[108:109], v[66:67]
	v_fmac_f64_e32 v[50:51], v[104:105], v[66:67]
	v_fmac_f64_e32 v[52:53], v[110:111], v[68:69]
	v_fmac_f64_e32 v[50:51], v[106:107], v[68:69]
	s_waitcnt vmcnt(2)
	v_fmac_f64_e32 v[52:53], v[0:1], v[70:71]
	v_fmac_f64_e32 v[50:51], v[8:9], v[70:71]
	v_fmac_f64_e32 v[48:49], v[12:13], v[70:71]
	v_fmac_f64_e32 v[40:41], v[4:5], v[70:71]
	v_fmac_f64_e32 v[52:53], v[2:3], v[72:73]
	v_fmac_f64_e32 v[50:51], v[10:11], v[72:73]
	v_fmac_f64_e32 v[48:49], v[14:15], v[72:73]
	v_fmac_f64_e32 v[40:41], v[6:7], v[72:73]
	s_waitcnt vmcnt(1)
	v_fmac_f64_e32 v[52:53], v[20:21], v[62:63]
	v_fmac_f64_e32 v[50:51], v[84:85], v[62:63]
	v_fmac_f64_e32 v[48:49], v[88:89], v[62:63]
	v_fmac_f64_e32 v[40:41], v[28:29], v[62:63]
	v_fmac_f64_e32 v[52:53], v[22:23], v[64:65]
	v_fmac_f64_e32 v[50:51], v[86:87], v[64:65]
	v_fmac_f64_e32 v[48:49], v[90:91], v[64:65]
	v_fmac_f64_e32 v[40:41], v[30:31], v[64:65]
	s_waitcnt vmcnt(0)
	v_fmac_f64_e32 v[52:53], v[92:93], v[24:25]
	v_fmac_f64_e32 v[50:51], v[16:17], v[24:25]
	v_fmac_f64_e32 v[48:49], v[80:81], v[24:25]
	v_fmac_f64_e32 v[40:41], v[76:77], v[24:25]
	v_fmac_f64_e32 v[52:53], v[94:95], v[26:27]
	v_fmac_f64_e32 v[50:51], v[18:19], v[26:27]
	;; [unrolled: 1-line block ×4, first 2 shown]
	s_andn2_b64 exec, exec, s[22:23]
	s_cbranch_execnz .LBB49_23
; %bb.24:
	s_or_b64 exec, exec, s[22:23]
.LBB49_25:
	s_or_b64 exec, exec, s[20:21]
.LBB49_26:
	s_or_b64 exec, exec, s[14:15]
	s_andn2_b64 vcc, exec, s[10:11]
	s_cbranch_vccz .LBB49_28
	s_branch .LBB49_39
.LBB49_27:
                                        ; implicit-def: $vgpr40_vgpr41
                                        ; implicit-def: $vgpr48_vgpr49
                                        ; implicit-def: $vgpr50_vgpr51
                                        ; implicit-def: $vgpr52_vgpr53
.LBB49_28:
	v_pk_mov_b32 v[40:41], 0, 0
	v_pk_mov_b32 v[48:49], v[40:41], v[40:41] op_sel:[0,1]
	v_pk_mov_b32 v[50:51], v[40:41], v[40:41] op_sel:[0,1]
	;; [unrolled: 1-line block ×3, first 2 shown]
	s_and_saveexec_b64 s[2:3], s[0:1]
	s_cbranch_execz .LBB49_38
; %bb.29:
	v_or_b32_e32 v0, 64, v38
	v_mov_b32_e32 v1, s19
	v_subrev_co_u32_e32 v0, vcc, s16, v0
	v_subb_co_u32_e32 v1, vcc, 0, v1, vcc
	v_add_co_u32_e32 v0, vcc, v0, v54
	v_addc_co_u32_e32 v1, vcc, v1, v55, vcc
	v_cmp_gt_i64_e32 vcc, v[0:1], v[44:45]
	v_cndmask_b32_e32 v1, v45, v1, vcc
	v_cndmask_b32_e32 v0, v44, v0, vcc
	v_mov_b32_e32 v4, s19
	v_sub_co_u32_e32 v5, vcc, s16, v38
	v_not_b32_e32 v3, v54
	v_subbrev_co_u32_e32 v4, vcc, 0, v4, vcc
	v_not_b32_e32 v2, v55
	v_add_co_u32_e32 v3, vcc, v5, v3
	v_addc_co_u32_e32 v2, vcc, v4, v2, vcc
	v_add_co_u32_e32 v0, vcc, v3, v0
	v_addc_co_u32_e32 v1, vcc, v2, v1, vcc
	v_lshrrev_b32_e32 v2, 6, v0
	v_add_u32_e32 v2, 1, v2
	v_and_b32_e32 v2, 3, v2
	v_pk_mov_b32 v[52:53], 0, 0
	v_cmp_ne_u32_e32 vcc, 0, v2
	s_mov_b64 s[10:11], 0
	v_pk_mov_b32 v[50:51], v[52:53], v[52:53] op_sel:[0,1]
	v_pk_mov_b32 v[48:49], v[52:53], v[52:53] op_sel:[0,1]
	;; [unrolled: 1-line block ×3, first 2 shown]
	s_and_saveexec_b64 s[6:7], vcc
	s_cbranch_execz .LBB49_33
; %bb.30:
	v_lshlrev_b64 v[4:5], 3, v[42:43]
	v_mov_b32_e32 v6, s13
	v_add_co_u32_e32 v4, vcc, s12, v4
	v_pk_mov_b32 v[40:41], 0, 0
	v_mov_b32_e32 v3, 0
	v_addc_co_u32_e32 v5, vcc, v6, v5, vcc
	v_lshlrev_b32_e32 v2, 4, v2
	s_movk_i32 s14, 0x2000
	v_mov_b32_e32 v6, s19
	v_mov_b32_e32 v7, s9
	v_pk_mov_b32 v[48:49], v[40:41], v[40:41] op_sel:[0,1]
	v_pk_mov_b32 v[50:51], v[40:41], v[40:41] op_sel:[0,1]
	;; [unrolled: 1-line block ×3, first 2 shown]
.LBB49_31:                              ; =>This Inner Loop Header: Depth=1
	global_load_dwordx2 v[54:55], v[4:5], off
	global_load_dwordx4 v[8:11], v[46:47], off offset:48
	global_load_dwordx4 v[12:15], v[46:47], off offset:32
	;; [unrolled: 1-line block ×3, first 2 shown]
	global_load_dwordx4 v[20:23], v[46:47], off
	global_load_dwordx4 v[24:27], v[46:47], off offset:80
	global_load_dwordx4 v[28:31], v[46:47], off offset:64
	v_add_co_u32_e64 v42, s[0:1], 64, v42
	v_addc_co_u32_e64 v43, s[0:1], 0, v43, s[0:1]
	v_add_co_u32_e64 v2, s[0:1], -16, v2
	v_addc_co_u32_e64 v3, s[0:1], -1, v3, s[0:1]
	v_cmp_eq_u64_e64 s[0:1], 0, v[2:3]
	s_or_b64 s[10:11], s[0:1], s[10:11]
	s_waitcnt vmcnt(6)
	v_subrev_co_u32_e32 v54, vcc, s16, v54
	v_subb_co_u32_e32 v55, vcc, v55, v6, vcc
	v_lshlrev_b64 v[54:55], 5, v[54:55]
	v_add_co_u32_e32 v70, vcc, s8, v54
	v_addc_co_u32_e32 v71, vcc, v7, v55, vcc
	global_load_dwordx4 v[54:57], v[70:71], off
	global_load_dwordx4 v[58:61], v[70:71], off offset:16
	global_load_dwordx4 v[62:65], v[46:47], off offset:96
	;; [unrolled: 1-line block ×3, first 2 shown]
	v_add_co_u32_e32 v46, vcc, s14, v46
	v_addc_co_u32_e32 v47, vcc, 0, v47, vcc
	v_add_co_u32_e32 v4, vcc, 0x200, v4
	v_addc_co_u32_e32 v5, vcc, 0, v5, vcc
	s_waitcnt vmcnt(3)
	v_fmac_f64_e32 v[52:53], v[20:21], v[54:55]
	v_fmac_f64_e32 v[50:51], v[22:23], v[54:55]
	;; [unrolled: 1-line block ×8, first 2 shown]
	s_waitcnt vmcnt(2)
	v_fmac_f64_e32 v[52:53], v[28:29], v[58:59]
	v_fmac_f64_e32 v[50:51], v[30:31], v[58:59]
	v_fmac_f64_e32 v[48:49], v[24:25], v[58:59]
	v_fmac_f64_e32 v[40:41], v[26:27], v[58:59]
	s_waitcnt vmcnt(1)
	v_fmac_f64_e32 v[52:53], v[62:63], v[60:61]
	v_fmac_f64_e32 v[50:51], v[64:65], v[60:61]
	s_waitcnt vmcnt(0)
	v_fmac_f64_e32 v[48:49], v[66:67], v[60:61]
	v_fmac_f64_e32 v[40:41], v[68:69], v[60:61]
	s_andn2_b64 exec, exec, s[10:11]
	s_cbranch_execnz .LBB49_31
; %bb.32:
	s_or_b64 exec, exec, s[10:11]
.LBB49_33:
	s_or_b64 exec, exec, s[6:7]
	s_mov_b64 s[0:1], 0xbf
	v_cmp_lt_u64_e32 vcc, s[0:1], v[0:1]
	s_and_saveexec_b64 s[6:7], vcc
	s_cbranch_execz .LBB49_37
; %bb.34:
	v_lshlrev_b64 v[0:1], 3, v[42:43]
	v_mov_b32_e32 v2, s13
	v_add_co_u32_e32 v0, vcc, s12, v0
	v_addc_co_u32_e32 v1, vcc, v1, v2, vcc
	v_add_co_u32_e32 v54, vcc, 0x400, v0
	v_addc_co_u32_e32 v55, vcc, 0, v1, vcc
	s_mov_b64 s[10:11], 0
	v_mov_b32_e32 v39, s19
	v_mov_b32_e32 v64, s9
	s_movk_i32 s9, 0x2000
	s_movk_i32 s12, 0x4000
	;; [unrolled: 1-line block ×3, first 2 shown]
.LBB49_35:                              ; =>This Inner Loop Header: Depth=1
	global_load_dwordx2 v[56:57], v[54:55], off offset:-1024
	global_load_dwordx4 v[0:3], v[46:47], off offset:48
	global_load_dwordx4 v[4:7], v[46:47], off offset:32
	;; [unrolled: 1-line block ×3, first 2 shown]
	global_load_dwordx4 v[12:15], v[46:47], off
	global_load_dwordx4 v[16:19], v[46:47], off offset:112
	global_load_dwordx4 v[20:23], v[46:47], off offset:96
	;; [unrolled: 1-line block ×4, first 2 shown]
	v_add_co_u32_e32 v58, vcc, s9, v46
	v_addc_co_u32_e32 v59, vcc, 0, v47, vcc
	v_add_co_u32_e32 v90, vcc, s12, v46
	v_addc_co_u32_e32 v91, vcc, 0, v47, vcc
	;; [unrolled: 2-line block ×3, first 2 shown]
	global_load_dwordx2 v[86:87], v[54:55], off offset:-512
	global_load_dwordx2 v[62:63], v[54:55], off
	global_load_dwordx2 v[92:93], v[54:55], off offset:512
	global_load_dwordx4 v[66:69], v[58:59], off offset:48
	global_load_dwordx4 v[70:73], v[58:59], off offset:32
	global_load_dwordx4 v[78:81], v[58:59], off offset:112
	s_waitcnt vmcnt(14)
	v_subrev_co_u32_e32 v56, vcc, s16, v56
	v_subb_co_u32_e32 v57, vcc, v57, v39, vcc
	v_lshlrev_b64 v[56:57], 5, v[56:57]
	v_add_co_u32_e32 v56, vcc, s8, v56
	v_addc_co_u32_e32 v57, vcc, v64, v57, vcc
	global_load_dwordx4 v[74:77], v[56:57], off
	s_waitcnt vmcnt(0)
	v_fmac_f64_e32 v[52:53], v[12:13], v[74:75]
	v_fmac_f64_e32 v[50:51], v[14:15], v[74:75]
	;; [unrolled: 1-line block ×4, first 2 shown]
	global_load_dwordx4 v[12:15], v[58:59], off
	global_load_dwordx4 v[8:11], v[58:59], off offset:16
	v_fmac_f64_e32 v[52:53], v[4:5], v[76:77]
	v_fmac_f64_e32 v[50:51], v[6:7], v[76:77]
	;; [unrolled: 1-line block ×4, first 2 shown]
	global_load_dwordx4 v[74:77], v[58:59], off offset:96
	global_load_dwordx4 v[0:3], v[56:57], off offset:16
	s_waitcnt vmcnt(0)
	v_fmac_f64_e32 v[52:53], v[28:29], v[0:1]
	v_fmac_f64_e32 v[50:51], v[30:31], v[0:1]
	;; [unrolled: 1-line block ×4, first 2 shown]
	v_subrev_co_u32_e32 v0, vcc, s16, v86
	v_subb_co_u32_e32 v1, vcc, v87, v39, vcc
	v_lshlrev_b64 v[0:1], 5, v[0:1]
	v_add_co_u32_e32 v94, vcc, s8, v0
	v_addc_co_u32_e32 v95, vcc, v64, v1, vcc
	global_load_dwordx4 v[28:31], v[58:59], off offset:80
	global_load_dwordx4 v[82:85], v[58:59], off offset:64
	v_fmac_f64_e32 v[48:49], v[16:17], v[2:3]
	v_fmac_f64_e32 v[40:41], v[18:19], v[2:3]
	global_load_dwordx4 v[16:19], v[94:95], off
	v_fmac_f64_e32 v[52:53], v[20:21], v[2:3]
	v_fmac_f64_e32 v[50:51], v[22:23], v[2:3]
	global_load_dwordx4 v[24:27], v[90:91], off
	global_load_dwordx4 v[86:89], v[90:91], off offset:16
	global_load_dwordx4 v[20:23], v[90:91], off offset:48
	;; [unrolled: 1-line block ×5, first 2 shown]
	v_subrev_co_u32_e32 v62, vcc, s16, v62
	v_subb_co_u32_e32 v63, vcc, v63, v39, vcc
	v_lshlrev_b64 v[62:63], 5, v[62:63]
	s_waitcnt vmcnt(6)
	v_fmac_f64_e32 v[52:53], v[12:13], v[16:17]
	v_fmac_f64_e32 v[50:51], v[14:15], v[16:17]
	;; [unrolled: 1-line block ×8, first 2 shown]
	global_load_dwordx4 v[8:11], v[90:91], off offset:80
	global_load_dwordx4 v[66:69], v[90:91], off offset:64
	;; [unrolled: 1-line block ×5, first 2 shown]
	s_waitcnt vmcnt(2)
	v_fmac_f64_e32 v[52:53], v[82:83], v[70:71]
	v_fmac_f64_e32 v[52:53], v[74:75], v[72:73]
	v_subrev_co_u32_e32 v74, vcc, s16, v92
	v_subb_co_u32_e32 v75, vcc, v93, v39, vcc
	v_add_co_u32_e32 v62, vcc, s8, v62
	v_lshlrev_b64 v[74:75], 5, v[74:75]
	v_addc_co_u32_e32 v63, vcc, v64, v63, vcc
	v_fmac_f64_e32 v[50:51], v[84:85], v[70:71]
	v_add_co_u32_e32 v90, vcc, s8, v74
	v_fmac_f64_e32 v[50:51], v[76:77], v[72:73]
	v_addc_co_u32_e32 v91, vcc, v64, v75, vcc
	global_load_dwordx4 v[74:77], v[62:63], off
	v_fmac_f64_e32 v[48:49], v[28:29], v[70:71]
	v_fmac_f64_e32 v[40:41], v[30:31], v[70:71]
	;; [unrolled: 1-line block ×4, first 2 shown]
	global_load_dwordx4 v[28:31], v[60:61], off
	global_load_dwordx4 v[70:73], v[60:61], off offset:16
	global_load_dwordx4 v[78:81], v[60:61], off offset:80
	v_add_co_u32_e32 v42, vcc, 0x100, v42
	v_addc_co_u32_e32 v43, vcc, 0, v43, vcc
	v_add_co_u32_e32 v54, vcc, 0x800, v54
	v_addc_co_u32_e32 v55, vcc, 0, v55, vcc
	v_cmp_ge_i64_e64 s[0:1], v[42:43], v[44:45]
	v_add_co_u32_e32 v46, vcc, 0x8000, v46
	v_addc_co_u32_e32 v47, vcc, 0, v47, vcc
	s_or_b64 s[10:11], s[0:1], s[10:11]
	s_waitcnt vmcnt(3)
	v_fmac_f64_e32 v[52:53], v[24:25], v[74:75]
	v_fmac_f64_e32 v[50:51], v[26:27], v[74:75]
	;; [unrolled: 1-line block ×4, first 2 shown]
	global_load_dwordx4 v[24:27], v[60:61], off offset:96
	v_fmac_f64_e32 v[52:53], v[56:57], v[76:77]
	v_fmac_f64_e32 v[50:51], v[58:59], v[76:77]
	global_load_dwordx4 v[56:59], v[60:61], off offset:64
	v_fmac_f64_e32 v[48:49], v[20:21], v[76:77]
	v_fmac_f64_e32 v[40:41], v[22:23], v[76:77]
	global_load_dwordx4 v[20:23], v[62:63], off offset:16
	global_load_dwordx4 v[74:77], v[90:91], off
	global_load_dwordx4 v[82:85], v[90:91], off offset:16
	s_waitcnt vmcnt(2)
	v_fmac_f64_e32 v[52:53], v[66:67], v[20:21]
	global_load_dwordx4 v[60:63], v[60:61], off offset:112
	v_fmac_f64_e32 v[50:51], v[68:69], v[20:21]
	v_fmac_f64_e32 v[48:49], v[8:9], v[20:21]
	;; [unrolled: 1-line block ×7, first 2 shown]
	s_waitcnt vmcnt(2)
	v_fmac_f64_e32 v[52:53], v[28:29], v[74:75]
	v_fmac_f64_e32 v[50:51], v[30:31], v[74:75]
	;; [unrolled: 1-line block ×8, first 2 shown]
	s_waitcnt vmcnt(1)
	v_fmac_f64_e32 v[52:53], v[56:57], v[82:83]
	v_fmac_f64_e32 v[50:51], v[58:59], v[82:83]
	;; [unrolled: 1-line block ×6, first 2 shown]
	s_waitcnt vmcnt(0)
	v_fmac_f64_e32 v[48:49], v[60:61], v[84:85]
	v_fmac_f64_e32 v[40:41], v[62:63], v[84:85]
	s_andn2_b64 exec, exec, s[10:11]
	s_cbranch_execnz .LBB49_35
; %bb.36:
	s_or_b64 exec, exec, s[10:11]
.LBB49_37:
	s_or_b64 exec, exec, s[6:7]
.LBB49_38:
	s_or_b64 exec, exec, s[2:3]
.LBB49_39:
	v_mov_b32_dpp v0, v52 row_shr:1 row_mask:0xf bank_mask:0xf
	v_mov_b32_dpp v1, v53 row_shr:1 row_mask:0xf bank_mask:0xf
	v_mov_b32_dpp v4, v50 row_shr:1 row_mask:0xf bank_mask:0xf
	v_mov_b32_dpp v5, v51 row_shr:1 row_mask:0xf bank_mask:0xf
	v_mov_b32_dpp v8, v48 row_shr:1 row_mask:0xf bank_mask:0xf
	v_mov_b32_dpp v9, v49 row_shr:1 row_mask:0xf bank_mask:0xf
	v_mov_b32_dpp v12, v40 row_shr:1 row_mask:0xf bank_mask:0xf
	v_mov_b32_dpp v13, v41 row_shr:1 row_mask:0xf bank_mask:0xf
	v_add_f64 v[0:1], v[52:53], v[0:1]
	v_add_f64 v[4:5], v[50:51], v[4:5]
	v_add_f64 v[8:9], v[48:49], v[8:9]
	v_add_f64 v[12:13], v[40:41], v[12:13]
	v_mov_b32_dpp v2, v0 row_shr:2 row_mask:0xf bank_mask:0xf
	v_mov_b32_dpp v3, v1 row_shr:2 row_mask:0xf bank_mask:0xf
	v_mov_b32_dpp v6, v4 row_shr:2 row_mask:0xf bank_mask:0xf
	v_mov_b32_dpp v7, v5 row_shr:2 row_mask:0xf bank_mask:0xf
	v_mov_b32_dpp v10, v8 row_shr:2 row_mask:0xf bank_mask:0xf
	v_mov_b32_dpp v11, v9 row_shr:2 row_mask:0xf bank_mask:0xf
	v_mov_b32_dpp v14, v12 row_shr:2 row_mask:0xf bank_mask:0xf
	v_mov_b32_dpp v15, v13 row_shr:2 row_mask:0xf bank_mask:0xf
	v_add_f64 v[0:1], v[0:1], v[2:3]
	v_add_f64 v[4:5], v[4:5], v[6:7]
	v_add_f64 v[8:9], v[8:9], v[10:11]
	v_add_f64 v[12:13], v[12:13], v[14:15]
	;; [unrolled: 12-line block ×4, first 2 shown]
	v_mov_b32_dpp v2, v0 row_bcast:15 row_mask:0xa bank_mask:0xf
	v_mov_b32_dpp v3, v1 row_bcast:15 row_mask:0xa bank_mask:0xf
	;; [unrolled: 1-line block ×8, first 2 shown]
	v_add_f64 v[0:1], v[0:1], v[2:3]
	v_add_f64 v[4:5], v[4:5], v[6:7]
	;; [unrolled: 1-line block ×4, first 2 shown]
	v_mov_b32_dpp v2, v0 row_bcast:31 row_mask:0xc bank_mask:0xf
	v_mov_b32_dpp v3, v1 row_bcast:31 row_mask:0xc bank_mask:0xf
	;; [unrolled: 1-line block ×8, first 2 shown]
	v_cmp_eq_u32_e32 vcc, 63, v38
	s_and_b64 exec, exec, vcc
	s_cbranch_execz .LBB49_10
; %bb.40:
	s_load_dwordx2 s[0:1], s[4:5], 0x58
	v_add_f64 v[0:1], v[0:1], v[2:3]
	v_add_f64 v[2:3], v[4:5], v[6:7]
	;; [unrolled: 1-line block ×4, first 2 shown]
	v_cmp_eq_f64_e32 vcc, 0, v[32:33]
	v_mul_f64 v[4:5], v[34:35], v[0:1]
	v_mul_f64 v[6:7], v[34:35], v[2:3]
	v_mul_f64 v[0:1], v[34:35], v[8:9]
	v_mul_f64 v[2:3], v[34:35], v[10:11]
	v_lshlrev_b64 v[8:9], 5, v[36:37]
	s_and_saveexec_b64 s[2:3], vcc
	s_xor_b64 s[2:3], exec, s[2:3]
	s_cbranch_execz .LBB49_42
; %bb.41:
	s_waitcnt lgkmcnt(0)
	v_mov_b32_e32 v10, s1
	v_add_co_u32_e32 v8, vcc, s0, v8
	v_addc_co_u32_e32 v9, vcc, v10, v9, vcc
	global_store_dwordx4 v[8:9], v[4:7], off
	global_store_dwordx4 v[8:9], v[0:3], off offset:16
                                        ; implicit-def: $vgpr8_vgpr9
                                        ; implicit-def: $vgpr32_vgpr33
                                        ; implicit-def: $vgpr4_vgpr5
                                        ; implicit-def: $vgpr0_vgpr1
.LBB49_42:
	s_andn2_saveexec_b64 s[2:3], s[2:3]
	s_cbranch_execz .LBB49_10
; %bb.43:
	s_waitcnt lgkmcnt(0)
	v_mov_b32_e32 v10, s1
	v_add_co_u32_e32 v16, vcc, s0, v8
	v_addc_co_u32_e32 v17, vcc, v10, v9, vcc
	global_load_dwordx4 v[8:11], v[16:17], off
	global_load_dwordx4 v[12:15], v[16:17], off offset:16
	s_waitcnt vmcnt(1)
	v_fmac_f64_e32 v[4:5], v[32:33], v[8:9]
	v_fmac_f64_e32 v[6:7], v[32:33], v[10:11]
	s_waitcnt vmcnt(0)
	v_fmac_f64_e32 v[0:1], v[32:33], v[12:13]
	v_fmac_f64_e32 v[2:3], v[32:33], v[14:15]
	global_store_dwordx4 v[16:17], v[4:7], off
	global_store_dwordx4 v[16:17], v[0:3], off offset:16
	s_endpgm
	.section	.rodata,"a",@progbits
	.p2align	6, 0x0
	.amdhsa_kernel _ZN9rocsparseL18bsrxmvn_4x4_kernelILj128ELj64EdlldddEEvT3_20rocsparse_direction_NS_24const_host_device_scalarIT1_EES1_PKS1_PKT2_SA_S7_PKT4_PKT5_S5_PT6_21rocsparse_index_base_b
		.amdhsa_group_segment_fixed_size 0
		.amdhsa_private_segment_fixed_size 0
		.amdhsa_kernarg_size 104
		.amdhsa_user_sgpr_count 6
		.amdhsa_user_sgpr_private_segment_buffer 1
		.amdhsa_user_sgpr_dispatch_ptr 0
		.amdhsa_user_sgpr_queue_ptr 0
		.amdhsa_user_sgpr_kernarg_segment_ptr 1
		.amdhsa_user_sgpr_dispatch_id 0
		.amdhsa_user_sgpr_flat_scratch_init 0
		.amdhsa_user_sgpr_kernarg_preload_length 0
		.amdhsa_user_sgpr_kernarg_preload_offset 0
		.amdhsa_user_sgpr_private_segment_size 0
		.amdhsa_uses_dynamic_stack 0
		.amdhsa_system_sgpr_private_segment_wavefront_offset 0
		.amdhsa_system_sgpr_workgroup_id_x 1
		.amdhsa_system_sgpr_workgroup_id_y 0
		.amdhsa_system_sgpr_workgroup_id_z 0
		.amdhsa_system_sgpr_workgroup_info 0
		.amdhsa_system_vgpr_workitem_id 0
		.amdhsa_next_free_vgpr 114
		.amdhsa_next_free_sgpr 25
		.amdhsa_accum_offset 116
		.amdhsa_reserve_vcc 1
		.amdhsa_reserve_flat_scratch 0
		.amdhsa_float_round_mode_32 0
		.amdhsa_float_round_mode_16_64 0
		.amdhsa_float_denorm_mode_32 3
		.amdhsa_float_denorm_mode_16_64 3
		.amdhsa_dx10_clamp 1
		.amdhsa_ieee_mode 1
		.amdhsa_fp16_overflow 0
		.amdhsa_tg_split 0
		.amdhsa_exception_fp_ieee_invalid_op 0
		.amdhsa_exception_fp_denorm_src 0
		.amdhsa_exception_fp_ieee_div_zero 0
		.amdhsa_exception_fp_ieee_overflow 0
		.amdhsa_exception_fp_ieee_underflow 0
		.amdhsa_exception_fp_ieee_inexact 0
		.amdhsa_exception_int_div_zero 0
	.end_amdhsa_kernel
	.section	.text._ZN9rocsparseL18bsrxmvn_4x4_kernelILj128ELj64EdlldddEEvT3_20rocsparse_direction_NS_24const_host_device_scalarIT1_EES1_PKS1_PKT2_SA_S7_PKT4_PKT5_S5_PT6_21rocsparse_index_base_b,"axG",@progbits,_ZN9rocsparseL18bsrxmvn_4x4_kernelILj128ELj64EdlldddEEvT3_20rocsparse_direction_NS_24const_host_device_scalarIT1_EES1_PKS1_PKT2_SA_S7_PKT4_PKT5_S5_PT6_21rocsparse_index_base_b,comdat
.Lfunc_end49:
	.size	_ZN9rocsparseL18bsrxmvn_4x4_kernelILj128ELj64EdlldddEEvT3_20rocsparse_direction_NS_24const_host_device_scalarIT1_EES1_PKS1_PKT2_SA_S7_PKT4_PKT5_S5_PT6_21rocsparse_index_base_b, .Lfunc_end49-_ZN9rocsparseL18bsrxmvn_4x4_kernelILj128ELj64EdlldddEEvT3_20rocsparse_direction_NS_24const_host_device_scalarIT1_EES1_PKS1_PKT2_SA_S7_PKT4_PKT5_S5_PT6_21rocsparse_index_base_b
                                        ; -- End function
	.section	.AMDGPU.csdata,"",@progbits
; Kernel info:
; codeLenInByte = 4192
; NumSgprs: 29
; NumVgprs: 114
; NumAgprs: 0
; TotalNumVgprs: 114
; ScratchSize: 0
; MemoryBound: 1
; FloatMode: 240
; IeeeMode: 1
; LDSByteSize: 0 bytes/workgroup (compile time only)
; SGPRBlocks: 3
; VGPRBlocks: 14
; NumSGPRsForWavesPerEU: 29
; NumVGPRsForWavesPerEU: 114
; AccumOffset: 116
; Occupancy: 4
; WaveLimiterHint : 1
; COMPUTE_PGM_RSRC2:SCRATCH_EN: 0
; COMPUTE_PGM_RSRC2:USER_SGPR: 6
; COMPUTE_PGM_RSRC2:TRAP_HANDLER: 0
; COMPUTE_PGM_RSRC2:TGID_X_EN: 1
; COMPUTE_PGM_RSRC2:TGID_Y_EN: 0
; COMPUTE_PGM_RSRC2:TGID_Z_EN: 0
; COMPUTE_PGM_RSRC2:TIDIG_COMP_CNT: 0
; COMPUTE_PGM_RSRC3_GFX90A:ACCUM_OFFSET: 28
; COMPUTE_PGM_RSRC3_GFX90A:TG_SPLIT: 0
	.section	.text._ZN9rocsparseL18bsrxmvn_4x4_kernelILj128ELj4E21rocsparse_complex_numIfEllS2_S2_S2_EEvT3_20rocsparse_direction_NS_24const_host_device_scalarIT1_EES3_PKS3_PKT2_SC_S9_PKT4_PKT5_S7_PT6_21rocsparse_index_base_b,"axG",@progbits,_ZN9rocsparseL18bsrxmvn_4x4_kernelILj128ELj4E21rocsparse_complex_numIfEllS2_S2_S2_EEvT3_20rocsparse_direction_NS_24const_host_device_scalarIT1_EES3_PKS3_PKT2_SC_S9_PKT4_PKT5_S7_PT6_21rocsparse_index_base_b,comdat
	.globl	_ZN9rocsparseL18bsrxmvn_4x4_kernelILj128ELj4E21rocsparse_complex_numIfEllS2_S2_S2_EEvT3_20rocsparse_direction_NS_24const_host_device_scalarIT1_EES3_PKS3_PKT2_SC_S9_PKT4_PKT5_S7_PT6_21rocsparse_index_base_b ; -- Begin function _ZN9rocsparseL18bsrxmvn_4x4_kernelILj128ELj4E21rocsparse_complex_numIfEllS2_S2_S2_EEvT3_20rocsparse_direction_NS_24const_host_device_scalarIT1_EES3_PKS3_PKT2_SC_S9_PKT4_PKT5_S7_PT6_21rocsparse_index_base_b
	.p2align	8
	.type	_ZN9rocsparseL18bsrxmvn_4x4_kernelILj128ELj4E21rocsparse_complex_numIfEllS2_S2_S2_EEvT3_20rocsparse_direction_NS_24const_host_device_scalarIT1_EES3_PKS3_PKT2_SC_S9_PKT4_PKT5_S7_PT6_21rocsparse_index_base_b,@function
_ZN9rocsparseL18bsrxmvn_4x4_kernelILj128ELj4E21rocsparse_complex_numIfEllS2_S2_S2_EEvT3_20rocsparse_direction_NS_24const_host_device_scalarIT1_EES3_PKS3_PKT2_SC_S9_PKT4_PKT5_S7_PT6_21rocsparse_index_base_b: ; @_ZN9rocsparseL18bsrxmvn_4x4_kernelILj128ELj4E21rocsparse_complex_numIfEllS2_S2_S2_EEvT3_20rocsparse_direction_NS_24const_host_device_scalarIT1_EES3_PKS3_PKT2_SC_S9_PKT4_PKT5_S7_PT6_21rocsparse_index_base_b
; %bb.0:
	s_load_dwordx2 s[16:17], s[4:5], 0x60
	s_load_dwordx4 s[8:11], s[4:5], 0x10
	s_load_dwordx2 s[2:3], s[4:5], 0x50
	s_waitcnt lgkmcnt(0)
	s_bitcmp1_b32 s17, 0
	s_cselect_b64 s[0:1], -1, 0
	s_xor_b64 s[12:13], s[0:1], -1
	s_and_b64 vcc, exec, s[0:1]
	v_mov_b32_e32 v60, s8
	s_cbranch_vccnz .LBB50_2
; %bb.1:
	v_pk_mov_b32 v[2:3], s[8:9], s[8:9] op_sel:[0,1]
	flat_load_dword v60, v[2:3]
.LBB50_2:
	v_cndmask_b32_e64 v1, 0, 1, s[12:13]
	v_cmp_ne_u32_e64 s[0:1], 1, v1
	s_andn2_b64 vcc, exec, s[12:13]
	v_mov_b32_e32 v61, s9
	s_cbranch_vccz .LBB50_15
; %bb.3:
	s_and_b64 vcc, exec, s[0:1]
	v_mov_b32_e32 v62, s2
	s_cbranch_vccz .LBB50_16
.LBB50_4:
	s_and_b64 vcc, exec, s[0:1]
	v_mov_b32_e32 v63, s3
	s_cbranch_vccnz .LBB50_6
.LBB50_5:
	v_pk_mov_b32 v[2:3], s[2:3], s[2:3] op_sel:[0,1]
	flat_load_dword v63, v[2:3] offset:4
.LBB50_6:
	s_waitcnt vmcnt(0) lgkmcnt(0)
	v_and_b32_e32 v1, 0x7fffffff, v60
	v_cmp_eq_u32_e32 vcc, 0, v1
	v_cmp_eq_f32_e64 s[0:1], 0, v61
	s_and_b64 s[8:9], vcc, s[0:1]
	s_mov_b64 s[0:1], -1
	s_and_saveexec_b64 s[2:3], s[8:9]
; %bb.7:
	v_and_b32_e32 v1, 0x7fffffff, v63
	v_cmp_neq_f32_e32 vcc, 1.0, v62
	v_cmp_ne_u32_e64 s[0:1], 0, v1
	s_or_b64 s[0:1], vcc, s[0:1]
	s_orn2_b64 s[0:1], s[0:1], exec
; %bb.8:
	s_or_b64 exec, exec, s[2:3]
	s_and_saveexec_b64 s[2:3], s[0:1]
	s_cbranch_execz .LBB50_14
; %bb.9:
	s_load_dwordx2 s[2:3], s[4:5], 0x20
	v_lshrrev_b32_e32 v1, 2, v0
	v_lshl_or_b32 v2, s6, 5, v1
	v_mov_b32_e32 v3, 0
	s_mov_b64 s[0:1], 0
	s_waitcnt lgkmcnt(0)
	s_cmp_lg_u64 s[2:3], 0
	s_cbranch_scc0 .LBB50_17
; %bb.10:
	v_cmp_gt_i64_e32 vcc, s[10:11], v[2:3]
                                        ; implicit-def: $vgpr64_vgpr65
	s_and_saveexec_b64 s[6:7], vcc
	s_xor_b64 s[6:7], exec, s[6:7]
                                        ; implicit-def: $sgpr18_sgpr19
	s_cbranch_execz .LBB50_12
; %bb.11:
	v_lshlrev_b64 v[4:5], 3, v[2:3]
	v_mov_b32_e32 v1, s3
	v_add_co_u32_e32 v4, vcc, s2, v4
	v_addc_co_u32_e32 v5, vcc, v1, v5, vcc
	global_load_dwordx2 v[4:5], v[4:5], off
	s_mov_b64 s[0:1], exec
	s_mov_b32 s19, 0
	s_waitcnt vmcnt(0)
	v_subrev_co_u32_e32 v64, vcc, s16, v4
	v_subbrev_co_u32_e32 v65, vcc, 0, v5, vcc
.LBB50_12:
	s_or_b64 exec, exec, s[6:7]
.LBB50_13:
	s_and_b64 exec, exec, s[0:1]
	s_cbranch_execnz .LBB50_21
.LBB50_14:
	s_endpgm
.LBB50_15:
	v_pk_mov_b32 v[2:3], s[8:9], s[8:9] op_sel:[0,1]
	flat_load_dword v61, v[2:3] offset:4
	s_and_b64 vcc, exec, s[0:1]
	v_mov_b32_e32 v62, s2
	s_cbranch_vccnz .LBB50_4
.LBB50_16:
	v_pk_mov_b32 v[2:3], s[2:3], s[2:3] op_sel:[0,1]
	flat_load_dword v62, v[2:3]
	s_and_b64 vcc, exec, s[0:1]
	v_mov_b32_e32 v63, s3
	s_cbranch_vccz .LBB50_5
	s_branch .LBB50_6
.LBB50_17:
                                        ; implicit-def: $vgpr64_vgpr65
                                        ; implicit-def: $sgpr18_sgpr19
	s_cbranch_execz .LBB50_13
; %bb.18:
	s_load_dwordx2 s[2:3], s[4:5], 0x0
                                        ; implicit-def: $vgpr64_vgpr65
	s_waitcnt lgkmcnt(0)
	v_cmp_gt_i64_e32 vcc, s[2:3], v[2:3]
	s_and_saveexec_b64 s[2:3], vcc
                                        ; implicit-def: $sgpr18_sgpr19
; %bb.19:
	s_mov_b32 s19, 0
	s_or_b64 s[0:1], s[0:1], exec
	v_pk_mov_b32 v[64:65], v[2:3], v[2:3] op_sel:[0,1]
; %bb.20:
	s_or_b64 exec, exec, s[2:3]
	s_and_b64 exec, exec, s[0:1]
	s_cbranch_execz .LBB50_14
.LBB50_21:
	s_load_dwordx8 s[8:15], s[4:5], 0x28
	v_lshlrev_b64 v[2:3], 3, v[64:65]
	v_and_b32_e32 v66, 3, v0
	v_mov_b32_e32 v0, s19
	v_mov_b32_e32 v59, 0
	s_waitcnt lgkmcnt(0)
	v_mov_b32_e32 v1, s9
	v_add_co_u32_e32 v4, vcc, s8, v2
	v_addc_co_u32_e32 v5, vcc, v1, v3, vcc
	v_add_co_u32_e32 v1, vcc, 8, v4
	global_load_dwordx2 v[38:39], v[4:5], off
	v_addc_co_u32_e32 v4, vcc, 0, v5, vcc
	v_mov_b32_e32 v5, s11
	v_add_co_u32_e32 v2, vcc, s10, v2
	s_cmp_eq_u64 s[10:11], 0
	v_addc_co_u32_e32 v3, vcc, v5, v3, vcc
	s_cselect_b64 vcc, -1, 0
	v_cndmask_b32_e32 v3, v3, v4, vcc
	v_cndmask_b32_e32 v2, v2, v1, vcc
	global_load_dwordx2 v[2:3], v[2:3], off
	s_load_dwordx2 s[6:7], s[4:5], 0x48
	s_load_dword s0, s[4:5], 0x8
	v_mov_b32_e32 v4, s15
	s_waitcnt lgkmcnt(0)
	s_cmp_eq_u32 s0, 1
	s_waitcnt vmcnt(1)
	v_subrev_co_u32_e32 v1, vcc, s16, v38
	v_subb_co_u32_e32 v5, vcc, v39, v0, vcc
	v_add_co_u32_e32 v68, vcc, v1, v66
	v_addc_co_u32_e32 v69, vcc, 0, v5, vcc
	s_waitcnt vmcnt(0)
	v_subrev_co_u32_e32 v70, vcc, s16, v2
	v_subb_co_u32_e32 v71, vcc, v3, v0, vcc
	v_lshlrev_b64 v[0:1], 7, v[68:69]
	v_add_co_u32_e32 v72, vcc, s14, v0
	v_addc_co_u32_e32 v73, vcc, v4, v1, vcc
	v_cmp_lt_i64_e64 s[0:1], v[68:69], v[70:71]
	s_cbranch_scc1 .LBB50_33
; %bb.22:
	v_mov_b32_e32 v58, 0
	v_mov_b32_e32 v75, 0
	v_mov_b32_e32 v74, 0
	v_mov_b32_e32 v77, 0
	v_mov_b32_e32 v76, 0
	v_mov_b32_e32 v57, 0
	v_mov_b32_e32 v56, 0
	s_and_saveexec_b64 s[8:9], s[0:1]
	s_cbranch_execz .LBB50_32
; %bb.23:
	v_or_b32_e32 v0, 4, v66
	v_mov_b32_e32 v1, s19
	v_subrev_co_u32_e32 v0, vcc, s16, v0
	v_subb_co_u32_e32 v1, vcc, 0, v1, vcc
	v_add_co_u32_e32 v0, vcc, v0, v38
	v_addc_co_u32_e32 v1, vcc, v1, v39, vcc
	v_cmp_gt_i64_e32 vcc, v[0:1], v[70:71]
	v_cndmask_b32_e32 v1, v71, v1, vcc
	v_cndmask_b32_e32 v0, v70, v0, vcc
	v_mov_b32_e32 v4, s19
	v_sub_co_u32_e32 v5, vcc, s16, v66
	v_not_b32_e32 v3, v38
	v_subbrev_co_u32_e32 v4, vcc, 0, v4, vcc
	v_not_b32_e32 v2, v39
	v_add_co_u32_e32 v3, vcc, v5, v3
	v_addc_co_u32_e32 v2, vcc, v4, v2, vcc
	v_add_co_u32_e32 v0, vcc, v3, v0
	v_addc_co_u32_e32 v1, vcc, v2, v1, vcc
	v_lshrrev_b32_e32 v2, 2, v0
	v_add_u32_e32 v2, 1, v2
	v_and_b32_e32 v2, 3, v2
	v_mov_b32_e32 v57, 0
	v_cmp_ne_u32_e32 vcc, 0, v2
	v_mov_b32_e32 v56, v57
	v_mov_b32_e32 v77, v57
	;; [unrolled: 1-line block ×7, first 2 shown]
	v_pk_mov_b32 v[40:41], v[72:73], v[72:73] op_sel:[0,1]
	v_pk_mov_b32 v[42:43], v[68:69], v[68:69] op_sel:[0,1]
	s_and_saveexec_b64 s[2:3], vcc
	s_cbranch_execz .LBB50_27
; %bb.24:
	v_lshlrev_b64 v[4:5], 3, v[68:69]
	v_mov_b32_e32 v3, 0
	v_mov_b32_e32 v6, s13
	v_add_co_u32_e32 v4, vcc, s12, v4
	v_addc_co_u32_e32 v5, vcc, v6, v5, vcc
	v_lshlrev_b32_e32 v2, 3, v2
	s_mov_b64 s[10:11], 0
	s_movk_i32 s14, 0x200
	v_mov_b32_e32 v6, s19
	v_mov_b32_e32 v7, s7
	v_pk_mov_b32 v[42:43], v[68:69], v[68:69] op_sel:[0,1]
	v_pk_mov_b32 v[40:41], v[72:73], v[72:73] op_sel:[0,1]
	v_mov_b32_e32 v56, v3
	v_mov_b32_e32 v57, v3
	;; [unrolled: 1-line block ×8, first 2 shown]
.LBB50_25:                              ; =>This Inner Loop Header: Depth=1
	global_load_dwordx2 v[36:37], v[4:5], off
	global_load_dwordx4 v[8:11], v[40:41], off offset:16
	global_load_dwordx4 v[12:15], v[40:41], off
	global_load_dwordx4 v[16:19], v[40:41], off offset:48
	global_load_dwordx4 v[20:23], v[40:41], off offset:32
	;; [unrolled: 1-line block ×6, first 2 shown]
	s_waitcnt vmcnt(8)
	v_subrev_co_u32_e32 v36, vcc, s16, v36
	v_subb_co_u32_e32 v37, vcc, v37, v6, vcc
	v_lshlrev_b64 v[36:37], 5, v[36:37]
	v_add_co_u32_e32 v36, vcc, s6, v36
	v_addc_co_u32_e32 v37, vcc, v7, v37, vcc
	global_load_dwordx4 v[48:51], v[36:37], off
	global_load_dwordx4 v[52:55], v[36:37], off offset:16
	v_add_co_u32_e32 v40, vcc, s14, v40
	v_addc_co_u32_e32 v41, vcc, 0, v41, vcc
	v_add_co_u32_e32 v42, vcc, 4, v42
	v_addc_co_u32_e32 v43, vcc, 0, v43, vcc
	v_add_co_u32_e32 v4, vcc, 32, v4
	s_waitcnt vmcnt(8)
	v_xor_b32_e32 v36, 0x80000000, v15
	v_mov_b32_e32 v37, v14
	s_waitcnt vmcnt(6)
	v_xor_b32_e32 v80, 0x80000000, v23
	v_mov_b32_e32 v81, v22
	;; [unrolled: 3-line block ×3, first 2 shown]
	v_xor_b32_e32 v88, 0x80000000, v31
	v_mov_b32_e32 v89, v30
	v_addc_co_u32_e32 v5, vcc, 0, v5, vcc
	v_add_co_u32_e32 v2, vcc, -8, v2
	v_addc_co_u32_e32 v3, vcc, -1, v3, vcc
	v_cmp_eq_u64_e32 vcc, 0, v[2:3]
	v_xor_b32_e32 v78, 0x80000000, v11
	v_mov_b32_e32 v79, v10
	v_xor_b32_e32 v82, 0x80000000, v19
	v_mov_b32_e32 v83, v18
	;; [unrolled: 2-line block ×4, first 2 shown]
	s_or_b64 s[10:11], vcc, s[10:11]
	s_waitcnt vmcnt(1)
	v_pk_fma_f32 v[58:59], v[12:13], v[48:49], v[58:59] op_sel_hi:[1,0,1]
	v_pk_fma_f32 v[56:57], v[20:21], v[48:49], v[56:57] op_sel_hi:[1,0,1]
	;; [unrolled: 1-line block ×4, first 2 shown]
	v_pk_fma_f32 v[12:13], v[12:13], v[48:49], v[58:59] op_sel:[1,1,0] op_sel_hi:[0,1,1] neg_lo:[1,0,0]
	v_pk_fma_f32 v[20:21], v[20:21], v[48:49], v[56:57] op_sel:[1,1,0] op_sel_hi:[0,1,1] neg_lo:[1,0,0]
	;; [unrolled: 1-line block ×4, first 2 shown]
	v_mov_b32_e32 v92, v51
	v_pk_fma_f32 v[12:13], v[14:15], v[50:51], v[12:13] op_sel_hi:[1,0,1]
	v_pk_fma_f32 v[14:15], v[22:23], v[50:51], v[20:21] op_sel_hi:[1,0,1]
	;; [unrolled: 1-line block ×8, first 2 shown]
	s_waitcnt vmcnt(0)
	v_pk_fma_f32 v[12:13], v[8:9], v[52:53], v[12:13] op_sel_hi:[1,0,1]
	v_pk_fma_f32 v[14:15], v[16:17], v[52:53], v[14:15] op_sel_hi:[1,0,1]
	;; [unrolled: 1-line block ×4, first 2 shown]
	v_pk_fma_f32 v[8:9], v[8:9], v[52:53], v[12:13] op_sel:[1,1,0] op_sel_hi:[0,1,1] neg_lo:[1,0,0]
	v_pk_fma_f32 v[12:13], v[16:17], v[52:53], v[14:15] op_sel:[1,1,0] op_sel_hi:[0,1,1] neg_lo:[1,0,0]
	;; [unrolled: 1-line block ×4, first 2 shown]
	v_mov_b32_e32 v94, v55
	v_pk_fma_f32 v[8:9], v[10:11], v[54:55], v[8:9] op_sel_hi:[1,0,1]
	v_pk_fma_f32 v[10:11], v[18:19], v[54:55], v[12:13] op_sel_hi:[1,0,1]
	;; [unrolled: 1-line block ×8, first 2 shown]
	s_andn2_b64 exec, exec, s[10:11]
	s_cbranch_execnz .LBB50_25
; %bb.26:
	s_or_b64 exec, exec, s[10:11]
.LBB50_27:
	s_or_b64 exec, exec, s[2:3]
	v_cmp_lt_u64_e32 vcc, 11, v[0:1]
	s_and_saveexec_b64 s[10:11], vcc
	s_cbranch_execz .LBB50_31
; %bb.28:
	v_lshlrev_b64 v[0:1], 3, v[42:43]
	v_mov_b32_e32 v2, s13
	v_add_co_u32_e32 v0, vcc, s12, v0
	v_addc_co_u32_e32 v1, vcc, v1, v2, vcc
	v_add_co_u32_e32 v44, vcc, 64, v0
	v_addc_co_u32_e32 v45, vcc, 0, v1, vcc
	s_mov_b64 s[14:15], 0
	v_mov_b32_e32 v48, s19
	v_mov_b32_e32 v49, s7
.LBB50_29:                              ; =>This Inner Loop Header: Depth=1
	global_load_dwordx2 v[0:1], v[44:45], off offset:-64
	s_waitcnt vmcnt(0)
	v_subrev_co_u32_e32 v0, vcc, s16, v0
	v_subb_co_u32_e32 v1, vcc, v1, v48, vcc
	v_lshlrev_b64 v[0:1], 5, v[0:1]
	v_add_co_u32_e32 v4, vcc, s6, v0
	v_addc_co_u32_e32 v5, vcc, v49, v1, vcc
	global_load_dwordx4 v[0:3], v[4:5], off offset:16
	global_load_dwordx4 v[26:29], v[4:5], off
	global_load_dwordx2 v[6:7], v[44:45], off offset:-32
	s_waitcnt vmcnt(1)
	v_mov_b32_e32 v46, v29
	s_waitcnt vmcnt(0)
	v_subrev_co_u32_e32 v4, vcc, s16, v6
	v_subb_co_u32_e32 v5, vcc, v7, v48, vcc
	v_lshlrev_b64 v[4:5], 5, v[4:5]
	v_add_co_u32_e32 v20, vcc, s6, v4
	v_addc_co_u32_e32 v21, vcc, v49, v5, vcc
	global_load_dwordx4 v[4:7], v[20:21], off offset:16
	global_load_dwordx4 v[8:11], v[20:21], off
	global_load_dwordx4 v[22:25], v[40:41], off offset:48
	global_load_dwordx4 v[30:33], v[40:41], off offset:32
	;; [unrolled: 1-line block ×3, first 2 shown]
	global_load_dwordx4 v[16:19], v[40:41], off
	s_waitcnt vmcnt(0)
	v_pk_fma_f32 v[20:21], v[16:17], v[26:27], v[58:59] op_sel_hi:[1,0,1]
	v_pk_fma_f32 v[16:17], v[16:17], v[26:27], v[20:21] op_sel:[1,1,0] op_sel_hi:[0,1,1] neg_lo:[1,0,0]
	v_xor_b32_e32 v20, 0x80000000, v19
	v_pk_fma_f32 v[16:17], v[18:19], v[28:29], v[16:17] op_sel_hi:[1,0,1]
	v_mov_b32_e32 v21, v18
	v_pk_fma_f32 v[16:17], v[20:21], v[46:47], v[16:17] op_sel_hi:[1,0,1]
	v_pk_fma_f32 v[16:17], v[12:13], v[0:1], v[16:17] op_sel_hi:[1,0,1]
	v_pk_fma_f32 v[12:13], v[12:13], v[0:1], v[16:17] op_sel:[1,1,0] op_sel_hi:[0,1,1] neg_lo:[1,0,0]
	v_xor_b32_e32 v16, 0x80000000, v15
	v_pk_fma_f32 v[12:13], v[14:15], v[2:3], v[12:13] op_sel_hi:[1,0,1]
	v_mov_b32_e32 v17, v14
	v_mov_b32_e32 v58, v3
	v_pk_fma_f32 v[16:17], v[16:17], v[58:59], v[12:13] op_sel_hi:[1,0,1]
	global_load_dwordx4 v[12:15], v[40:41], off offset:560
	global_load_dwordx4 v[18:21], v[40:41], off offset:544
	;; [unrolled: 1-line block ×4, first 2 shown]
	s_waitcnt vmcnt(2)
	v_xor_b32_e32 v34, 0x80000000, v21
	v_mov_b32_e32 v35, v20
	s_waitcnt vmcnt(0)
	v_pk_fma_f32 v[16:17], v[78:79], v[8:9], v[16:17] op_sel_hi:[1,0,1]
	v_pk_fma_f32 v[86:87], v[78:79], v[8:9], v[16:17] op_sel:[1,1,0] op_sel_hi:[0,1,1] neg_lo:[1,0,0]
	v_pk_fma_f32 v[16:17], v[30:31], v[26:27], v[56:57] op_sel_hi:[1,0,1]
	v_pk_fma_f32 v[16:17], v[30:31], v[26:27], v[16:17] op_sel:[1,1,0] op_sel_hi:[0,1,1] neg_lo:[1,0,0]
	v_xor_b32_e32 v30, 0x80000000, v33
	v_pk_fma_f32 v[16:17], v[32:33], v[28:29], v[16:17] op_sel_hi:[1,0,1]
	v_mov_b32_e32 v31, v32
	v_pk_fma_f32 v[16:17], v[30:31], v[46:47], v[16:17] op_sel_hi:[1,0,1]
	v_pk_fma_f32 v[16:17], v[22:23], v[0:1], v[16:17] op_sel_hi:[1,0,1]
	v_pk_fma_f32 v[16:17], v[22:23], v[0:1], v[16:17] op_sel:[1,1,0] op_sel_hi:[0,1,1] neg_lo:[1,0,0]
	v_xor_b32_e32 v22, 0x80000000, v25
	v_pk_fma_f32 v[16:17], v[24:25], v[2:3], v[16:17] op_sel_hi:[1,0,1]
	v_mov_b32_e32 v23, v24
	v_pk_fma_f32 v[16:17], v[22:23], v[58:59], v[16:17] op_sel_hi:[1,0,1]
	v_pk_fma_f32 v[16:17], v[18:19], v[8:9], v[16:17] op_sel_hi:[1,0,1]
	v_pk_fma_f32 v[36:37], v[18:19], v[8:9], v[16:17] op_sel:[1,1,0] op_sel_hi:[0,1,1] neg_lo:[1,0,0]
	global_load_dwordx4 v[16:19], v[40:41], off offset:112
	global_load_dwordx4 v[54:57], v[40:41], off offset:96
	;; [unrolled: 1-line block ×4, first 2 shown]
	v_xor_b32_e32 v88, 0x80000000, v81
	v_mov_b32_e32 v89, v80
	s_waitcnt vmcnt(2)
	v_pk_fma_f32 v[74:75], v[54:55], v[26:27], v[74:75] op_sel_hi:[1,0,1]
	s_waitcnt vmcnt(0)
	v_pk_fma_f32 v[76:77], v[30:31], v[26:27], v[76:77] op_sel_hi:[1,0,1]
	v_pk_fma_f32 v[30:31], v[30:31], v[26:27], v[76:77] op_sel:[1,1,0] op_sel_hi:[0,1,1] neg_lo:[1,0,0]
	v_xor_b32_e32 v76, 0x80000000, v33
	v_pk_fma_f32 v[30:31], v[32:33], v[28:29], v[30:31] op_sel_hi:[1,0,1]
	v_mov_b32_e32 v77, v32
	v_pk_fma_f32 v[30:31], v[76:77], v[46:47], v[30:31] op_sel_hi:[1,0,1]
	v_pk_fma_f32 v[30:31], v[22:23], v[0:1], v[30:31] op_sel_hi:[1,0,1]
	v_pk_fma_f32 v[22:23], v[22:23], v[0:1], v[30:31] op_sel:[1,1,0] op_sel_hi:[0,1,1] neg_lo:[1,0,0]
	v_xor_b32_e32 v30, 0x80000000, v25
	v_pk_fma_f32 v[22:23], v[24:25], v[2:3], v[22:23] op_sel_hi:[1,0,1]
	v_mov_b32_e32 v31, v24
	v_pk_fma_f32 v[90:91], v[30:31], v[58:59], v[22:23] op_sel_hi:[1,0,1]
	global_load_dwordx4 v[22:25], v[40:41], off offset:624
	global_load_dwordx4 v[30:33], v[40:41], off offset:608
	;; [unrolled: 1-line block ×4, first 2 shown]
	v_pk_fma_f32 v[26:27], v[54:55], v[26:27], v[74:75] op_sel:[1,1,0] op_sel_hi:[0,1,1] neg_lo:[1,0,0]
	v_xor_b32_e32 v54, 0x80000000, v57
	v_pk_fma_f32 v[26:27], v[56:57], v[28:29], v[26:27] op_sel_hi:[1,0,1]
	v_mov_b32_e32 v55, v56
	v_pk_fma_f32 v[26:27], v[54:55], v[46:47], v[26:27] op_sel_hi:[1,0,1]
	v_pk_fma_f32 v[26:27], v[16:17], v[0:1], v[26:27] op_sel_hi:[1,0,1]
	v_pk_fma_f32 v[0:1], v[16:17], v[0:1], v[26:27] op_sel:[1,1,0] op_sel_hi:[0,1,1] neg_lo:[1,0,0]
	v_xor_b32_e32 v16, 0x80000000, v19
	v_pk_fma_f32 v[0:1], v[18:19], v[2:3], v[0:1] op_sel_hi:[1,0,1]
	v_mov_b32_e32 v17, v18
	v_pk_fma_f32 v[0:1], v[16:17], v[58:59], v[0:1] op_sel_hi:[1,0,1]
	v_mov_b32_e32 v58, v11
	v_xor_b32_e32 v18, 0x80000000, v53
	v_mov_b32_e32 v19, v52
	s_waitcnt vmcnt(2)
	v_pk_fma_f32 v[0:1], v[30:31], v[8:9], v[0:1] op_sel_hi:[1,0,1]
	v_pk_fma_f32 v[46:47], v[30:31], v[8:9], v[0:1] op_sel:[1,1,0] op_sel_hi:[0,1,1] neg_lo:[1,0,0]
	global_load_dwordx2 v[0:1], v[44:45], off
	s_waitcnt vmcnt(1)
	v_pk_fma_f32 v[90:91], v[82:83], v[8:9], v[90:91] op_sel_hi:[1,0,1]
	v_pk_fma_f32 v[90:91], v[82:83], v[8:9], v[90:91] op_sel:[1,1,0] op_sel_hi:[0,1,1] neg_lo:[1,0,0]
	v_xor_b32_e32 v92, 0x80000000, v85
	v_mov_b32_e32 v93, v84
	v_xor_b32_e32 v8, 0x80000000, v33
	v_mov_b32_e32 v9, v32
	s_waitcnt vmcnt(0)
	v_subrev_co_u32_e32 v0, vcc, s16, v0
	v_subb_co_u32_e32 v1, vcc, v1, v48, vcc
	v_lshlrev_b64 v[0:1], 5, v[0:1]
	v_add_co_u32_e32 v16, vcc, s6, v0
	v_addc_co_u32_e32 v17, vcc, v49, v1, vcc
	global_load_dwordx4 v[0:3], v[16:17], off offset:16
	global_load_dwordx4 v[26:29], v[16:17], off
	v_pk_fma_f32 v[16:17], v[80:81], v[10:11], v[86:87] op_sel_hi:[1,0,1]
	v_pk_fma_f32 v[16:17], v[88:89], v[58:59], v[16:17] op_sel_hi:[1,0,1]
	;; [unrolled: 1-line block ×3, first 2 shown]
	v_pk_fma_f32 v[16:17], v[50:51], v[4:5], v[16:17] op_sel:[1,1,0] op_sel_hi:[0,1,1] neg_lo:[1,0,0]
	v_pk_fma_f32 v[16:17], v[52:53], v[6:7], v[16:17] op_sel_hi:[1,0,1]
	v_mov_b32_e32 v86, v7
	v_pk_fma_f32 v[30:31], v[18:19], v[86:87], v[16:17] op_sel_hi:[1,0,1]
	global_load_dwordx4 v[16:19], v[40:41], off offset:1072
	global_load_dwordx4 v[50:53], v[40:41], off offset:1056
	;; [unrolled: 1-line block ×4, first 2 shown]
	s_waitcnt vmcnt(0)
	v_pk_fma_f32 v[30:31], v[80:81], v[26:27], v[30:31] op_sel_hi:[1,0,1]
	v_pk_fma_f32 v[30:31], v[80:81], v[26:27], v[30:31] op_sel:[1,1,0] op_sel_hi:[0,1,1] neg_lo:[1,0,0]
	v_xor_b32_e32 v74, 0x80000000, v83
	v_pk_fma_f32 v[30:31], v[82:83], v[28:29], v[30:31] op_sel_hi:[1,0,1]
	v_mov_b32_e32 v75, v82
	v_mov_b32_e32 v80, v29
	v_pk_fma_f32 v[30:31], v[74:75], v[80:81], v[30:31] op_sel_hi:[1,0,1]
	v_pk_fma_f32 v[82:83], v[54:55], v[0:1], v[30:31] op_sel_hi:[1,0,1]
	;; [unrolled: 1-line block ×5, first 2 shown]
	v_pk_fma_f32 v[12:13], v[12:13], v[4:5], v[20:21] op_sel:[1,1,0] op_sel_hi:[0,1,1] neg_lo:[1,0,0]
	v_xor_b32_e32 v20, 0x80000000, v15
	v_pk_fma_f32 v[12:13], v[14:15], v[6:7], v[12:13] op_sel_hi:[1,0,1]
	v_mov_b32_e32 v21, v14
	v_pk_fma_f32 v[12:13], v[20:21], v[86:87], v[12:13] op_sel_hi:[1,0,1]
	v_pk_fma_f32 v[12:13], v[50:51], v[26:27], v[12:13] op_sel_hi:[1,0,1]
	v_pk_fma_f32 v[12:13], v[50:51], v[26:27], v[12:13] op_sel:[1,1,0] op_sel_hi:[0,1,1] neg_lo:[1,0,0]
	v_xor_b32_e32 v14, 0x80000000, v53
	v_pk_fma_f32 v[12:13], v[52:53], v[28:29], v[12:13] op_sel_hi:[1,0,1]
	v_mov_b32_e32 v15, v52
	v_pk_fma_f32 v[12:13], v[14:15], v[80:81], v[12:13] op_sel_hi:[1,0,1]
	v_pk_fma_f32 v[30:31], v[16:17], v[0:1], v[12:13] op_sel_hi:[1,0,1]
	;; [unrolled: 1-line block ×5, first 2 shown]
	v_pk_fma_f32 v[12:13], v[76:77], v[4:5], v[12:13] op_sel:[1,1,0] op_sel_hi:[0,1,1] neg_lo:[1,0,0]
	v_xor_b32_e32 v14, 0x80000000, v79
	v_pk_fma_f32 v[12:13], v[78:79], v[6:7], v[12:13] op_sel_hi:[1,0,1]
	v_mov_b32_e32 v15, v78
	v_pk_fma_f32 v[20:21], v[14:15], v[86:87], v[12:13] op_sel_hi:[1,0,1]
	global_load_dwordx4 v[12:15], v[40:41], off offset:1136
	global_load_dwordx4 v[50:53], v[40:41], off offset:1120
	global_load_dwordx4 v[34:37], v[40:41], off offset:1104
	global_load_dwordx4 v[74:77], v[40:41], off offset:1088
	v_pk_fma_f32 v[10:11], v[32:33], v[10:11], v[46:47] op_sel_hi:[1,0,1]
	v_pk_fma_f32 v[8:9], v[8:9], v[58:59], v[10:11] op_sel_hi:[1,0,1]
	;; [unrolled: 1-line block ×3, first 2 shown]
	v_pk_fma_f32 v[4:5], v[22:23], v[4:5], v[8:9] op_sel:[1,1,0] op_sel_hi:[0,1,1] neg_lo:[1,0,0]
	v_xor_b32_e32 v8, 0x80000000, v25
	v_pk_fma_f32 v[4:5], v[24:25], v[6:7], v[4:5] op_sel_hi:[1,0,1]
	v_mov_b32_e32 v9, v24
	v_pk_fma_f32 v[4:5], v[8:9], v[86:87], v[4:5] op_sel_hi:[1,0,1]
	v_xor_b32_e32 v24, 0x80000000, v57
	v_mov_b32_e32 v25, v56
	v_pk_fma_f32 v[16:17], v[16:17], v[0:1], v[30:31] op_sel:[1,1,0] op_sel_hi:[0,1,1] neg_lo:[1,0,0]
	v_pk_fma_f32 v[16:17], v[18:19], v[2:3], v[16:17] op_sel_hi:[1,0,1]
	s_waitcnt vmcnt(2)
	v_pk_fma_f32 v[4:5], v[50:51], v[26:27], v[4:5] op_sel_hi:[1,0,1]
	v_pk_fma_f32 v[4:5], v[50:51], v[26:27], v[4:5] op_sel:[1,1,0] op_sel_hi:[0,1,1] neg_lo:[1,0,0]
	s_waitcnt vmcnt(0)
	v_pk_fma_f32 v[20:21], v[74:75], v[26:27], v[20:21] op_sel_hi:[1,0,1]
	v_pk_fma_f32 v[20:21], v[74:75], v[26:27], v[20:21] op_sel:[1,1,0] op_sel_hi:[0,1,1] neg_lo:[1,0,0]
	v_xor_b32_e32 v74, 0x80000000, v77
	v_pk_fma_f32 v[20:21], v[76:77], v[28:29], v[20:21] op_sel_hi:[1,0,1]
	v_mov_b32_e32 v75, v76
	v_xor_b32_e32 v6, 0x80000000, v53
	v_pk_fma_f32 v[4:5], v[52:53], v[28:29], v[4:5] op_sel_hi:[1,0,1]
	v_mov_b32_e32 v7, v52
	v_pk_fma_f32 v[20:21], v[74:75], v[80:81], v[20:21] op_sel_hi:[1,0,1]
	v_pk_fma_f32 v[4:5], v[6:7], v[80:81], v[4:5] op_sel_hi:[1,0,1]
	;; [unrolled: 1-line block ×4, first 2 shown]
	global_load_dwordx2 v[4:5], v[44:45], off offset:32
	s_waitcnt vmcnt(0)
	v_subrev_co_u32_e32 v4, vcc, s16, v4
	v_subb_co_u32_e32 v5, vcc, v5, v48, vcc
	v_lshlrev_b64 v[4:5], 5, v[4:5]
	v_add_co_u32_e32 v22, vcc, s6, v4
	v_addc_co_u32_e32 v23, vcc, v49, v5, vcc
	global_load_dwordx4 v[4:7], v[22:23], off offset:16
	global_load_dwordx4 v[8:11], v[22:23], off
	v_pk_fma_f32 v[22:23], v[54:55], v[0:1], v[82:83] op_sel:[1,1,0] op_sel_hi:[0,1,1] neg_lo:[1,0,0]
	v_pk_fma_f32 v[26:27], v[56:57], v[2:3], v[22:23] op_sel_hi:[1,0,1]
	v_mov_b32_e32 v22, v3
	v_pk_fma_f32 v[28:29], v[24:25], v[22:23], v[26:27] op_sel_hi:[1,0,1]
	global_load_dwordx4 v[24:27], v[40:41], off offset:1584
	global_load_dwordx4 v[50:53], v[40:41], off offset:1568
	;; [unrolled: 1-line block ×4, first 2 shown]
	v_add_co_u32_e32 v42, vcc, 16, v42
	v_addc_co_u32_e32 v43, vcc, 0, v43, vcc
	v_add_co_u32_e32 v44, vcc, 0x80, v44
	v_addc_co_u32_e32 v45, vcc, 0, v45, vcc
	v_cmp_ge_i64_e64 s[2:3], v[42:43], v[70:71]
	s_or_b64 s[14:15], s[2:3], s[14:15]
	s_waitcnt vmcnt(4)
	v_mov_b32_e32 v46, v11
	s_waitcnt vmcnt(0)
	v_pk_fma_f32 v[28:29], v[74:75], v[8:9], v[28:29] op_sel_hi:[1,0,1]
	v_pk_fma_f32 v[28:29], v[74:75], v[8:9], v[28:29] op_sel:[1,1,0] op_sel_hi:[0,1,1] neg_lo:[1,0,0]
	v_xor_b32_e32 v32, 0x80000000, v77
	v_pk_fma_f32 v[28:29], v[76:77], v[10:11], v[28:29] op_sel_hi:[1,0,1]
	v_mov_b32_e32 v33, v76
	v_pk_fma_f32 v[28:29], v[32:33], v[46:47], v[28:29] op_sel_hi:[1,0,1]
	v_pk_fma_f32 v[28:29], v[54:55], v[4:5], v[28:29] op_sel_hi:[1,0,1]
	v_pk_fma_f32 v[28:29], v[54:55], v[4:5], v[28:29] op_sel:[1,1,0] op_sel_hi:[0,1,1] neg_lo:[1,0,0]
	v_xor_b32_e32 v32, 0x80000000, v57
	v_pk_fma_f32 v[28:29], v[56:57], v[6:7], v[28:29] op_sel_hi:[1,0,1]
	v_mov_b32_e32 v33, v56
	v_mov_b32_e32 v54, v7
	v_pk_fma_f32 v[58:59], v[32:33], v[54:55], v[28:29] op_sel_hi:[1,0,1]
	v_xor_b32_e32 v28, 0x80000000, v19
	v_mov_b32_e32 v29, v18
	v_pk_fma_f32 v[16:17], v[28:29], v[22:23], v[16:17] op_sel_hi:[1,0,1]
	v_pk_fma_f32 v[16:17], v[50:51], v[8:9], v[16:17] op_sel_hi:[1,0,1]
	v_pk_fma_f32 v[16:17], v[50:51], v[8:9], v[16:17] op_sel:[1,1,0] op_sel_hi:[0,1,1] neg_lo:[1,0,0]
	v_xor_b32_e32 v18, 0x80000000, v53
	v_pk_fma_f32 v[16:17], v[52:53], v[10:11], v[16:17] op_sel_hi:[1,0,1]
	v_mov_b32_e32 v19, v52
	v_pk_fma_f32 v[16:17], v[18:19], v[46:47], v[16:17] op_sel_hi:[1,0,1]
	v_pk_fma_f32 v[16:17], v[24:25], v[4:5], v[16:17] op_sel_hi:[1,0,1]
	v_pk_fma_f32 v[16:17], v[24:25], v[4:5], v[16:17] op_sel:[1,1,0] op_sel_hi:[0,1,1] neg_lo:[1,0,0]
	v_xor_b32_e32 v18, 0x80000000, v27
	v_pk_fma_f32 v[16:17], v[26:27], v[6:7], v[16:17] op_sel_hi:[1,0,1]
	v_mov_b32_e32 v19, v26
	v_pk_fma_f32 v[56:57], v[18:19], v[54:55], v[16:17] op_sel_hi:[1,0,1]
	v_pk_fma_f32 v[16:17], v[34:35], v[0:1], v[78:79] op_sel:[1,1,0] op_sel_hi:[0,1,1] neg_lo:[1,0,0]
	v_xor_b32_e32 v18, 0x80000000, v37
	v_pk_fma_f32 v[16:17], v[36:37], v[2:3], v[16:17] op_sel_hi:[1,0,1]
	v_mov_b32_e32 v19, v36
	v_pk_fma_f32 v[36:37], v[18:19], v[22:23], v[16:17] op_sel_hi:[1,0,1]
	global_load_dwordx4 v[16:19], v[40:41], off offset:1648
	global_load_dwordx4 v[24:27], v[40:41], off offset:1632
	;; [unrolled: 1-line block ×4, first 2 shown]
	v_pk_fma_f32 v[0:1], v[12:13], v[0:1], v[20:21] op_sel:[1,1,0] op_sel_hi:[0,1,1] neg_lo:[1,0,0]
	v_xor_b32_e32 v12, 0x80000000, v15
	v_pk_fma_f32 v[0:1], v[14:15], v[2:3], v[0:1] op_sel_hi:[1,0,1]
	v_mov_b32_e32 v13, v14
	v_pk_fma_f32 v[0:1], v[12:13], v[22:23], v[0:1] op_sel_hi:[1,0,1]
	v_add_co_u32_e32 v40, vcc, 0x800, v40
	v_addc_co_u32_e32 v41, vcc, 0, v41, vcc
	s_waitcnt vmcnt(2)
	v_pk_fma_f32 v[0:1], v[24:25], v[8:9], v[0:1] op_sel_hi:[1,0,1]
	v_pk_fma_f32 v[0:1], v[24:25], v[8:9], v[0:1] op_sel:[1,1,0] op_sel_hi:[0,1,1] neg_lo:[1,0,0]
	s_waitcnt vmcnt(0)
	v_pk_fma_f32 v[36:37], v[32:33], v[8:9], v[36:37] op_sel_hi:[1,0,1]
	v_pk_fma_f32 v[32:33], v[32:33], v[8:9], v[36:37] op_sel:[1,1,0] op_sel_hi:[0,1,1] neg_lo:[1,0,0]
	v_xor_b32_e32 v36, 0x80000000, v35
	v_pk_fma_f32 v[32:33], v[34:35], v[10:11], v[32:33] op_sel_hi:[1,0,1]
	v_mov_b32_e32 v37, v34
	v_xor_b32_e32 v2, 0x80000000, v27
	v_pk_fma_f32 v[0:1], v[26:27], v[10:11], v[0:1] op_sel_hi:[1,0,1]
	v_mov_b32_e32 v3, v26
	v_pk_fma_f32 v[32:33], v[36:37], v[46:47], v[32:33] op_sel_hi:[1,0,1]
	v_pk_fma_f32 v[0:1], v[2:3], v[46:47], v[0:1] op_sel_hi:[1,0,1]
	;; [unrolled: 1-line block ×4, first 2 shown]
	v_pk_fma_f32 v[28:29], v[28:29], v[4:5], v[32:33] op_sel:[1,1,0] op_sel_hi:[0,1,1] neg_lo:[1,0,0]
	v_pk_fma_f32 v[0:1], v[16:17], v[4:5], v[0:1] op_sel:[1,1,0] op_sel_hi:[0,1,1] neg_lo:[1,0,0]
	v_xor_b32_e32 v32, 0x80000000, v31
	v_pk_fma_f32 v[28:29], v[30:31], v[6:7], v[28:29] op_sel_hi:[1,0,1]
	v_mov_b32_e32 v33, v30
	v_xor_b32_e32 v2, 0x80000000, v19
	v_pk_fma_f32 v[0:1], v[18:19], v[6:7], v[0:1] op_sel_hi:[1,0,1]
	v_mov_b32_e32 v3, v18
	v_pk_fma_f32 v[76:77], v[32:33], v[54:55], v[28:29] op_sel_hi:[1,0,1]
	v_pk_fma_f32 v[74:75], v[2:3], v[54:55], v[0:1] op_sel_hi:[1,0,1]
	s_andn2_b64 exec, exec, s[14:15]
	s_cbranch_execnz .LBB50_29
; %bb.30:
	s_or_b64 exec, exec, s[14:15]
.LBB50_31:
	s_or_b64 exec, exec, s[10:11]
.LBB50_32:
	s_or_b64 exec, exec, s[8:9]
	s_cbranch_execz .LBB50_34
	s_branch .LBB50_45
.LBB50_33:
                                        ; implicit-def: $vgpr59
                                        ; implicit-def: $vgpr75
                                        ; implicit-def: $vgpr77
                                        ; implicit-def: $vgpr57
.LBB50_34:
	v_mov_b32_e32 v59, 0
	v_mov_b32_e32 v58, 0
	;; [unrolled: 1-line block ×8, first 2 shown]
	s_and_saveexec_b64 s[2:3], s[0:1]
	s_cbranch_execz .LBB50_44
; %bb.35:
	v_or_b32_e32 v0, 4, v66
	v_mov_b32_e32 v1, s19
	v_subrev_co_u32_e32 v0, vcc, s16, v0
	v_subb_co_u32_e32 v1, vcc, 0, v1, vcc
	v_add_co_u32_e32 v0, vcc, v0, v38
	v_addc_co_u32_e32 v1, vcc, v1, v39, vcc
	v_cmp_gt_i64_e32 vcc, v[0:1], v[70:71]
	v_cndmask_b32_e32 v1, v71, v1, vcc
	v_cndmask_b32_e32 v0, v70, v0, vcc
	v_mov_b32_e32 v4, s19
	v_sub_co_u32_e32 v5, vcc, s16, v66
	v_not_b32_e32 v3, v38
	v_subbrev_co_u32_e32 v4, vcc, 0, v4, vcc
	v_not_b32_e32 v2, v39
	v_add_co_u32_e32 v3, vcc, v5, v3
	v_addc_co_u32_e32 v2, vcc, v4, v2, vcc
	v_add_co_u32_e32 v0, vcc, v3, v0
	v_addc_co_u32_e32 v1, vcc, v2, v1, vcc
	v_lshrrev_b32_e32 v2, 2, v0
	v_add_u32_e32 v2, 1, v2
	v_and_b32_e32 v2, 3, v2
	v_mov_b32_e32 v57, 0
	v_cmp_ne_u32_e32 vcc, 0, v2
	v_mov_b32_e32 v56, v57
	v_mov_b32_e32 v77, v57
	;; [unrolled: 1-line block ×7, first 2 shown]
	s_and_saveexec_b64 s[0:1], vcc
	s_cbranch_execz .LBB50_39
; %bb.36:
	v_lshlrev_b64 v[4:5], 3, v[68:69]
	v_mov_b32_e32 v3, 0
	v_mov_b32_e32 v6, s13
	v_add_co_u32_e32 v4, vcc, s12, v4
	v_addc_co_u32_e32 v5, vcc, v6, v5, vcc
	v_lshlrev_b32_e32 v2, 3, v2
	s_mov_b64 s[8:9], 0
	s_movk_i32 s10, 0x200
	v_mov_b32_e32 v6, s19
	v_mov_b32_e32 v7, s7
	;; [unrolled: 1-line block ×10, first 2 shown]
.LBB50_37:                              ; =>This Inner Loop Header: Depth=1
	global_load_dwordx2 v[36:37], v[4:5], off
	global_load_dwordx4 v[8:11], v[72:73], off offset:48
	global_load_dwordx4 v[12:15], v[72:73], off offset:32
	;; [unrolled: 1-line block ×3, first 2 shown]
	global_load_dwordx4 v[20:23], v[72:73], off
	global_load_dwordx4 v[24:27], v[72:73], off offset:96
	global_load_dwordx4 v[28:31], v[72:73], off offset:80
	;; [unrolled: 1-line block ×3, first 2 shown]
	s_waitcnt vmcnt(7)
	v_subrev_co_u32_e32 v36, vcc, s16, v36
	v_subb_co_u32_e32 v37, vcc, v37, v6, vcc
	v_lshlrev_b64 v[36:37], 5, v[36:37]
	v_add_co_u32_e32 v48, vcc, s6, v36
	v_addc_co_u32_e32 v49, vcc, v7, v37, vcc
	global_load_dwordx4 v[36:39], v[48:49], off offset:16
	global_load_dwordx4 v[40:43], v[48:49], off
	global_load_dwordx4 v[44:47], v[72:73], off offset:112
	v_add_co_u32_e32 v72, vcc, s10, v72
	v_addc_co_u32_e32 v73, vcc, 0, v73, vcc
	v_add_co_u32_e32 v68, vcc, 4, v68
	s_waitcnt vmcnt(6)
	v_xor_b32_e32 v48, 0x80000000, v23
	v_mov_b32_e32 v49, v22
	v_xor_b32_e32 v78, 0x80000000, v19
	v_mov_b32_e32 v79, v18
	v_addc_co_u32_e32 v69, vcc, 0, v69, vcc
	v_add_co_u32_e32 v4, vcc, 32, v4
	v_xor_b32_e32 v50, 0x80000000, v15
	v_mov_b32_e32 v51, v14
	v_xor_b32_e32 v80, 0x80000000, v11
	v_mov_b32_e32 v81, v10
	v_addc_co_u32_e32 v5, vcc, 0, v5, vcc
	v_add_co_u32_e32 v2, vcc, -8, v2
	s_waitcnt vmcnt(3)
	v_xor_b32_e32 v52, 0x80000000, v35
	v_mov_b32_e32 v53, v34
	v_xor_b32_e32 v82, 0x80000000, v31
	v_mov_b32_e32 v83, v30
	v_addc_co_u32_e32 v3, vcc, -1, v3, vcc
	v_cmp_eq_u64_e32 vcc, 0, v[2:3]
	v_xor_b32_e32 v54, 0x80000000, v27
	v_mov_b32_e32 v55, v26
	s_or_b64 s[8:9], vcc, s[8:9]
	s_waitcnt vmcnt(2)
	v_mov_b32_e32 v88, v39
	s_waitcnt vmcnt(1)
	v_pk_fma_f32 v[58:59], v[20:21], v[40:41], v[58:59] op_sel_hi:[1,0,1]
	v_pk_fma_f32 v[22:23], v[22:23], v[40:41], v[56:57] op_sel_hi:[1,0,1]
	;; [unrolled: 1-line block ×4, first 2 shown]
	v_pk_fma_f32 v[20:21], v[20:21], v[40:41], v[58:59] op_sel:[1,1,0] op_sel_hi:[0,1,1] neg_lo:[1,0,0]
	v_pk_fma_f32 v[22:23], v[48:49], v[40:41], v[22:23] op_sel:[0,1,0]
	v_pk_fma_f32 v[16:17], v[16:17], v[40:41], v[56:57] op_sel:[1,1,0] op_sel_hi:[0,1,1] neg_lo:[1,0,0]
	v_pk_fma_f32 v[18:19], v[78:79], v[40:41], v[18:19] op_sel:[0,1,0]
	v_mov_b32_e32 v86, v43
	v_pk_fma_f32 v[20:21], v[12:13], v[42:43], v[20:21] op_sel_hi:[1,0,1]
	v_pk_fma_f32 v[14:15], v[14:15], v[42:43], v[22:23] op_sel_hi:[1,0,1]
	;; [unrolled: 1-line block ×4, first 2 shown]
	v_pk_fma_f32 v[12:13], v[12:13], v[86:87], v[20:21] op_sel:[1,0,0] op_sel_hi:[0,0,1] neg_lo:[1,0,0]
	v_pk_fma_f32 v[14:15], v[50:51], v[86:87], v[14:15] op_sel_hi:[1,0,1]
	v_pk_fma_f32 v[8:9], v[8:9], v[86:87], v[16:17] op_sel:[1,0,0] op_sel_hi:[0,0,1] neg_lo:[1,0,0]
	v_pk_fma_f32 v[10:11], v[80:81], v[86:87], v[10:11] op_sel_hi:[1,0,1]
	v_pk_fma_f32 v[12:13], v[32:33], v[36:37], v[12:13] op_sel_hi:[1,0,1]
	;; [unrolled: 1-line block ×5, first 2 shown]
	v_pk_fma_f32 v[12:13], v[32:33], v[36:37], v[12:13] op_sel:[1,1,0] op_sel_hi:[0,1,1] neg_lo:[1,0,0]
	v_pk_fma_f32 v[14:15], v[52:53], v[36:37], v[14:15] op_sel:[0,1,0]
	v_pk_fma_f32 v[8:9], v[28:29], v[36:37], v[8:9] op_sel:[1,1,0] op_sel_hi:[0,1,1] neg_lo:[1,0,0]
	v_pk_fma_f32 v[10:11], v[82:83], v[36:37], v[10:11] op_sel:[0,1,0]
	s_waitcnt vmcnt(0)
	v_xor_b32_e32 v84, 0x80000000, v47
	v_mov_b32_e32 v85, v46
	v_pk_fma_f32 v[12:13], v[24:25], v[38:39], v[12:13] op_sel_hi:[1,0,1]
	v_pk_fma_f32 v[14:15], v[26:27], v[38:39], v[14:15] op_sel_hi:[1,0,1]
	;; [unrolled: 1-line block ×4, first 2 shown]
	v_pk_fma_f32 v[58:59], v[24:25], v[88:89], v[12:13] op_sel:[1,0,0] op_sel_hi:[0,0,1] neg_lo:[1,0,0]
	v_pk_fma_f32 v[56:57], v[54:55], v[88:89], v[14:15] op_sel_hi:[1,0,1]
	v_pk_fma_f32 v[76:77], v[44:45], v[88:89], v[8:9] op_sel:[1,0,0] op_sel_hi:[0,0,1] neg_lo:[1,0,0]
	v_pk_fma_f32 v[74:75], v[84:85], v[88:89], v[10:11] op_sel_hi:[1,0,1]
	s_andn2_b64 exec, exec, s[8:9]
	s_cbranch_execnz .LBB50_37
; %bb.38:
	s_or_b64 exec, exec, s[8:9]
.LBB50_39:
	s_or_b64 exec, exec, s[0:1]
	v_cmp_lt_u64_e32 vcc, 11, v[0:1]
	s_and_saveexec_b64 s[8:9], vcc
	s_cbranch_execz .LBB50_43
; %bb.40:
	v_lshlrev_b64 v[0:1], 3, v[68:69]
	v_mov_b32_e32 v2, s13
	v_add_co_u32_e32 v0, vcc, s12, v0
	v_addc_co_u32_e32 v1, vcc, v1, v2, vcc
	v_add_co_u32_e32 v78, vcc, 64, v0
	v_addc_co_u32_e32 v79, vcc, 0, v1, vcc
	s_mov_b64 s[10:11], 0
	v_mov_b32_e32 v67, s19
	v_mov_b32_e32 v86, s7
.LBB50_41:                              ; =>This Inner Loop Header: Depth=1
	global_load_dwordx4 v[44:47], v[72:73], off
	global_load_dwordx2 v[84:85], v[78:79], off offset:-64
	global_load_dwordx4 v[16:19], v[72:73], off offset:16
	global_load_dwordx4 v[12:15], v[72:73], off offset:48
	;; [unrolled: 1-line block ×13, first 2 shown]
	global_load_dwordx2 v[100:101], v[78:79], off offset:-32
	global_load_dwordx2 v[82:83], v[78:79], off
	global_load_dwordx2 v[80:81], v[78:79], off offset:32
	s_waitcnt vmcnt(17)
	v_xor_b32_e32 v102, 0x80000000, v47
	s_waitcnt vmcnt(16)
	v_subrev_co_u32_e32 v84, vcc, s16, v84
	v_subb_co_u32_e32 v85, vcc, v85, v67, vcc
	v_lshlrev_b64 v[84:85], 5, v[84:85]
	v_add_co_u32_e32 v84, vcc, s6, v84
	v_addc_co_u32_e32 v85, vcc, v86, v85, vcc
	global_load_dwordx4 v[88:91], v[84:85], off
	global_load_dwordx4 v[92:95], v[84:85], off offset:16
	v_mov_b32_e32 v103, v46
	global_load_dwordx4 v[96:99], v[72:73], off offset:592
	s_waitcnt vmcnt(2)
	v_pk_fma_f32 v[58:59], v[44:45], v[88:89], v[58:59] op_sel_hi:[1,0,1]
	v_pk_fma_f32 v[46:47], v[46:47], v[88:89], v[56:57] op_sel_hi:[1,0,1]
	v_pk_fma_f32 v[44:45], v[44:45], v[88:89], v[58:59] op_sel:[1,1,0] op_sel_hi:[0,1,1] neg_lo:[1,0,0]
	v_xor_b32_e32 v56, 0x80000000, v19
	v_mov_b32_e32 v57, v18
	v_pk_fma_f32 v[58:59], v[16:17], v[88:89], v[76:77] op_sel_hi:[1,0,1]
	v_pk_fma_f32 v[18:19], v[18:19], v[88:89], v[74:75] op_sel_hi:[1,0,1]
	global_load_dwordx4 v[74:77], v[72:73], off offset:576
	v_pk_fma_f32 v[46:47], v[102:103], v[88:89], v[46:47] op_sel:[0,1,0]
	v_pk_fma_f32 v[58:59], v[16:17], v[88:89], v[58:59] op_sel:[1,1,0] op_sel_hi:[0,1,1] neg_lo:[1,0,0]
	v_pk_fma_f32 v[56:57], v[56:57], v[88:89], v[18:19] op_sel:[0,1,0]
	v_pk_fma_f32 v[46:47], v[30:31], v[90:91], v[46:47] op_sel_hi:[1,0,1]
	v_mov_b32_e32 v84, v91
	v_xor_b32_e32 v88, 0x80000000, v31
	v_mov_b32_e32 v89, v30
	v_pk_fma_f32 v[44:45], v[28:29], v[90:91], v[44:45] op_sel_hi:[1,0,1]
	v_pk_fma_f32 v[58:59], v[12:13], v[90:91], v[58:59] op_sel_hi:[1,0,1]
	v_pk_fma_f32 v[56:57], v[14:15], v[90:91], v[56:57] op_sel_hi:[1,0,1]
	v_xor_b32_e32 v102, 0x80000000, v15
	v_mov_b32_e32 v103, v14
	v_pk_fma_f32 v[14:15], v[88:89], v[84:85], v[46:47] op_sel_hi:[1,0,1]
	v_pk_fma_f32 v[90:91], v[28:29], v[84:85], v[44:45] op_sel:[1,0,0] op_sel_hi:[0,0,1] neg_lo:[1,0,0]
	v_pk_fma_f32 v[12:13], v[12:13], v[84:85], v[58:59] op_sel:[1,0,0] op_sel_hi:[0,0,1] neg_lo:[1,0,0]
	v_pk_fma_f32 v[56:57], v[102:103], v[84:85], v[56:57] op_sel_hi:[1,0,1]
	v_xor_b32_e32 v58, 0x80000000, v55
	v_mov_b32_e32 v59, v54
	s_waitcnt vmcnt(2)
	v_pk_fma_f32 v[14:15], v[54:55], v[92:93], v[14:15] op_sel_hi:[1,0,1]
	v_pk_fma_f32 v[84:85], v[52:53], v[92:93], v[90:91] op_sel_hi:[1,0,1]
	v_xor_b32_e32 v88, 0x80000000, v11
	v_mov_b32_e32 v89, v10
	v_pk_fma_f32 v[12:13], v[8:9], v[92:93], v[12:13] op_sel_hi:[1,0,1]
	v_pk_fma_f32 v[56:57], v[10:11], v[92:93], v[56:57] op_sel_hi:[1,0,1]
	v_pk_fma_f32 v[58:59], v[58:59], v[92:93], v[14:15] op_sel:[0,1,0]
	v_pk_fma_f32 v[84:85], v[52:53], v[92:93], v[84:85] op_sel:[1,1,0] op_sel_hi:[0,1,1] neg_lo:[1,0,0]
	v_pk_fma_f32 v[90:91], v[8:9], v[92:93], v[12:13] op_sel:[1,1,0] op_sel_hi:[0,1,1] neg_lo:[1,0,0]
	v_pk_fma_f32 v[56:57], v[88:89], v[92:93], v[56:57] op_sel:[0,1,0]
	v_pk_fma_f32 v[58:59], v[50:51], v[94:95], v[58:59] op_sel_hi:[1,0,1]
	v_mov_b32_e32 v93, v50
	v_subrev_co_u32_e32 v50, vcc, s16, v100
	v_xor_b32_e32 v92, 0x80000000, v51
	v_subb_co_u32_e32 v51, vcc, v101, v67, vcc
	v_lshlrev_b64 v[50:51], 5, v[50:51]
	v_pk_fma_f32 v[84:85], v[48:49], v[94:95], v[84:85] op_sel_hi:[1,0,1]
	v_pk_fma_f32 v[88:89], v[40:41], v[94:95], v[90:91] op_sel_hi:[1,0,1]
	v_mov_b32_e32 v90, v95
	v_add_co_u32_e32 v100, vcc, s6, v50
	v_pk_fma_f32 v[56:57], v[42:43], v[94:95], v[56:57] op_sel_hi:[1,0,1]
	v_pk_fma_f32 v[84:85], v[48:49], v[90:91], v[84:85] op_sel:[1,0,0] op_sel_hi:[0,0,1] neg_lo:[1,0,0]
	v_xor_b32_e32 v48, 0x80000000, v43
	v_mov_b32_e32 v49, v42
	v_addc_co_u32_e32 v101, vcc, v86, v51, vcc
	global_load_dwordx4 v[16:19], v[72:73], off offset:1072
	global_load_dwordx4 v[28:31], v[72:73], off offset:1056
	;; [unrolled: 1-line block ×6, first 2 shown]
	v_pk_fma_f32 v[94:95], v[40:41], v[90:91], v[88:89] op_sel:[1,0,0] op_sel_hi:[0,0,1] neg_lo:[1,0,0]
	global_load_dwordx4 v[40:43], v[72:73], off offset:1104
	v_pk_fma_f32 v[58:59], v[92:93], v[90:91], v[58:59] op_sel_hi:[1,0,1]
	v_pk_fma_f32 v[56:57], v[48:49], v[90:91], v[56:57] op_sel_hi:[1,0,1]
	global_load_dwordx4 v[48:51], v[100:101], off
	global_load_dwordx4 v[88:91], v[100:101], off offset:16
	v_xor_b32_e32 v102, 0x80000000, v39
	v_mov_b32_e32 v103, v38
	v_subrev_co_u32_e32 v82, vcc, s16, v82
	v_subb_co_u32_e32 v83, vcc, v83, v67, vcc
	s_waitcnt vmcnt(1)
	v_pk_fma_f32 v[84:85], v[36:37], v[48:49], v[84:85] op_sel_hi:[1,0,1]
	v_pk_fma_f32 v[38:39], v[38:39], v[48:49], v[58:59] op_sel_hi:[1,0,1]
	v_pk_fma_f32 v[36:37], v[36:37], v[48:49], v[84:85] op_sel:[1,1,0] op_sel_hi:[0,1,1] neg_lo:[1,0,0]
	v_xor_b32_e32 v84, 0x80000000, v35
	v_mov_b32_e32 v85, v34
	v_pk_fma_f32 v[58:59], v[32:33], v[48:49], v[94:95] op_sel_hi:[1,0,1]
	v_pk_fma_f32 v[92:93], v[34:35], v[48:49], v[56:57] op_sel_hi:[1,0,1]
	v_pk_fma_f32 v[94:95], v[32:33], v[48:49], v[58:59] op_sel:[1,1,0] op_sel_hi:[0,1,1] neg_lo:[1,0,0]
	v_pk_fma_f32 v[38:39], v[102:103], v[48:49], v[38:39] op_sel:[0,1,0]
	v_pk_fma_f32 v[48:49], v[84:85], v[48:49], v[92:93] op_sel:[0,1,0]
	v_pk_fma_f32 v[36:37], v[24:25], v[50:51], v[36:37] op_sel_hi:[1,0,1]
	v_pk_fma_f32 v[38:39], v[26:27], v[50:51], v[38:39] op_sel_hi:[1,0,1]
	;; [unrolled: 1-line block ×4, first 2 shown]
	v_mov_b32_e32 v50, v51
	v_xor_b32_e32 v84, 0x80000000, v27
	v_mov_b32_e32 v85, v26
	v_pk_fma_f32 v[36:37], v[24:25], v[50:51], v[36:37] op_sel:[1,0,0] op_sel_hi:[0,0,1] neg_lo:[1,0,0]
	v_xor_b32_e32 v94, 0x80000000, v23
	v_mov_b32_e32 v95, v22
	v_pk_fma_f32 v[92:93], v[20:21], v[50:51], v[92:93] op_sel:[1,0,0] op_sel_hi:[0,0,1] neg_lo:[1,0,0]
	v_pk_fma_f32 v[38:39], v[84:85], v[50:51], v[38:39] op_sel_hi:[1,0,1]
	v_pk_fma_f32 v[84:85], v[94:95], v[50:51], v[48:49] op_sel_hi:[1,0,1]
	s_waitcnt vmcnt(0)
	v_pk_fma_f32 v[36:37], v[74:75], v[88:89], v[36:37] op_sel_hi:[1,0,1]
	v_xor_b32_e32 v94, 0x80000000, v77
	v_mov_b32_e32 v95, v76
	v_pk_fma_f32 v[76:77], v[76:77], v[88:89], v[38:39] op_sel_hi:[1,0,1]
	v_pk_fma_f32 v[100:101], v[74:75], v[88:89], v[36:37] op_sel:[1,1,0] op_sel_hi:[0,1,1] neg_lo:[1,0,0]
	v_xor_b32_e32 v102, 0x80000000, v99
	v_mov_b32_e32 v103, v98
	v_pk_fma_f32 v[74:75], v[96:97], v[88:89], v[92:93] op_sel_hi:[1,0,1]
	v_pk_fma_f32 v[84:85], v[98:99], v[88:89], v[84:85] op_sel_hi:[1,0,1]
	v_pk_fma_f32 v[94:95], v[94:95], v[88:89], v[76:77] op_sel:[0,1,0]
	v_pk_fma_f32 v[92:93], v[96:97], v[88:89], v[74:75] op_sel:[1,1,0] op_sel_hi:[0,1,1] neg_lo:[1,0,0]
	v_pk_fma_f32 v[84:85], v[102:103], v[88:89], v[84:85] op_sel:[0,1,0]
	v_pk_fma_f32 v[96:97], v[4:5], v[90:91], v[100:101] op_sel_hi:[1,0,1]
	v_pk_fma_f32 v[94:95], v[6:7], v[90:91], v[94:95] op_sel_hi:[1,0,1]
	;; [unrolled: 1-line block ×4, first 2 shown]
	v_mov_b32_e32 v90, v91
	v_pk_fma_f32 v[92:93], v[0:1], v[90:91], v[92:93] op_sel:[1,0,0] op_sel_hi:[0,0,1] neg_lo:[1,0,0]
	v_lshlrev_b64 v[0:1], 5, v[82:83]
	v_add_co_u32_e32 v82, vcc, s6, v0
	v_addc_co_u32_e32 v83, vcc, v86, v1, vcc
	v_xor_b32_e32 v98, 0x80000000, v3
	v_mov_b32_e32 v99, v2
	global_load_dwordx4 v[0:3], v[82:83], off
	v_add_co_u32_e32 v78, vcc, 0x80, v78
	v_xor_b32_e32 v88, 0x80000000, v7
	v_mov_b32_e32 v89, v6
	v_pk_fma_f32 v[96:97], v[4:5], v[90:91], v[96:97] op_sel:[1,0,0] op_sel_hi:[0,0,1] neg_lo:[1,0,0]
	s_mov_b64 s[0:1], vcc
	v_add_co_u32_e32 v68, vcc, 16, v68
	v_pk_fma_f32 v[88:89], v[88:89], v[90:91], v[94:95] op_sel_hi:[1,0,1]
	v_addc_co_u32_e32 v69, vcc, 0, v69, vcc
	global_load_dwordx4 v[56:59], v[72:73], off offset:1088
	global_load_dwordx4 v[48:51], v[72:73], off offset:1536
	;; [unrolled: 1-line block ×8, first 2 shown]
	v_xor_b32_e32 v100, 0x80000000, v55
	v_mov_b32_e32 v101, v54
	v_pk_fma_f32 v[90:91], v[98:99], v[90:91], v[84:85] op_sel_hi:[1,0,1]
	global_load_dwordx4 v[82:85], v[82:83], off offset:16
	v_addc_co_u32_e64 v79, s[0:1], 0, v79, s[0:1]
	v_cmp_ge_i64_e64 s[0:1], v[68:69], v[70:71]
	s_or_b64 s[10:11], s[0:1], s[10:11]
	s_waitcnt vmcnt(9)
	v_pk_fma_f32 v[94:95], v[52:53], v[0:1], v[96:97] op_sel_hi:[1,0,1]
	v_pk_fma_f32 v[88:89], v[54:55], v[0:1], v[88:89] op_sel_hi:[1,0,1]
	v_pk_fma_f32 v[94:95], v[52:53], v[0:1], v[94:95] op_sel:[1,1,0] op_sel_hi:[0,1,1] neg_lo:[1,0,0]
	global_load_dwordx4 v[52:55], v[72:73], off offset:1600
	v_add_co_u32_e32 v72, vcc, 0x800, v72
	v_addc_co_u32_e32 v73, vcc, 0, v73, vcc
	v_subrev_co_u32_e32 v80, vcc, s16, v80
	v_subb_co_u32_e32 v81, vcc, v81, v67, vcc
	v_lshlrev_b64 v[80:81], 5, v[80:81]
	v_add_co_u32_e32 v80, vcc, s6, v80
	v_addc_co_u32_e32 v81, vcc, v86, v81, vcc
	v_pk_fma_f32 v[98:99], v[100:101], v[0:1], v[88:89] op_sel:[0,1,0]
	v_pk_fma_f32 v[88:89], v[44:45], v[0:1], v[92:93] op_sel_hi:[1,0,1]
	v_xor_b32_e32 v96, 0x80000000, v47
	v_mov_b32_e32 v97, v46
	v_pk_fma_f32 v[90:91], v[46:47], v[0:1], v[90:91] op_sel_hi:[1,0,1]
	v_pk_fma_f32 v[92:93], v[44:45], v[0:1], v[88:89] op_sel:[1,1,0] op_sel_hi:[0,1,1] neg_lo:[1,0,0]
	global_load_dwordx4 v[44:47], v[80:81], off
	v_pk_fma_f32 v[0:1], v[96:97], v[0:1], v[90:91] op_sel:[0,1,0]
	global_load_dwordx4 v[88:91], v[80:81], off offset:16
	v_xor_b32_e32 v100, 0x80000000, v31
	v_mov_b32_e32 v101, v30
	v_pk_fma_f32 v[80:81], v[28:29], v[2:3], v[94:95] op_sel_hi:[1,0,1]
	v_pk_fma_f32 v[30:31], v[30:31], v[2:3], v[98:99] op_sel_hi:[1,0,1]
	;; [unrolled: 1-line block ×4, first 2 shown]
	v_mov_b32_e32 v2, v3
	v_xor_b32_e32 v94, 0x80000000, v19
	v_mov_b32_e32 v95, v18
	v_pk_fma_f32 v[18:19], v[28:29], v[2:3], v[80:81] op_sel:[1,0,0] op_sel_hi:[0,0,1] neg_lo:[1,0,0]
	v_pk_fma_f32 v[16:17], v[16:17], v[2:3], v[92:93] op_sel:[1,0,0] op_sel_hi:[0,0,1] neg_lo:[1,0,0]
	v_pk_fma_f32 v[30:31], v[100:101], v[2:3], v[30:31] op_sel_hi:[1,0,1]
	v_pk_fma_f32 v[0:1], v[94:95], v[2:3], v[0:1] op_sel_hi:[1,0,1]
	s_waitcnt vmcnt(11)
	v_xor_b32_e32 v28, 0x80000000, v59
	v_xor_b32_e32 v80, 0x80000000, v43
	v_mov_b32_e32 v29, v58
	v_mov_b32_e32 v81, v42
	s_waitcnt vmcnt(3)
	v_pk_fma_f32 v[18:19], v[56:57], v[82:83], v[18:19] op_sel_hi:[1,0,1]
	v_pk_fma_f32 v[30:31], v[58:59], v[82:83], v[30:31] op_sel_hi:[1,0,1]
	;; [unrolled: 1-line block ×4, first 2 shown]
	v_pk_fma_f32 v[18:19], v[56:57], v[82:83], v[18:19] op_sel:[1,1,0] op_sel_hi:[0,1,1] neg_lo:[1,0,0]
	v_pk_fma_f32 v[16:17], v[40:41], v[82:83], v[16:17] op_sel:[1,1,0] op_sel_hi:[0,1,1] neg_lo:[1,0,0]
	v_pk_fma_f32 v[28:29], v[28:29], v[82:83], v[30:31] op_sel:[0,1,0]
	v_pk_fma_f32 v[0:1], v[80:81], v[82:83], v[0:1] op_sel:[0,1,0]
	v_xor_b32_e32 v92, 0x80000000, v15
	v_mov_b32_e32 v93, v14
	v_xor_b32_e32 v56, 0x80000000, v11
	v_mov_b32_e32 v57, v10
	v_mov_b32_e32 v80, v85
	v_pk_fma_f32 v[18:19], v[12:13], v[84:85], v[18:19] op_sel_hi:[1,0,1]
	v_pk_fma_f32 v[14:15], v[14:15], v[84:85], v[28:29] op_sel_hi:[1,0,1]
	;; [unrolled: 1-line block ×4, first 2 shown]
	v_pk_fma_f32 v[12:13], v[12:13], v[80:81], v[18:19] op_sel:[1,0,0] op_sel_hi:[0,0,1] neg_lo:[1,0,0]
	v_pk_fma_f32 v[8:9], v[8:9], v[80:81], v[16:17] op_sel:[1,0,0] op_sel_hi:[0,0,1] neg_lo:[1,0,0]
	v_pk_fma_f32 v[14:15], v[92:93], v[80:81], v[14:15] op_sel_hi:[1,0,1]
	v_pk_fma_f32 v[0:1], v[56:57], v[80:81], v[0:1] op_sel_hi:[1,0,1]
	v_xor_b32_e32 v96, 0x80000000, v51
	v_mov_b32_e32 v97, v50
	v_xor_b32_e32 v58, 0x80000000, v23
	v_mov_b32_e32 v59, v22
	;; [unrolled: 2-line block ×7, first 2 shown]
	s_waitcnt vmcnt(2)
	v_xor_b32_e32 v2, 0x80000000, v55
	v_mov_b32_e32 v3, v54
	s_waitcnt vmcnt(1)
	v_pk_fma_f32 v[12:13], v[48:49], v[44:45], v[12:13] op_sel_hi:[1,0,1]
	v_pk_fma_f32 v[14:15], v[50:51], v[44:45], v[14:15] op_sel_hi:[1,0,1]
	v_pk_fma_f32 v[8:9], v[20:21], v[44:45], v[8:9] op_sel_hi:[1,0,1]
	v_pk_fma_f32 v[0:1], v[22:23], v[44:45], v[0:1] op_sel_hi:[1,0,1]
	v_pk_fma_f32 v[12:13], v[48:49], v[44:45], v[12:13] op_sel:[1,1,0] op_sel_hi:[0,1,1] neg_lo:[1,0,0]
	v_pk_fma_f32 v[14:15], v[96:97], v[44:45], v[14:15] op_sel:[0,1,0]
	v_pk_fma_f32 v[8:9], v[20:21], v[44:45], v[8:9] op_sel:[1,1,0] op_sel_hi:[0,1,1] neg_lo:[1,0,0]
	v_pk_fma_f32 v[0:1], v[58:59], v[44:45], v[0:1] op_sel:[0,1,0]
	v_mov_b32_e32 v10, v47
	v_pk_fma_f32 v[12:13], v[24:25], v[46:47], v[12:13] op_sel_hi:[1,0,1]
	v_pk_fma_f32 v[14:15], v[26:27], v[46:47], v[14:15] op_sel_hi:[1,0,1]
	;; [unrolled: 1-line block ×4, first 2 shown]
	v_pk_fma_f32 v[12:13], v[24:25], v[10:11], v[12:13] op_sel:[1,0,0] op_sel_hi:[0,0,1] neg_lo:[1,0,0]
	v_pk_fma_f32 v[14:15], v[98:99], v[10:11], v[14:15] op_sel_hi:[1,0,1]
	v_pk_fma_f32 v[8:9], v[32:33], v[10:11], v[8:9] op_sel:[1,0,0] op_sel_hi:[0,0,1] neg_lo:[1,0,0]
	v_pk_fma_f32 v[0:1], v[40:41], v[10:11], v[0:1] op_sel_hi:[1,0,1]
	s_waitcnt vmcnt(0)
	v_pk_fma_f32 v[10:11], v[52:53], v[88:89], v[12:13] op_sel_hi:[1,0,1]
	v_pk_fma_f32 v[12:13], v[54:55], v[88:89], v[14:15] op_sel_hi:[1,0,1]
	;; [unrolled: 1-line block ×4, first 2 shown]
	v_pk_fma_f32 v[6:7], v[52:53], v[88:89], v[10:11] op_sel:[1,1,0] op_sel_hi:[0,1,1] neg_lo:[1,0,0]
	v_pk_fma_f32 v[2:3], v[2:3], v[88:89], v[12:13] op_sel:[0,1,0]
	v_pk_fma_f32 v[4:5], v[4:5], v[88:89], v[8:9] op_sel:[1,1,0] op_sel_hi:[0,1,1] neg_lo:[1,0,0]
	v_pk_fma_f32 v[0:1], v[42:43], v[88:89], v[0:1] op_sel:[0,1,0]
	v_mov_b32_e32 v28, v91
	v_pk_fma_f32 v[6:7], v[74:75], v[90:91], v[6:7] op_sel_hi:[1,0,1]
	v_pk_fma_f32 v[2:3], v[76:77], v[90:91], v[2:3] op_sel_hi:[1,0,1]
	;; [unrolled: 1-line block ×4, first 2 shown]
	v_pk_fma_f32 v[58:59], v[74:75], v[28:29], v[6:7] op_sel:[1,0,0] op_sel_hi:[0,0,1] neg_lo:[1,0,0]
	v_pk_fma_f32 v[56:57], v[94:95], v[28:29], v[2:3] op_sel_hi:[1,0,1]
	v_pk_fma_f32 v[76:77], v[36:37], v[28:29], v[4:5] op_sel:[1,0,0] op_sel_hi:[0,0,1] neg_lo:[1,0,0]
	v_pk_fma_f32 v[74:75], v[30:31], v[28:29], v[0:1] op_sel_hi:[1,0,1]
	s_andn2_b64 exec, exec, s[10:11]
	s_cbranch_execnz .LBB50_41
; %bb.42:
	s_or_b64 exec, exec, s[10:11]
.LBB50_43:
	s_or_b64 exec, exec, s[8:9]
.LBB50_44:
	s_or_b64 exec, exec, s[2:3]
.LBB50_45:
	v_mov_b32_dpp v6, v57 row_shr:1 row_mask:0xf bank_mask:0xf
	v_add_f32_e32 v7, v57, v6
	v_mov_b32_dpp v0, v58 row_shr:1 row_mask:0xf bank_mask:0xf
	v_mov_b32_dpp v6, v76 row_shr:1 row_mask:0xf bank_mask:0xf
	v_add_f32_e32 v10, v76, v6
	v_mov_b32_dpp v2, v59 row_shr:1 row_mask:0xf bank_mask:0xf
	;; [unrolled: 3-line block ×3, first 2 shown]
	v_mov_b32_dpp v6, v74 row_shr:1 row_mask:0xf bank_mask:0xf
	v_add_f32_e32 v16, v74, v6
	v_add_f32_e32 v0, v58, v0
	v_mov_b32_dpp v6, v75 row_shr:1 row_mask:0xf bank_mask:0xf
	v_add_f32_e32 v2, v59, v2
	v_add_f32_e32 v4, v56, v4
	v_add_f32_e32 v18, v75, v6
	v_mov_b32_dpp v1, v0 row_shr:2 row_mask:0xf bank_mask:0xf
	v_mov_b32_dpp v3, v2 row_shr:2 row_mask:0xf bank_mask:0xf
	;; [unrolled: 1-line block ×8, first 2 shown]
	v_cmp_eq_u32_e32 vcc, 3, v66
	s_and_b64 exec, exec, vcc
	s_cbranch_execz .LBB50_14
; %bb.46:
	s_load_dwordx2 s[2:3], s[4:5], 0x58
	v_add_f32_e32 v8, v0, v1
	v_and_b32_e32 v1, 0x7fffffff, v62
	v_cmp_eq_u32_e32 vcc, 0, v1
	v_cmp_eq_f32_e64 s[0:1], 0, v63
	v_add_f32_e32 v14, v2, v3
	v_add_f32_e32 v6, v4, v5
	;; [unrolled: 1-line block ×7, first 2 shown]
	s_and_b64 s[0:1], vcc, s[0:1]
	v_lshlrev_b64 v[16:17], 5, v[64:65]
	s_and_saveexec_b64 s[4:5], s[0:1]
	s_xor_b64 s[0:1], exec, s[4:5]
	s_cbranch_execz .LBB50_48
; %bb.47:
	v_xor_b32_e32 v18, 0x80000000, v61
	v_mov_b32_e32 v19, v60
	v_pk_mul_f32 v[14:15], v[14:15], v[18:19] op_sel_hi:[0,1]
	s_waitcnt lgkmcnt(0)
	v_mov_b32_e32 v1, s3
	v_add_co_u32_e32 v20, vcc, s2, v16
	v_pk_fma_f32 v[14:15], v[60:61], v[8:9], v[14:15] op_sel_hi:[1,0,1]
	v_pk_mul_f32 v[8:9], v[12:13], v[18:19] op_sel_hi:[0,1]
	v_addc_co_u32_e32 v21, vcc, v1, v17, vcc
	v_pk_fma_f32 v[16:17], v[60:61], v[6:7], v[8:9] op_sel_hi:[1,0,1]
	v_pk_mul_f32 v[6:7], v[10:11], v[18:19] op_sel_hi:[0,1]
	v_pk_mul_f32 v[4:5], v[4:5], v[18:19] op_sel_hi:[0,1]
	v_pk_fma_f32 v[2:3], v[60:61], v[2:3], v[6:7] op_sel_hi:[1,0,1]
	v_pk_fma_f32 v[4:5], v[60:61], v[0:1], v[4:5] op_sel_hi:[1,0,1]
	global_store_dwordx4 v[20:21], v[14:17], off
	global_store_dwordx4 v[20:21], v[2:5], off offset:16
                                        ; implicit-def: $vgpr61
                                        ; implicit-def: $vgpr62
                                        ; implicit-def: $vgpr8
                                        ; implicit-def: $vgpr14
                                        ; implicit-def: $vgpr6
                                        ; implicit-def: $vgpr12
                                        ; implicit-def: $vgpr2
                                        ; implicit-def: $vgpr10
                                        ; implicit-def: $vgpr0
                                        ; implicit-def: $vgpr4
                                        ; implicit-def: $vgpr16_vgpr17
.LBB50_48:
	s_andn2_saveexec_b64 s[0:1], s[0:1]
	s_cbranch_execz .LBB50_14
; %bb.49:
	s_waitcnt lgkmcnt(0)
	v_mov_b32_e32 v1, s3
	v_add_co_u32_e32 v24, vcc, s2, v16
	v_addc_co_u32_e32 v25, vcc, v1, v17, vcc
	global_load_dwordx4 v[16:19], v[24:25], off
	global_load_dwordx4 v[20:23], v[24:25], off offset:16
	v_xor_b32_e32 v26, 0x80000000, v61
	v_mov_b32_e32 v27, v60
	v_pk_mul_f32 v[14:15], v[14:15], v[26:27] op_sel_hi:[0,1]
	v_pk_mul_f32 v[12:13], v[12:13], v[26:27] op_sel_hi:[0,1]
	v_pk_mul_f32 v[10:11], v[10:11], v[26:27] op_sel_hi:[0,1]
	v_pk_mul_f32 v[4:5], v[4:5], v[26:27] op_sel_hi:[0,1]
	v_pk_fma_f32 v[8:9], v[60:61], v[8:9], v[14:15] op_sel_hi:[1,0,1]
	v_pk_fma_f32 v[6:7], v[60:61], v[6:7], v[12:13] op_sel_hi:[1,0,1]
	v_xor_b32_e32 v28, 0x80000000, v63
	v_mov_b32_e32 v29, v62
	v_pk_fma_f32 v[2:3], v[60:61], v[2:3], v[10:11] op_sel_hi:[1,0,1]
	v_pk_fma_f32 v[0:1], v[60:61], v[0:1], v[4:5] op_sel_hi:[1,0,1]
	s_waitcnt vmcnt(1)
	v_pk_fma_f32 v[4:5], v[62:63], v[16:17], v[8:9] op_sel_hi:[1,0,1]
	v_pk_fma_f32 v[6:7], v[62:63], v[18:19], v[6:7] op_sel_hi:[1,0,1]
	v_mov_b32_e32 v8, v19
	s_waitcnt vmcnt(0)
	v_pk_fma_f32 v[10:11], v[62:63], v[20:21], v[2:3] op_sel_hi:[1,0,1]
	v_pk_fma_f32 v[12:13], v[62:63], v[22:23], v[0:1] op_sel_hi:[1,0,1]
	v_mov_b32_e32 v14, v23
	v_pk_fma_f32 v[0:1], v[28:29], v[16:17], v[4:5] op_sel:[0,1,0]
	v_pk_fma_f32 v[2:3], v[28:29], v[8:9], v[6:7] op_sel_hi:[1,0,1]
	v_pk_fma_f32 v[4:5], v[28:29], v[20:21], v[10:11] op_sel:[0,1,0]
	v_pk_fma_f32 v[6:7], v[28:29], v[14:15], v[12:13] op_sel_hi:[1,0,1]
	global_store_dwordx4 v[24:25], v[0:3], off
	global_store_dwordx4 v[24:25], v[4:7], off offset:16
	s_endpgm
	.section	.rodata,"a",@progbits
	.p2align	6, 0x0
	.amdhsa_kernel _ZN9rocsparseL18bsrxmvn_4x4_kernelILj128ELj4E21rocsparse_complex_numIfEllS2_S2_S2_EEvT3_20rocsparse_direction_NS_24const_host_device_scalarIT1_EES3_PKS3_PKT2_SC_S9_PKT4_PKT5_S7_PT6_21rocsparse_index_base_b
		.amdhsa_group_segment_fixed_size 0
		.amdhsa_private_segment_fixed_size 0
		.amdhsa_kernarg_size 104
		.amdhsa_user_sgpr_count 6
		.amdhsa_user_sgpr_private_segment_buffer 1
		.amdhsa_user_sgpr_dispatch_ptr 0
		.amdhsa_user_sgpr_queue_ptr 0
		.amdhsa_user_sgpr_kernarg_segment_ptr 1
		.amdhsa_user_sgpr_dispatch_id 0
		.amdhsa_user_sgpr_flat_scratch_init 0
		.amdhsa_user_sgpr_kernarg_preload_length 0
		.amdhsa_user_sgpr_kernarg_preload_offset 0
		.amdhsa_user_sgpr_private_segment_size 0
		.amdhsa_uses_dynamic_stack 0
		.amdhsa_system_sgpr_private_segment_wavefront_offset 0
		.amdhsa_system_sgpr_workgroup_id_x 1
		.amdhsa_system_sgpr_workgroup_id_y 0
		.amdhsa_system_sgpr_workgroup_id_z 0
		.amdhsa_system_sgpr_workgroup_info 0
		.amdhsa_system_vgpr_workitem_id 0
		.amdhsa_next_free_vgpr 104
		.amdhsa_next_free_sgpr 20
		.amdhsa_accum_offset 104
		.amdhsa_reserve_vcc 1
		.amdhsa_reserve_flat_scratch 0
		.amdhsa_float_round_mode_32 0
		.amdhsa_float_round_mode_16_64 0
		.amdhsa_float_denorm_mode_32 3
		.amdhsa_float_denorm_mode_16_64 3
		.amdhsa_dx10_clamp 1
		.amdhsa_ieee_mode 1
		.amdhsa_fp16_overflow 0
		.amdhsa_tg_split 0
		.amdhsa_exception_fp_ieee_invalid_op 0
		.amdhsa_exception_fp_denorm_src 0
		.amdhsa_exception_fp_ieee_div_zero 0
		.amdhsa_exception_fp_ieee_overflow 0
		.amdhsa_exception_fp_ieee_underflow 0
		.amdhsa_exception_fp_ieee_inexact 0
		.amdhsa_exception_int_div_zero 0
	.end_amdhsa_kernel
	.section	.text._ZN9rocsparseL18bsrxmvn_4x4_kernelILj128ELj4E21rocsparse_complex_numIfEllS2_S2_S2_EEvT3_20rocsparse_direction_NS_24const_host_device_scalarIT1_EES3_PKS3_PKT2_SC_S9_PKT4_PKT5_S7_PT6_21rocsparse_index_base_b,"axG",@progbits,_ZN9rocsparseL18bsrxmvn_4x4_kernelILj128ELj4E21rocsparse_complex_numIfEllS2_S2_S2_EEvT3_20rocsparse_direction_NS_24const_host_device_scalarIT1_EES3_PKS3_PKT2_SC_S9_PKT4_PKT5_S7_PT6_21rocsparse_index_base_b,comdat
.Lfunc_end50:
	.size	_ZN9rocsparseL18bsrxmvn_4x4_kernelILj128ELj4E21rocsparse_complex_numIfEllS2_S2_S2_EEvT3_20rocsparse_direction_NS_24const_host_device_scalarIT1_EES3_PKS3_PKT2_SC_S9_PKT4_PKT5_S7_PT6_21rocsparse_index_base_b, .Lfunc_end50-_ZN9rocsparseL18bsrxmvn_4x4_kernelILj128ELj4E21rocsparse_complex_numIfEllS2_S2_S2_EEvT3_20rocsparse_direction_NS_24const_host_device_scalarIT1_EES3_PKS3_PKT2_SC_S9_PKT4_PKT5_S7_PT6_21rocsparse_index_base_b
                                        ; -- End function
	.section	.AMDGPU.csdata,"",@progbits
; Kernel info:
; codeLenInByte = 6988
; NumSgprs: 24
; NumVgprs: 104
; NumAgprs: 0
; TotalNumVgprs: 104
; ScratchSize: 0
; MemoryBound: 0
; FloatMode: 240
; IeeeMode: 1
; LDSByteSize: 0 bytes/workgroup (compile time only)
; SGPRBlocks: 2
; VGPRBlocks: 12
; NumSGPRsForWavesPerEU: 24
; NumVGPRsForWavesPerEU: 104
; AccumOffset: 104
; Occupancy: 4
; WaveLimiterHint : 1
; COMPUTE_PGM_RSRC2:SCRATCH_EN: 0
; COMPUTE_PGM_RSRC2:USER_SGPR: 6
; COMPUTE_PGM_RSRC2:TRAP_HANDLER: 0
; COMPUTE_PGM_RSRC2:TGID_X_EN: 1
; COMPUTE_PGM_RSRC2:TGID_Y_EN: 0
; COMPUTE_PGM_RSRC2:TGID_Z_EN: 0
; COMPUTE_PGM_RSRC2:TIDIG_COMP_CNT: 0
; COMPUTE_PGM_RSRC3_GFX90A:ACCUM_OFFSET: 25
; COMPUTE_PGM_RSRC3_GFX90A:TG_SPLIT: 0
	.section	.text._ZN9rocsparseL18bsrxmvn_4x4_kernelILj128ELj8E21rocsparse_complex_numIfEllS2_S2_S2_EEvT3_20rocsparse_direction_NS_24const_host_device_scalarIT1_EES3_PKS3_PKT2_SC_S9_PKT4_PKT5_S7_PT6_21rocsparse_index_base_b,"axG",@progbits,_ZN9rocsparseL18bsrxmvn_4x4_kernelILj128ELj8E21rocsparse_complex_numIfEllS2_S2_S2_EEvT3_20rocsparse_direction_NS_24const_host_device_scalarIT1_EES3_PKS3_PKT2_SC_S9_PKT4_PKT5_S7_PT6_21rocsparse_index_base_b,comdat
	.globl	_ZN9rocsparseL18bsrxmvn_4x4_kernelILj128ELj8E21rocsparse_complex_numIfEllS2_S2_S2_EEvT3_20rocsparse_direction_NS_24const_host_device_scalarIT1_EES3_PKS3_PKT2_SC_S9_PKT4_PKT5_S7_PT6_21rocsparse_index_base_b ; -- Begin function _ZN9rocsparseL18bsrxmvn_4x4_kernelILj128ELj8E21rocsparse_complex_numIfEllS2_S2_S2_EEvT3_20rocsparse_direction_NS_24const_host_device_scalarIT1_EES3_PKS3_PKT2_SC_S9_PKT4_PKT5_S7_PT6_21rocsparse_index_base_b
	.p2align	8
	.type	_ZN9rocsparseL18bsrxmvn_4x4_kernelILj128ELj8E21rocsparse_complex_numIfEllS2_S2_S2_EEvT3_20rocsparse_direction_NS_24const_host_device_scalarIT1_EES3_PKS3_PKT2_SC_S9_PKT4_PKT5_S7_PT6_21rocsparse_index_base_b,@function
_ZN9rocsparseL18bsrxmvn_4x4_kernelILj128ELj8E21rocsparse_complex_numIfEllS2_S2_S2_EEvT3_20rocsparse_direction_NS_24const_host_device_scalarIT1_EES3_PKS3_PKT2_SC_S9_PKT4_PKT5_S7_PT6_21rocsparse_index_base_b: ; @_ZN9rocsparseL18bsrxmvn_4x4_kernelILj128ELj8E21rocsparse_complex_numIfEllS2_S2_S2_EEvT3_20rocsparse_direction_NS_24const_host_device_scalarIT1_EES3_PKS3_PKT2_SC_S9_PKT4_PKT5_S7_PT6_21rocsparse_index_base_b
; %bb.0:
	s_load_dwordx2 s[16:17], s[4:5], 0x60
	s_load_dwordx4 s[8:11], s[4:5], 0x10
	s_load_dwordx2 s[2:3], s[4:5], 0x50
	s_waitcnt lgkmcnt(0)
	s_bitcmp1_b32 s17, 0
	s_cselect_b64 s[0:1], -1, 0
	s_xor_b64 s[12:13], s[0:1], -1
	s_and_b64 vcc, exec, s[0:1]
	v_mov_b32_e32 v60, s8
	s_cbranch_vccnz .LBB51_2
; %bb.1:
	v_pk_mov_b32 v[2:3], s[8:9], s[8:9] op_sel:[0,1]
	flat_load_dword v60, v[2:3]
.LBB51_2:
	v_cndmask_b32_e64 v1, 0, 1, s[12:13]
	v_cmp_ne_u32_e64 s[0:1], 1, v1
	s_andn2_b64 vcc, exec, s[12:13]
	v_mov_b32_e32 v61, s9
	s_cbranch_vccz .LBB51_15
; %bb.3:
	s_and_b64 vcc, exec, s[0:1]
	v_mov_b32_e32 v62, s2
	s_cbranch_vccz .LBB51_16
.LBB51_4:
	s_and_b64 vcc, exec, s[0:1]
	v_mov_b32_e32 v63, s3
	s_cbranch_vccnz .LBB51_6
.LBB51_5:
	v_pk_mov_b32 v[2:3], s[2:3], s[2:3] op_sel:[0,1]
	flat_load_dword v63, v[2:3] offset:4
.LBB51_6:
	s_waitcnt vmcnt(0) lgkmcnt(0)
	v_and_b32_e32 v1, 0x7fffffff, v60
	v_cmp_eq_u32_e32 vcc, 0, v1
	v_cmp_eq_f32_e64 s[0:1], 0, v61
	s_and_b64 s[8:9], vcc, s[0:1]
	s_mov_b64 s[0:1], -1
	s_and_saveexec_b64 s[2:3], s[8:9]
; %bb.7:
	v_and_b32_e32 v1, 0x7fffffff, v63
	v_cmp_neq_f32_e32 vcc, 1.0, v62
	v_cmp_ne_u32_e64 s[0:1], 0, v1
	s_or_b64 s[0:1], vcc, s[0:1]
	s_orn2_b64 s[0:1], s[0:1], exec
; %bb.8:
	s_or_b64 exec, exec, s[2:3]
	s_and_saveexec_b64 s[2:3], s[0:1]
	s_cbranch_execz .LBB51_14
; %bb.9:
	s_load_dwordx2 s[2:3], s[4:5], 0x20
	v_lshrrev_b32_e32 v1, 3, v0
	v_lshl_or_b32 v2, s6, 4, v1
	v_mov_b32_e32 v3, 0
	s_mov_b64 s[0:1], 0
	s_waitcnt lgkmcnt(0)
	s_cmp_lg_u64 s[2:3], 0
	s_cbranch_scc0 .LBB51_17
; %bb.10:
	v_cmp_gt_i64_e32 vcc, s[10:11], v[2:3]
                                        ; implicit-def: $vgpr64_vgpr65
	s_and_saveexec_b64 s[6:7], vcc
	s_xor_b64 s[6:7], exec, s[6:7]
                                        ; implicit-def: $sgpr18_sgpr19
	s_cbranch_execz .LBB51_12
; %bb.11:
	v_lshlrev_b64 v[4:5], 3, v[2:3]
	v_mov_b32_e32 v1, s3
	v_add_co_u32_e32 v4, vcc, s2, v4
	v_addc_co_u32_e32 v5, vcc, v1, v5, vcc
	global_load_dwordx2 v[4:5], v[4:5], off
	s_mov_b64 s[0:1], exec
	s_mov_b32 s19, 0
	s_waitcnt vmcnt(0)
	v_subrev_co_u32_e32 v64, vcc, s16, v4
	v_subbrev_co_u32_e32 v65, vcc, 0, v5, vcc
.LBB51_12:
	s_or_b64 exec, exec, s[6:7]
.LBB51_13:
	s_and_b64 exec, exec, s[0:1]
	s_cbranch_execnz .LBB51_21
.LBB51_14:
	s_endpgm
.LBB51_15:
	v_pk_mov_b32 v[2:3], s[8:9], s[8:9] op_sel:[0,1]
	flat_load_dword v61, v[2:3] offset:4
	s_and_b64 vcc, exec, s[0:1]
	v_mov_b32_e32 v62, s2
	s_cbranch_vccnz .LBB51_4
.LBB51_16:
	v_pk_mov_b32 v[2:3], s[2:3], s[2:3] op_sel:[0,1]
	flat_load_dword v62, v[2:3]
	s_and_b64 vcc, exec, s[0:1]
	v_mov_b32_e32 v63, s3
	s_cbranch_vccz .LBB51_5
	s_branch .LBB51_6
.LBB51_17:
                                        ; implicit-def: $vgpr64_vgpr65
                                        ; implicit-def: $sgpr18_sgpr19
	s_cbranch_execz .LBB51_13
; %bb.18:
	s_load_dwordx2 s[2:3], s[4:5], 0x0
                                        ; implicit-def: $vgpr64_vgpr65
	s_waitcnt lgkmcnt(0)
	v_cmp_gt_i64_e32 vcc, s[2:3], v[2:3]
	s_and_saveexec_b64 s[2:3], vcc
                                        ; implicit-def: $sgpr18_sgpr19
; %bb.19:
	s_mov_b32 s19, 0
	s_or_b64 s[0:1], s[0:1], exec
	v_pk_mov_b32 v[64:65], v[2:3], v[2:3] op_sel:[0,1]
; %bb.20:
	s_or_b64 exec, exec, s[2:3]
	s_and_b64 exec, exec, s[0:1]
	s_cbranch_execz .LBB51_14
.LBB51_21:
	s_load_dwordx8 s[8:15], s[4:5], 0x28
	v_lshlrev_b64 v[2:3], 3, v[64:65]
	v_and_b32_e32 v66, 7, v0
	v_mov_b32_e32 v0, s19
	v_mov_b32_e32 v75, 0
	s_waitcnt lgkmcnt(0)
	v_mov_b32_e32 v1, s9
	v_add_co_u32_e32 v4, vcc, s8, v2
	v_addc_co_u32_e32 v5, vcc, v1, v3, vcc
	v_add_co_u32_e32 v1, vcc, 8, v4
	global_load_dwordx2 v[38:39], v[4:5], off
	v_addc_co_u32_e32 v4, vcc, 0, v5, vcc
	v_mov_b32_e32 v5, s11
	v_add_co_u32_e32 v2, vcc, s10, v2
	s_cmp_eq_u64 s[10:11], 0
	v_addc_co_u32_e32 v3, vcc, v5, v3, vcc
	s_cselect_b64 vcc, -1, 0
	v_cndmask_b32_e32 v3, v3, v4, vcc
	v_cndmask_b32_e32 v2, v2, v1, vcc
	global_load_dwordx2 v[2:3], v[2:3], off
	s_load_dwordx2 s[6:7], s[4:5], 0x48
	s_load_dword s0, s[4:5], 0x8
	v_mov_b32_e32 v4, s15
	s_waitcnt lgkmcnt(0)
	s_cmp_eq_u32 s0, 1
	s_waitcnt vmcnt(1)
	v_subrev_co_u32_e32 v1, vcc, s16, v38
	v_subb_co_u32_e32 v5, vcc, v39, v0, vcc
	v_add_co_u32_e32 v68, vcc, v1, v66
	v_addc_co_u32_e32 v69, vcc, 0, v5, vcc
	s_waitcnt vmcnt(0)
	v_subrev_co_u32_e32 v70, vcc, s16, v2
	v_subb_co_u32_e32 v71, vcc, v3, v0, vcc
	v_lshlrev_b64 v[0:1], 7, v[68:69]
	v_add_co_u32_e32 v72, vcc, s14, v0
	v_addc_co_u32_e32 v73, vcc, v4, v1, vcc
	v_cmp_lt_i64_e64 s[0:1], v[68:69], v[70:71]
	s_cbranch_scc1 .LBB51_33
; %bb.22:
	v_mov_b32_e32 v74, 0
	v_mov_b32_e32 v59, 0
	;; [unrolled: 1-line block ×7, first 2 shown]
	s_and_saveexec_b64 s[8:9], s[0:1]
	s_cbranch_execz .LBB51_32
; %bb.23:
	v_or_b32_e32 v0, 8, v66
	v_mov_b32_e32 v1, s19
	v_subrev_co_u32_e32 v0, vcc, s16, v0
	v_subb_co_u32_e32 v1, vcc, 0, v1, vcc
	v_add_co_u32_e32 v0, vcc, v0, v38
	v_addc_co_u32_e32 v1, vcc, v1, v39, vcc
	v_cmp_gt_i64_e32 vcc, v[0:1], v[70:71]
	v_cndmask_b32_e32 v1, v71, v1, vcc
	v_cndmask_b32_e32 v0, v70, v0, vcc
	v_mov_b32_e32 v4, s19
	v_sub_co_u32_e32 v5, vcc, s16, v66
	v_not_b32_e32 v3, v38
	v_subbrev_co_u32_e32 v4, vcc, 0, v4, vcc
	v_not_b32_e32 v2, v39
	v_add_co_u32_e32 v3, vcc, v5, v3
	v_addc_co_u32_e32 v2, vcc, v4, v2, vcc
	v_add_co_u32_e32 v0, vcc, v3, v0
	v_addc_co_u32_e32 v1, vcc, v2, v1, vcc
	v_lshrrev_b32_e32 v2, 3, v0
	v_add_u32_e32 v2, 1, v2
	v_and_b32_e32 v2, 3, v2
	v_mov_b32_e32 v57, 0
	v_cmp_ne_u32_e32 vcc, 0, v2
	v_mov_b32_e32 v56, v57
	v_mov_b32_e32 v77, v57
	;; [unrolled: 1-line block ×7, first 2 shown]
	v_pk_mov_b32 v[40:41], v[72:73], v[72:73] op_sel:[0,1]
	v_pk_mov_b32 v[42:43], v[68:69], v[68:69] op_sel:[0,1]
	s_and_saveexec_b64 s[2:3], vcc
	s_cbranch_execz .LBB51_27
; %bb.24:
	v_lshlrev_b64 v[4:5], 3, v[68:69]
	v_mov_b32_e32 v3, 0
	v_mov_b32_e32 v6, s13
	v_add_co_u32_e32 v4, vcc, s12, v4
	v_addc_co_u32_e32 v5, vcc, v6, v5, vcc
	v_lshlrev_b32_e32 v2, 3, v2
	s_mov_b64 s[10:11], 0
	s_movk_i32 s14, 0x400
	v_mov_b32_e32 v6, s19
	v_mov_b32_e32 v7, s7
	v_pk_mov_b32 v[42:43], v[68:69], v[68:69] op_sel:[0,1]
	v_pk_mov_b32 v[40:41], v[72:73], v[72:73] op_sel:[0,1]
	v_mov_b32_e32 v56, v3
	v_mov_b32_e32 v57, v3
	;; [unrolled: 1-line block ×8, first 2 shown]
.LBB51_25:                              ; =>This Inner Loop Header: Depth=1
	global_load_dwordx2 v[36:37], v[4:5], off
	global_load_dwordx4 v[8:11], v[40:41], off offset:16
	global_load_dwordx4 v[12:15], v[40:41], off
	global_load_dwordx4 v[16:19], v[40:41], off offset:48
	global_load_dwordx4 v[20:23], v[40:41], off offset:32
	;; [unrolled: 1-line block ×6, first 2 shown]
	s_waitcnt vmcnt(8)
	v_subrev_co_u32_e32 v36, vcc, s16, v36
	v_subb_co_u32_e32 v37, vcc, v37, v6, vcc
	v_lshlrev_b64 v[36:37], 5, v[36:37]
	v_add_co_u32_e32 v36, vcc, s6, v36
	v_addc_co_u32_e32 v37, vcc, v7, v37, vcc
	global_load_dwordx4 v[48:51], v[36:37], off
	global_load_dwordx4 v[52:55], v[36:37], off offset:16
	v_add_co_u32_e32 v40, vcc, s14, v40
	v_addc_co_u32_e32 v41, vcc, 0, v41, vcc
	v_add_co_u32_e32 v42, vcc, 8, v42
	v_addc_co_u32_e32 v43, vcc, 0, v43, vcc
	v_add_co_u32_e32 v4, vcc, 64, v4
	s_waitcnt vmcnt(8)
	v_xor_b32_e32 v36, 0x80000000, v15
	v_mov_b32_e32 v37, v14
	s_waitcnt vmcnt(6)
	v_xor_b32_e32 v80, 0x80000000, v23
	v_mov_b32_e32 v81, v22
	;; [unrolled: 3-line block ×3, first 2 shown]
	v_xor_b32_e32 v88, 0x80000000, v31
	v_mov_b32_e32 v89, v30
	v_addc_co_u32_e32 v5, vcc, 0, v5, vcc
	v_add_co_u32_e32 v2, vcc, -8, v2
	v_addc_co_u32_e32 v3, vcc, -1, v3, vcc
	v_cmp_eq_u64_e32 vcc, 0, v[2:3]
	v_xor_b32_e32 v78, 0x80000000, v11
	v_mov_b32_e32 v79, v10
	v_xor_b32_e32 v82, 0x80000000, v19
	v_mov_b32_e32 v83, v18
	;; [unrolled: 2-line block ×4, first 2 shown]
	s_or_b64 s[10:11], vcc, s[10:11]
	s_waitcnt vmcnt(1)
	v_pk_fma_f32 v[74:75], v[12:13], v[48:49], v[74:75] op_sel_hi:[1,0,1]
	v_pk_fma_f32 v[56:57], v[20:21], v[48:49], v[56:57] op_sel_hi:[1,0,1]
	;; [unrolled: 1-line block ×4, first 2 shown]
	v_pk_fma_f32 v[12:13], v[12:13], v[48:49], v[74:75] op_sel:[1,1,0] op_sel_hi:[0,1,1] neg_lo:[1,0,0]
	v_pk_fma_f32 v[20:21], v[20:21], v[48:49], v[56:57] op_sel:[1,1,0] op_sel_hi:[0,1,1] neg_lo:[1,0,0]
	;; [unrolled: 1-line block ×4, first 2 shown]
	v_mov_b32_e32 v92, v51
	v_pk_fma_f32 v[12:13], v[14:15], v[50:51], v[12:13] op_sel_hi:[1,0,1]
	v_pk_fma_f32 v[14:15], v[22:23], v[50:51], v[20:21] op_sel_hi:[1,0,1]
	;; [unrolled: 1-line block ×8, first 2 shown]
	s_waitcnt vmcnt(0)
	v_pk_fma_f32 v[12:13], v[8:9], v[52:53], v[12:13] op_sel_hi:[1,0,1]
	v_pk_fma_f32 v[14:15], v[16:17], v[52:53], v[14:15] op_sel_hi:[1,0,1]
	v_pk_fma_f32 v[20:21], v[32:33], v[52:53], v[20:21] op_sel_hi:[1,0,1]
	v_pk_fma_f32 v[22:23], v[24:25], v[52:53], v[22:23] op_sel_hi:[1,0,1]
	v_pk_fma_f32 v[8:9], v[8:9], v[52:53], v[12:13] op_sel:[1,1,0] op_sel_hi:[0,1,1] neg_lo:[1,0,0]
	v_pk_fma_f32 v[12:13], v[16:17], v[52:53], v[14:15] op_sel:[1,1,0] op_sel_hi:[0,1,1] neg_lo:[1,0,0]
	;; [unrolled: 1-line block ×4, first 2 shown]
	v_mov_b32_e32 v94, v55
	v_pk_fma_f32 v[8:9], v[10:11], v[54:55], v[8:9] op_sel_hi:[1,0,1]
	v_pk_fma_f32 v[10:11], v[18:19], v[54:55], v[12:13] op_sel_hi:[1,0,1]
	;; [unrolled: 1-line block ×8, first 2 shown]
	s_andn2_b64 exec, exec, s[10:11]
	s_cbranch_execnz .LBB51_25
; %bb.26:
	s_or_b64 exec, exec, s[10:11]
.LBB51_27:
	s_or_b64 exec, exec, s[2:3]
	v_cmp_lt_u64_e32 vcc, 23, v[0:1]
	s_and_saveexec_b64 s[10:11], vcc
	s_cbranch_execz .LBB51_31
; %bb.28:
	v_lshlrev_b64 v[0:1], 3, v[42:43]
	v_mov_b32_e32 v2, s13
	v_add_co_u32_e32 v0, vcc, s12, v0
	v_addc_co_u32_e32 v1, vcc, v1, v2, vcc
	v_add_co_u32_e32 v44, vcc, 0x80, v0
	v_addc_co_u32_e32 v45, vcc, 0, v1, vcc
	s_mov_b64 s[14:15], 0
	v_mov_b32_e32 v48, s19
	v_mov_b32_e32 v49, s7
.LBB51_29:                              ; =>This Inner Loop Header: Depth=1
	global_load_dwordx2 v[0:1], v[44:45], off offset:-128
	s_waitcnt vmcnt(0)
	v_subrev_co_u32_e32 v0, vcc, s16, v0
	v_subb_co_u32_e32 v1, vcc, v1, v48, vcc
	v_lshlrev_b64 v[0:1], 5, v[0:1]
	v_add_co_u32_e32 v4, vcc, s6, v0
	v_addc_co_u32_e32 v5, vcc, v49, v1, vcc
	global_load_dwordx4 v[0:3], v[4:5], off offset:16
	global_load_dwordx4 v[26:29], v[4:5], off
	global_load_dwordx2 v[6:7], v[44:45], off offset:-64
	s_waitcnt vmcnt(2)
	v_mov_b32_e32 v86, v3
	s_waitcnt vmcnt(1)
	v_mov_b32_e32 v46, v29
	s_waitcnt vmcnt(0)
	v_subrev_co_u32_e32 v4, vcc, s16, v6
	v_subb_co_u32_e32 v5, vcc, v7, v48, vcc
	v_lshlrev_b64 v[4:5], 5, v[4:5]
	v_add_co_u32_e32 v20, vcc, s6, v4
	v_addc_co_u32_e32 v21, vcc, v49, v5, vcc
	global_load_dwordx4 v[4:7], v[20:21], off offset:16
	global_load_dwordx4 v[8:11], v[20:21], off
	global_load_dwordx4 v[22:25], v[40:41], off offset:48
	global_load_dwordx4 v[30:33], v[40:41], off offset:32
	global_load_dwordx4 v[12:15], v[40:41], off offset:16
	global_load_dwordx4 v[16:19], v[40:41], off
	s_waitcnt vmcnt(0)
	v_pk_fma_f32 v[20:21], v[16:17], v[26:27], v[74:75] op_sel_hi:[1,0,1]
	v_pk_fma_f32 v[16:17], v[16:17], v[26:27], v[20:21] op_sel:[1,1,0] op_sel_hi:[0,1,1] neg_lo:[1,0,0]
	v_xor_b32_e32 v20, 0x80000000, v19
	v_pk_fma_f32 v[16:17], v[18:19], v[28:29], v[16:17] op_sel_hi:[1,0,1]
	v_mov_b32_e32 v21, v18
	v_pk_fma_f32 v[16:17], v[20:21], v[46:47], v[16:17] op_sel_hi:[1,0,1]
	v_pk_fma_f32 v[16:17], v[12:13], v[0:1], v[16:17] op_sel_hi:[1,0,1]
	v_pk_fma_f32 v[12:13], v[12:13], v[0:1], v[16:17] op_sel:[1,1,0] op_sel_hi:[0,1,1] neg_lo:[1,0,0]
	v_xor_b32_e32 v16, 0x80000000, v15
	v_pk_fma_f32 v[12:13], v[14:15], v[2:3], v[12:13] op_sel_hi:[1,0,1]
	v_mov_b32_e32 v17, v14
	v_pk_fma_f32 v[16:17], v[16:17], v[86:87], v[12:13] op_sel_hi:[1,0,1]
	global_load_dwordx4 v[12:15], v[40:41], off offset:1072
	global_load_dwordx4 v[18:21], v[40:41], off offset:1056
	;; [unrolled: 1-line block ×4, first 2 shown]
	s_waitcnt vmcnt(2)
	v_xor_b32_e32 v34, 0x80000000, v21
	v_mov_b32_e32 v35, v20
	s_waitcnt vmcnt(0)
	v_pk_fma_f32 v[16:17], v[78:79], v[8:9], v[16:17] op_sel_hi:[1,0,1]
	v_pk_fma_f32 v[78:79], v[78:79], v[8:9], v[16:17] op_sel:[1,1,0] op_sel_hi:[0,1,1] neg_lo:[1,0,0]
	v_pk_fma_f32 v[16:17], v[30:31], v[26:27], v[56:57] op_sel_hi:[1,0,1]
	v_pk_fma_f32 v[16:17], v[30:31], v[26:27], v[16:17] op_sel:[1,1,0] op_sel_hi:[0,1,1] neg_lo:[1,0,0]
	v_xor_b32_e32 v30, 0x80000000, v33
	v_pk_fma_f32 v[16:17], v[32:33], v[28:29], v[16:17] op_sel_hi:[1,0,1]
	v_mov_b32_e32 v31, v32
	v_pk_fma_f32 v[16:17], v[30:31], v[46:47], v[16:17] op_sel_hi:[1,0,1]
	v_pk_fma_f32 v[16:17], v[22:23], v[0:1], v[16:17] op_sel_hi:[1,0,1]
	v_pk_fma_f32 v[16:17], v[22:23], v[0:1], v[16:17] op_sel:[1,1,0] op_sel_hi:[0,1,1] neg_lo:[1,0,0]
	v_xor_b32_e32 v22, 0x80000000, v25
	v_pk_fma_f32 v[16:17], v[24:25], v[2:3], v[16:17] op_sel_hi:[1,0,1]
	v_mov_b32_e32 v23, v24
	v_pk_fma_f32 v[16:17], v[22:23], v[86:87], v[16:17] op_sel_hi:[1,0,1]
	v_pk_fma_f32 v[16:17], v[18:19], v[8:9], v[16:17] op_sel_hi:[1,0,1]
	v_pk_fma_f32 v[36:37], v[18:19], v[8:9], v[16:17] op_sel:[1,1,0] op_sel_hi:[0,1,1] neg_lo:[1,0,0]
	global_load_dwordx4 v[16:19], v[40:41], off offset:112
	global_load_dwordx4 v[54:57], v[40:41], off offset:96
	;; [unrolled: 1-line block ×4, first 2 shown]
	v_xor_b32_e32 v88, 0x80000000, v81
	v_mov_b32_e32 v89, v80
	s_waitcnt vmcnt(2)
	v_pk_fma_f32 v[58:59], v[54:55], v[26:27], v[58:59] op_sel_hi:[1,0,1]
	s_waitcnt vmcnt(0)
	v_pk_fma_f32 v[74:75], v[30:31], v[26:27], v[76:77] op_sel_hi:[1,0,1]
	v_pk_fma_f32 v[30:31], v[30:31], v[26:27], v[74:75] op_sel:[1,1,0] op_sel_hi:[0,1,1] neg_lo:[1,0,0]
	v_xor_b32_e32 v74, 0x80000000, v33
	v_pk_fma_f32 v[30:31], v[32:33], v[28:29], v[30:31] op_sel_hi:[1,0,1]
	v_mov_b32_e32 v75, v32
	v_pk_fma_f32 v[30:31], v[74:75], v[46:47], v[30:31] op_sel_hi:[1,0,1]
	v_pk_fma_f32 v[30:31], v[22:23], v[0:1], v[30:31] op_sel_hi:[1,0,1]
	v_pk_fma_f32 v[22:23], v[22:23], v[0:1], v[30:31] op_sel:[1,1,0] op_sel_hi:[0,1,1] neg_lo:[1,0,0]
	v_xor_b32_e32 v30, 0x80000000, v25
	v_pk_fma_f32 v[22:23], v[24:25], v[2:3], v[22:23] op_sel_hi:[1,0,1]
	v_mov_b32_e32 v31, v24
	v_pk_fma_f32 v[90:91], v[30:31], v[86:87], v[22:23] op_sel_hi:[1,0,1]
	global_load_dwordx4 v[22:25], v[40:41], off offset:1136
	global_load_dwordx4 v[30:33], v[40:41], off offset:1120
	;; [unrolled: 1-line block ×4, first 2 shown]
	v_pk_fma_f32 v[26:27], v[54:55], v[26:27], v[58:59] op_sel:[1,1,0] op_sel_hi:[0,1,1] neg_lo:[1,0,0]
	v_xor_b32_e32 v54, 0x80000000, v57
	v_pk_fma_f32 v[26:27], v[56:57], v[28:29], v[26:27] op_sel_hi:[1,0,1]
	v_mov_b32_e32 v55, v56
	v_pk_fma_f32 v[26:27], v[54:55], v[46:47], v[26:27] op_sel_hi:[1,0,1]
	v_pk_fma_f32 v[26:27], v[16:17], v[0:1], v[26:27] op_sel_hi:[1,0,1]
	v_pk_fma_f32 v[0:1], v[16:17], v[0:1], v[26:27] op_sel:[1,1,0] op_sel_hi:[0,1,1] neg_lo:[1,0,0]
	v_xor_b32_e32 v16, 0x80000000, v19
	v_pk_fma_f32 v[0:1], v[18:19], v[2:3], v[0:1] op_sel_hi:[1,0,1]
	v_mov_b32_e32 v17, v18
	v_pk_fma_f32 v[0:1], v[16:17], v[86:87], v[0:1] op_sel_hi:[1,0,1]
	v_mov_b32_e32 v58, v11
	v_xor_b32_e32 v18, 0x80000000, v53
	v_mov_b32_e32 v19, v52
	v_mov_b32_e32 v86, v7
	s_waitcnt vmcnt(2)
	v_pk_fma_f32 v[0:1], v[30:31], v[8:9], v[0:1] op_sel_hi:[1,0,1]
	v_pk_fma_f32 v[46:47], v[30:31], v[8:9], v[0:1] op_sel:[1,1,0] op_sel_hi:[0,1,1] neg_lo:[1,0,0]
	global_load_dwordx2 v[0:1], v[44:45], off
	s_waitcnt vmcnt(1)
	v_pk_fma_f32 v[90:91], v[82:83], v[8:9], v[90:91] op_sel_hi:[1,0,1]
	v_pk_fma_f32 v[82:83], v[82:83], v[8:9], v[90:91] op_sel:[1,1,0] op_sel_hi:[0,1,1] neg_lo:[1,0,0]
	v_xor_b32_e32 v90, 0x80000000, v85
	v_mov_b32_e32 v91, v84
	v_xor_b32_e32 v8, 0x80000000, v33
	v_mov_b32_e32 v9, v32
	s_waitcnt vmcnt(0)
	v_subrev_co_u32_e32 v0, vcc, s16, v0
	v_subb_co_u32_e32 v1, vcc, v1, v48, vcc
	v_lshlrev_b64 v[0:1], 5, v[0:1]
	v_add_co_u32_e32 v16, vcc, s6, v0
	v_addc_co_u32_e32 v17, vcc, v49, v1, vcc
	global_load_dwordx4 v[0:3], v[16:17], off offset:16
	global_load_dwordx4 v[26:29], v[16:17], off
	v_pk_fma_f32 v[16:17], v[80:81], v[10:11], v[78:79] op_sel_hi:[1,0,1]
	v_pk_fma_f32 v[16:17], v[88:89], v[58:59], v[16:17] op_sel_hi:[1,0,1]
	;; [unrolled: 1-line block ×3, first 2 shown]
	v_pk_fma_f32 v[16:17], v[50:51], v[4:5], v[16:17] op_sel:[1,1,0] op_sel_hi:[0,1,1] neg_lo:[1,0,0]
	v_pk_fma_f32 v[16:17], v[52:53], v[6:7], v[16:17] op_sel_hi:[1,0,1]
	v_pk_fma_f32 v[30:31], v[18:19], v[86:87], v[16:17] op_sel_hi:[1,0,1]
	global_load_dwordx4 v[16:19], v[40:41], off offset:2096
	global_load_dwordx4 v[50:53], v[40:41], off offset:2080
	;; [unrolled: 1-line block ×4, first 2 shown]
	s_waitcnt vmcnt(0)
	v_pk_fma_f32 v[30:31], v[78:79], v[26:27], v[30:31] op_sel_hi:[1,0,1]
	v_pk_fma_f32 v[30:31], v[78:79], v[26:27], v[30:31] op_sel:[1,1,0] op_sel_hi:[0,1,1] neg_lo:[1,0,0]
	v_xor_b32_e32 v78, 0x80000000, v81
	v_pk_fma_f32 v[30:31], v[80:81], v[28:29], v[30:31] op_sel_hi:[1,0,1]
	v_mov_b32_e32 v79, v80
	v_mov_b32_e32 v80, v29
	v_pk_fma_f32 v[30:31], v[78:79], v[80:81], v[30:31] op_sel_hi:[1,0,1]
	v_pk_fma_f32 v[78:79], v[54:55], v[0:1], v[30:31] op_sel_hi:[1,0,1]
	;; [unrolled: 1-line block ×5, first 2 shown]
	v_pk_fma_f32 v[12:13], v[12:13], v[4:5], v[20:21] op_sel:[1,1,0] op_sel_hi:[0,1,1] neg_lo:[1,0,0]
	v_xor_b32_e32 v20, 0x80000000, v15
	v_pk_fma_f32 v[12:13], v[14:15], v[6:7], v[12:13] op_sel_hi:[1,0,1]
	v_mov_b32_e32 v21, v14
	v_pk_fma_f32 v[12:13], v[20:21], v[86:87], v[12:13] op_sel_hi:[1,0,1]
	v_pk_fma_f32 v[12:13], v[50:51], v[26:27], v[12:13] op_sel_hi:[1,0,1]
	v_pk_fma_f32 v[12:13], v[50:51], v[26:27], v[12:13] op_sel:[1,1,0] op_sel_hi:[0,1,1] neg_lo:[1,0,0]
	v_xor_b32_e32 v14, 0x80000000, v53
	v_pk_fma_f32 v[12:13], v[52:53], v[28:29], v[12:13] op_sel_hi:[1,0,1]
	v_mov_b32_e32 v15, v52
	v_pk_fma_f32 v[12:13], v[14:15], v[80:81], v[12:13] op_sel_hi:[1,0,1]
	v_pk_fma_f32 v[30:31], v[16:17], v[0:1], v[12:13] op_sel_hi:[1,0,1]
	;; [unrolled: 1-line block ×5, first 2 shown]
	v_pk_fma_f32 v[12:13], v[74:75], v[4:5], v[12:13] op_sel:[1,1,0] op_sel_hi:[0,1,1] neg_lo:[1,0,0]
	v_xor_b32_e32 v14, 0x80000000, v77
	v_pk_fma_f32 v[12:13], v[76:77], v[6:7], v[12:13] op_sel_hi:[1,0,1]
	v_mov_b32_e32 v15, v76
	v_pk_fma_f32 v[20:21], v[14:15], v[86:87], v[12:13] op_sel_hi:[1,0,1]
	global_load_dwordx4 v[12:15], v[40:41], off offset:2160
	global_load_dwordx4 v[50:53], v[40:41], off offset:2144
	;; [unrolled: 1-line block ×4, first 2 shown]
	v_pk_fma_f32 v[10:11], v[32:33], v[10:11], v[46:47] op_sel_hi:[1,0,1]
	v_pk_fma_f32 v[8:9], v[8:9], v[58:59], v[10:11] op_sel_hi:[1,0,1]
	;; [unrolled: 1-line block ×3, first 2 shown]
	v_pk_fma_f32 v[4:5], v[22:23], v[4:5], v[8:9] op_sel:[1,1,0] op_sel_hi:[0,1,1] neg_lo:[1,0,0]
	v_xor_b32_e32 v8, 0x80000000, v25
	v_pk_fma_f32 v[4:5], v[24:25], v[6:7], v[4:5] op_sel_hi:[1,0,1]
	v_mov_b32_e32 v9, v24
	v_pk_fma_f32 v[4:5], v[8:9], v[86:87], v[4:5] op_sel_hi:[1,0,1]
	v_xor_b32_e32 v24, 0x80000000, v57
	v_mov_b32_e32 v25, v56
	v_pk_fma_f32 v[16:17], v[16:17], v[0:1], v[30:31] op_sel:[1,1,0] op_sel_hi:[0,1,1] neg_lo:[1,0,0]
	v_pk_fma_f32 v[16:17], v[18:19], v[2:3], v[16:17] op_sel_hi:[1,0,1]
	s_waitcnt vmcnt(2)
	v_pk_fma_f32 v[4:5], v[50:51], v[26:27], v[4:5] op_sel_hi:[1,0,1]
	v_pk_fma_f32 v[4:5], v[50:51], v[26:27], v[4:5] op_sel:[1,1,0] op_sel_hi:[0,1,1] neg_lo:[1,0,0]
	s_waitcnt vmcnt(0)
	v_pk_fma_f32 v[20:21], v[74:75], v[26:27], v[20:21] op_sel_hi:[1,0,1]
	v_pk_fma_f32 v[20:21], v[74:75], v[26:27], v[20:21] op_sel:[1,1,0] op_sel_hi:[0,1,1] neg_lo:[1,0,0]
	v_xor_b32_e32 v74, 0x80000000, v77
	v_pk_fma_f32 v[20:21], v[76:77], v[28:29], v[20:21] op_sel_hi:[1,0,1]
	v_mov_b32_e32 v75, v76
	v_xor_b32_e32 v6, 0x80000000, v53
	v_pk_fma_f32 v[4:5], v[52:53], v[28:29], v[4:5] op_sel_hi:[1,0,1]
	v_mov_b32_e32 v7, v52
	v_pk_fma_f32 v[20:21], v[74:75], v[80:81], v[20:21] op_sel_hi:[1,0,1]
	v_pk_fma_f32 v[4:5], v[6:7], v[80:81], v[4:5] op_sel_hi:[1,0,1]
	;; [unrolled: 1-line block ×4, first 2 shown]
	global_load_dwordx2 v[4:5], v[44:45], off offset:64
	s_waitcnt vmcnt(0)
	v_subrev_co_u32_e32 v4, vcc, s16, v4
	v_subb_co_u32_e32 v5, vcc, v5, v48, vcc
	v_lshlrev_b64 v[4:5], 5, v[4:5]
	v_add_co_u32_e32 v22, vcc, s6, v4
	v_addc_co_u32_e32 v23, vcc, v49, v5, vcc
	global_load_dwordx4 v[4:7], v[22:23], off offset:16
	global_load_dwordx4 v[8:11], v[22:23], off
	v_pk_fma_f32 v[22:23], v[54:55], v[0:1], v[78:79] op_sel:[1,1,0] op_sel_hi:[0,1,1] neg_lo:[1,0,0]
	v_pk_fma_f32 v[26:27], v[56:57], v[2:3], v[22:23] op_sel_hi:[1,0,1]
	v_mov_b32_e32 v22, v3
	v_pk_fma_f32 v[28:29], v[24:25], v[22:23], v[26:27] op_sel_hi:[1,0,1]
	global_load_dwordx4 v[24:27], v[40:41], off offset:3120
	global_load_dwordx4 v[50:53], v[40:41], off offset:3104
	;; [unrolled: 1-line block ×4, first 2 shown]
	v_add_co_u32_e32 v42, vcc, 32, v42
	v_addc_co_u32_e32 v43, vcc, 0, v43, vcc
	v_add_co_u32_e32 v44, vcc, 0x100, v44
	v_addc_co_u32_e32 v45, vcc, 0, v45, vcc
	v_cmp_ge_i64_e64 s[2:3], v[42:43], v[70:71]
	s_or_b64 s[14:15], s[2:3], s[14:15]
	s_waitcnt vmcnt(4)
	v_mov_b32_e32 v46, v11
	s_waitcnt vmcnt(0)
	v_pk_fma_f32 v[28:29], v[74:75], v[8:9], v[28:29] op_sel_hi:[1,0,1]
	v_pk_fma_f32 v[28:29], v[74:75], v[8:9], v[28:29] op_sel:[1,1,0] op_sel_hi:[0,1,1] neg_lo:[1,0,0]
	v_xor_b32_e32 v32, 0x80000000, v77
	v_pk_fma_f32 v[28:29], v[76:77], v[10:11], v[28:29] op_sel_hi:[1,0,1]
	v_mov_b32_e32 v33, v76
	v_pk_fma_f32 v[28:29], v[32:33], v[46:47], v[28:29] op_sel_hi:[1,0,1]
	v_pk_fma_f32 v[28:29], v[54:55], v[4:5], v[28:29] op_sel_hi:[1,0,1]
	v_pk_fma_f32 v[28:29], v[54:55], v[4:5], v[28:29] op_sel:[1,1,0] op_sel_hi:[0,1,1] neg_lo:[1,0,0]
	v_xor_b32_e32 v32, 0x80000000, v57
	v_pk_fma_f32 v[28:29], v[56:57], v[6:7], v[28:29] op_sel_hi:[1,0,1]
	v_mov_b32_e32 v33, v56
	v_mov_b32_e32 v54, v7
	v_pk_fma_f32 v[74:75], v[32:33], v[54:55], v[28:29] op_sel_hi:[1,0,1]
	v_xor_b32_e32 v28, 0x80000000, v19
	v_mov_b32_e32 v29, v18
	v_pk_fma_f32 v[16:17], v[28:29], v[22:23], v[16:17] op_sel_hi:[1,0,1]
	v_pk_fma_f32 v[16:17], v[50:51], v[8:9], v[16:17] op_sel_hi:[1,0,1]
	v_pk_fma_f32 v[16:17], v[50:51], v[8:9], v[16:17] op_sel:[1,1,0] op_sel_hi:[0,1,1] neg_lo:[1,0,0]
	v_xor_b32_e32 v18, 0x80000000, v53
	v_pk_fma_f32 v[16:17], v[52:53], v[10:11], v[16:17] op_sel_hi:[1,0,1]
	v_mov_b32_e32 v19, v52
	v_pk_fma_f32 v[16:17], v[18:19], v[46:47], v[16:17] op_sel_hi:[1,0,1]
	v_pk_fma_f32 v[16:17], v[24:25], v[4:5], v[16:17] op_sel_hi:[1,0,1]
	v_pk_fma_f32 v[16:17], v[24:25], v[4:5], v[16:17] op_sel:[1,1,0] op_sel_hi:[0,1,1] neg_lo:[1,0,0]
	v_xor_b32_e32 v18, 0x80000000, v27
	v_pk_fma_f32 v[16:17], v[26:27], v[6:7], v[16:17] op_sel_hi:[1,0,1]
	v_mov_b32_e32 v19, v26
	v_pk_fma_f32 v[56:57], v[18:19], v[54:55], v[16:17] op_sel_hi:[1,0,1]
	v_pk_fma_f32 v[16:17], v[34:35], v[0:1], v[82:83] op_sel:[1,1,0] op_sel_hi:[0,1,1] neg_lo:[1,0,0]
	v_xor_b32_e32 v18, 0x80000000, v37
	v_pk_fma_f32 v[16:17], v[36:37], v[2:3], v[16:17] op_sel_hi:[1,0,1]
	v_mov_b32_e32 v19, v36
	v_pk_fma_f32 v[36:37], v[18:19], v[22:23], v[16:17] op_sel_hi:[1,0,1]
	global_load_dwordx4 v[16:19], v[40:41], off offset:3184
	global_load_dwordx4 v[24:27], v[40:41], off offset:3168
	;; [unrolled: 1-line block ×4, first 2 shown]
	v_pk_fma_f32 v[0:1], v[12:13], v[0:1], v[20:21] op_sel:[1,1,0] op_sel_hi:[0,1,1] neg_lo:[1,0,0]
	v_xor_b32_e32 v12, 0x80000000, v15
	v_pk_fma_f32 v[0:1], v[14:15], v[2:3], v[0:1] op_sel_hi:[1,0,1]
	v_mov_b32_e32 v13, v14
	v_pk_fma_f32 v[0:1], v[12:13], v[22:23], v[0:1] op_sel_hi:[1,0,1]
	v_add_co_u32_e32 v40, vcc, 0x1000, v40
	v_addc_co_u32_e32 v41, vcc, 0, v41, vcc
	s_waitcnt vmcnt(2)
	v_pk_fma_f32 v[0:1], v[24:25], v[8:9], v[0:1] op_sel_hi:[1,0,1]
	v_pk_fma_f32 v[0:1], v[24:25], v[8:9], v[0:1] op_sel:[1,1,0] op_sel_hi:[0,1,1] neg_lo:[1,0,0]
	s_waitcnt vmcnt(0)
	v_pk_fma_f32 v[36:37], v[32:33], v[8:9], v[36:37] op_sel_hi:[1,0,1]
	v_pk_fma_f32 v[32:33], v[32:33], v[8:9], v[36:37] op_sel:[1,1,0] op_sel_hi:[0,1,1] neg_lo:[1,0,0]
	v_xor_b32_e32 v36, 0x80000000, v35
	v_pk_fma_f32 v[32:33], v[34:35], v[10:11], v[32:33] op_sel_hi:[1,0,1]
	v_mov_b32_e32 v37, v34
	v_xor_b32_e32 v2, 0x80000000, v27
	v_pk_fma_f32 v[0:1], v[26:27], v[10:11], v[0:1] op_sel_hi:[1,0,1]
	v_mov_b32_e32 v3, v26
	v_pk_fma_f32 v[32:33], v[36:37], v[46:47], v[32:33] op_sel_hi:[1,0,1]
	v_pk_fma_f32 v[0:1], v[2:3], v[46:47], v[0:1] op_sel_hi:[1,0,1]
	;; [unrolled: 1-line block ×4, first 2 shown]
	v_pk_fma_f32 v[28:29], v[28:29], v[4:5], v[32:33] op_sel:[1,1,0] op_sel_hi:[0,1,1] neg_lo:[1,0,0]
	v_pk_fma_f32 v[0:1], v[16:17], v[4:5], v[0:1] op_sel:[1,1,0] op_sel_hi:[0,1,1] neg_lo:[1,0,0]
	v_xor_b32_e32 v32, 0x80000000, v31
	v_pk_fma_f32 v[28:29], v[30:31], v[6:7], v[28:29] op_sel_hi:[1,0,1]
	v_mov_b32_e32 v33, v30
	v_xor_b32_e32 v2, 0x80000000, v19
	v_pk_fma_f32 v[0:1], v[18:19], v[6:7], v[0:1] op_sel_hi:[1,0,1]
	v_mov_b32_e32 v3, v18
	v_pk_fma_f32 v[76:77], v[32:33], v[54:55], v[28:29] op_sel_hi:[1,0,1]
	v_pk_fma_f32 v[58:59], v[2:3], v[54:55], v[0:1] op_sel_hi:[1,0,1]
	s_andn2_b64 exec, exec, s[14:15]
	s_cbranch_execnz .LBB51_29
; %bb.30:
	s_or_b64 exec, exec, s[14:15]
.LBB51_31:
	s_or_b64 exec, exec, s[10:11]
.LBB51_32:
	s_or_b64 exec, exec, s[8:9]
	s_cbranch_execz .LBB51_34
	s_branch .LBB51_45
.LBB51_33:
                                        ; implicit-def: $vgpr75
                                        ; implicit-def: $vgpr59
                                        ; implicit-def: $vgpr77
                                        ; implicit-def: $vgpr57
.LBB51_34:
	v_mov_b32_e32 v75, 0
	v_mov_b32_e32 v74, 0
	;; [unrolled: 1-line block ×8, first 2 shown]
	s_and_saveexec_b64 s[2:3], s[0:1]
	s_cbranch_execz .LBB51_44
; %bb.35:
	v_or_b32_e32 v0, 8, v66
	v_mov_b32_e32 v1, s19
	v_subrev_co_u32_e32 v0, vcc, s16, v0
	v_subb_co_u32_e32 v1, vcc, 0, v1, vcc
	v_add_co_u32_e32 v0, vcc, v0, v38
	v_addc_co_u32_e32 v1, vcc, v1, v39, vcc
	v_cmp_gt_i64_e32 vcc, v[0:1], v[70:71]
	v_cndmask_b32_e32 v1, v71, v1, vcc
	v_cndmask_b32_e32 v0, v70, v0, vcc
	v_mov_b32_e32 v4, s19
	v_sub_co_u32_e32 v5, vcc, s16, v66
	v_not_b32_e32 v3, v38
	v_subbrev_co_u32_e32 v4, vcc, 0, v4, vcc
	v_not_b32_e32 v2, v39
	v_add_co_u32_e32 v3, vcc, v5, v3
	v_addc_co_u32_e32 v2, vcc, v4, v2, vcc
	v_add_co_u32_e32 v0, vcc, v3, v0
	v_addc_co_u32_e32 v1, vcc, v2, v1, vcc
	v_lshrrev_b32_e32 v2, 3, v0
	v_add_u32_e32 v2, 1, v2
	v_and_b32_e32 v2, 3, v2
	v_mov_b32_e32 v57, 0
	v_cmp_ne_u32_e32 vcc, 0, v2
	v_mov_b32_e32 v56, v57
	v_mov_b32_e32 v77, v57
	;; [unrolled: 1-line block ×7, first 2 shown]
	s_and_saveexec_b64 s[0:1], vcc
	s_cbranch_execz .LBB51_39
; %bb.36:
	v_lshlrev_b64 v[4:5], 3, v[68:69]
	v_mov_b32_e32 v3, 0
	v_mov_b32_e32 v6, s13
	v_add_co_u32_e32 v4, vcc, s12, v4
	v_addc_co_u32_e32 v5, vcc, v6, v5, vcc
	v_lshlrev_b32_e32 v2, 3, v2
	s_mov_b64 s[8:9], 0
	s_movk_i32 s10, 0x400
	v_mov_b32_e32 v6, s19
	v_mov_b32_e32 v7, s7
	;; [unrolled: 1-line block ×10, first 2 shown]
.LBB51_37:                              ; =>This Inner Loop Header: Depth=1
	global_load_dwordx2 v[36:37], v[4:5], off
	global_load_dwordx4 v[8:11], v[72:73], off offset:48
	global_load_dwordx4 v[12:15], v[72:73], off offset:32
	;; [unrolled: 1-line block ×3, first 2 shown]
	global_load_dwordx4 v[20:23], v[72:73], off
	global_load_dwordx4 v[24:27], v[72:73], off offset:96
	global_load_dwordx4 v[28:31], v[72:73], off offset:80
	;; [unrolled: 1-line block ×3, first 2 shown]
	s_waitcnt vmcnt(7)
	v_subrev_co_u32_e32 v36, vcc, s16, v36
	v_subb_co_u32_e32 v37, vcc, v37, v6, vcc
	v_lshlrev_b64 v[36:37], 5, v[36:37]
	v_add_co_u32_e32 v48, vcc, s6, v36
	v_addc_co_u32_e32 v49, vcc, v7, v37, vcc
	global_load_dwordx4 v[36:39], v[48:49], off offset:16
	global_load_dwordx4 v[40:43], v[48:49], off
	global_load_dwordx4 v[44:47], v[72:73], off offset:112
	v_add_co_u32_e32 v72, vcc, s10, v72
	v_addc_co_u32_e32 v73, vcc, 0, v73, vcc
	v_add_co_u32_e32 v68, vcc, 8, v68
	s_waitcnt vmcnt(6)
	v_xor_b32_e32 v48, 0x80000000, v23
	v_mov_b32_e32 v49, v22
	v_xor_b32_e32 v78, 0x80000000, v19
	v_mov_b32_e32 v79, v18
	v_addc_co_u32_e32 v69, vcc, 0, v69, vcc
	v_add_co_u32_e32 v4, vcc, 64, v4
	v_xor_b32_e32 v50, 0x80000000, v15
	v_mov_b32_e32 v51, v14
	v_xor_b32_e32 v80, 0x80000000, v11
	v_mov_b32_e32 v81, v10
	v_addc_co_u32_e32 v5, vcc, 0, v5, vcc
	v_add_co_u32_e32 v2, vcc, -8, v2
	s_waitcnt vmcnt(3)
	v_xor_b32_e32 v52, 0x80000000, v35
	v_mov_b32_e32 v53, v34
	v_xor_b32_e32 v82, 0x80000000, v31
	v_mov_b32_e32 v83, v30
	v_addc_co_u32_e32 v3, vcc, -1, v3, vcc
	v_cmp_eq_u64_e32 vcc, 0, v[2:3]
	v_xor_b32_e32 v54, 0x80000000, v27
	v_mov_b32_e32 v55, v26
	s_or_b64 s[8:9], vcc, s[8:9]
	s_waitcnt vmcnt(2)
	v_mov_b32_e32 v88, v39
	s_waitcnt vmcnt(1)
	v_pk_fma_f32 v[74:75], v[20:21], v[40:41], v[74:75] op_sel_hi:[1,0,1]
	v_pk_fma_f32 v[22:23], v[22:23], v[40:41], v[56:57] op_sel_hi:[1,0,1]
	;; [unrolled: 1-line block ×4, first 2 shown]
	v_pk_fma_f32 v[20:21], v[20:21], v[40:41], v[74:75] op_sel:[1,1,0] op_sel_hi:[0,1,1] neg_lo:[1,0,0]
	v_pk_fma_f32 v[22:23], v[48:49], v[40:41], v[22:23] op_sel:[0,1,0]
	v_pk_fma_f32 v[16:17], v[16:17], v[40:41], v[56:57] op_sel:[1,1,0] op_sel_hi:[0,1,1] neg_lo:[1,0,0]
	v_pk_fma_f32 v[18:19], v[78:79], v[40:41], v[18:19] op_sel:[0,1,0]
	v_mov_b32_e32 v86, v43
	v_pk_fma_f32 v[20:21], v[12:13], v[42:43], v[20:21] op_sel_hi:[1,0,1]
	v_pk_fma_f32 v[14:15], v[14:15], v[42:43], v[22:23] op_sel_hi:[1,0,1]
	;; [unrolled: 1-line block ×4, first 2 shown]
	v_pk_fma_f32 v[12:13], v[12:13], v[86:87], v[20:21] op_sel:[1,0,0] op_sel_hi:[0,0,1] neg_lo:[1,0,0]
	v_pk_fma_f32 v[14:15], v[50:51], v[86:87], v[14:15] op_sel_hi:[1,0,1]
	v_pk_fma_f32 v[8:9], v[8:9], v[86:87], v[16:17] op_sel:[1,0,0] op_sel_hi:[0,0,1] neg_lo:[1,0,0]
	v_pk_fma_f32 v[10:11], v[80:81], v[86:87], v[10:11] op_sel_hi:[1,0,1]
	v_pk_fma_f32 v[12:13], v[32:33], v[36:37], v[12:13] op_sel_hi:[1,0,1]
	;; [unrolled: 1-line block ×5, first 2 shown]
	v_pk_fma_f32 v[12:13], v[32:33], v[36:37], v[12:13] op_sel:[1,1,0] op_sel_hi:[0,1,1] neg_lo:[1,0,0]
	v_pk_fma_f32 v[14:15], v[52:53], v[36:37], v[14:15] op_sel:[0,1,0]
	v_pk_fma_f32 v[8:9], v[28:29], v[36:37], v[8:9] op_sel:[1,1,0] op_sel_hi:[0,1,1] neg_lo:[1,0,0]
	v_pk_fma_f32 v[10:11], v[82:83], v[36:37], v[10:11] op_sel:[0,1,0]
	s_waitcnt vmcnt(0)
	v_xor_b32_e32 v84, 0x80000000, v47
	v_mov_b32_e32 v85, v46
	v_pk_fma_f32 v[12:13], v[24:25], v[38:39], v[12:13] op_sel_hi:[1,0,1]
	v_pk_fma_f32 v[14:15], v[26:27], v[38:39], v[14:15] op_sel_hi:[1,0,1]
	;; [unrolled: 1-line block ×4, first 2 shown]
	v_pk_fma_f32 v[74:75], v[24:25], v[88:89], v[12:13] op_sel:[1,0,0] op_sel_hi:[0,0,1] neg_lo:[1,0,0]
	v_pk_fma_f32 v[56:57], v[54:55], v[88:89], v[14:15] op_sel_hi:[1,0,1]
	v_pk_fma_f32 v[76:77], v[44:45], v[88:89], v[8:9] op_sel:[1,0,0] op_sel_hi:[0,0,1] neg_lo:[1,0,0]
	v_pk_fma_f32 v[58:59], v[84:85], v[88:89], v[10:11] op_sel_hi:[1,0,1]
	s_andn2_b64 exec, exec, s[8:9]
	s_cbranch_execnz .LBB51_37
; %bb.38:
	s_or_b64 exec, exec, s[8:9]
.LBB51_39:
	s_or_b64 exec, exec, s[0:1]
	v_cmp_lt_u64_e32 vcc, 23, v[0:1]
	s_and_saveexec_b64 s[8:9], vcc
	s_cbranch_execz .LBB51_43
; %bb.40:
	v_lshlrev_b64 v[0:1], 3, v[68:69]
	v_mov_b32_e32 v2, s13
	v_add_co_u32_e32 v0, vcc, s12, v0
	v_addc_co_u32_e32 v1, vcc, v1, v2, vcc
	v_add_co_u32_e32 v78, vcc, 0x80, v0
	v_addc_co_u32_e32 v79, vcc, 0, v1, vcc
	s_mov_b64 s[10:11], 0
	v_mov_b32_e32 v67, s19
	v_mov_b32_e32 v86, s7
.LBB51_41:                              ; =>This Inner Loop Header: Depth=1
	global_load_dwordx4 v[44:47], v[72:73], off
	global_load_dwordx2 v[84:85], v[78:79], off offset:-128
	global_load_dwordx4 v[16:19], v[72:73], off offset:16
	global_load_dwordx4 v[12:15], v[72:73], off offset:48
	;; [unrolled: 1-line block ×13, first 2 shown]
	global_load_dwordx2 v[100:101], v[78:79], off offset:-64
	global_load_dwordx2 v[82:83], v[78:79], off
	global_load_dwordx2 v[80:81], v[78:79], off offset:64
	s_waitcnt vmcnt(17)
	v_xor_b32_e32 v102, 0x80000000, v47
	s_waitcnt vmcnt(16)
	v_subrev_co_u32_e32 v84, vcc, s16, v84
	v_subb_co_u32_e32 v85, vcc, v85, v67, vcc
	v_lshlrev_b64 v[84:85], 5, v[84:85]
	v_add_co_u32_e32 v84, vcc, s6, v84
	v_addc_co_u32_e32 v85, vcc, v86, v85, vcc
	global_load_dwordx4 v[88:91], v[84:85], off
	global_load_dwordx4 v[92:95], v[84:85], off offset:16
	v_mov_b32_e32 v103, v46
	global_load_dwordx4 v[96:99], v[72:73], off offset:1104
	s_waitcnt vmcnt(2)
	v_pk_fma_f32 v[74:75], v[44:45], v[88:89], v[74:75] op_sel_hi:[1,0,1]
	v_pk_fma_f32 v[46:47], v[46:47], v[88:89], v[56:57] op_sel_hi:[1,0,1]
	v_pk_fma_f32 v[44:45], v[44:45], v[88:89], v[74:75] op_sel:[1,1,0] op_sel_hi:[0,1,1] neg_lo:[1,0,0]
	v_xor_b32_e32 v56, 0x80000000, v19
	v_mov_b32_e32 v57, v18
	v_pk_fma_f32 v[74:75], v[16:17], v[88:89], v[76:77] op_sel_hi:[1,0,1]
	v_pk_fma_f32 v[18:19], v[18:19], v[88:89], v[58:59] op_sel_hi:[1,0,1]
	v_pk_fma_f32 v[46:47], v[102:103], v[88:89], v[46:47] op_sel:[0,1,0]
	v_pk_fma_f32 v[58:59], v[16:17], v[88:89], v[74:75] op_sel:[1,1,0] op_sel_hi:[0,1,1] neg_lo:[1,0,0]
	global_load_dwordx4 v[74:77], v[72:73], off offset:1088
	v_pk_fma_f32 v[56:57], v[56:57], v[88:89], v[18:19] op_sel:[0,1,0]
	v_pk_fma_f32 v[46:47], v[30:31], v[90:91], v[46:47] op_sel_hi:[1,0,1]
	v_mov_b32_e32 v84, v91
	v_xor_b32_e32 v88, 0x80000000, v31
	v_mov_b32_e32 v89, v30
	v_pk_fma_f32 v[44:45], v[28:29], v[90:91], v[44:45] op_sel_hi:[1,0,1]
	v_pk_fma_f32 v[58:59], v[12:13], v[90:91], v[58:59] op_sel_hi:[1,0,1]
	;; [unrolled: 1-line block ×3, first 2 shown]
	v_xor_b32_e32 v102, 0x80000000, v15
	v_mov_b32_e32 v103, v14
	v_pk_fma_f32 v[14:15], v[88:89], v[84:85], v[46:47] op_sel_hi:[1,0,1]
	v_pk_fma_f32 v[90:91], v[28:29], v[84:85], v[44:45] op_sel:[1,0,0] op_sel_hi:[0,0,1] neg_lo:[1,0,0]
	v_pk_fma_f32 v[12:13], v[12:13], v[84:85], v[58:59] op_sel:[1,0,0] op_sel_hi:[0,0,1] neg_lo:[1,0,0]
	v_pk_fma_f32 v[56:57], v[102:103], v[84:85], v[56:57] op_sel_hi:[1,0,1]
	v_xor_b32_e32 v58, 0x80000000, v55
	v_mov_b32_e32 v59, v54
	s_waitcnt vmcnt(2)
	v_pk_fma_f32 v[14:15], v[54:55], v[92:93], v[14:15] op_sel_hi:[1,0,1]
	v_pk_fma_f32 v[84:85], v[52:53], v[92:93], v[90:91] op_sel_hi:[1,0,1]
	v_xor_b32_e32 v88, 0x80000000, v11
	v_mov_b32_e32 v89, v10
	v_pk_fma_f32 v[12:13], v[8:9], v[92:93], v[12:13] op_sel_hi:[1,0,1]
	v_pk_fma_f32 v[56:57], v[10:11], v[92:93], v[56:57] op_sel_hi:[1,0,1]
	v_pk_fma_f32 v[58:59], v[58:59], v[92:93], v[14:15] op_sel:[0,1,0]
	v_pk_fma_f32 v[84:85], v[52:53], v[92:93], v[84:85] op_sel:[1,1,0] op_sel_hi:[0,1,1] neg_lo:[1,0,0]
	v_pk_fma_f32 v[90:91], v[8:9], v[92:93], v[12:13] op_sel:[1,1,0] op_sel_hi:[0,1,1] neg_lo:[1,0,0]
	v_pk_fma_f32 v[56:57], v[88:89], v[92:93], v[56:57] op_sel:[0,1,0]
	v_pk_fma_f32 v[58:59], v[50:51], v[94:95], v[58:59] op_sel_hi:[1,0,1]
	v_mov_b32_e32 v93, v50
	v_subrev_co_u32_e32 v50, vcc, s16, v100
	v_xor_b32_e32 v92, 0x80000000, v51
	v_subb_co_u32_e32 v51, vcc, v101, v67, vcc
	v_lshlrev_b64 v[50:51], 5, v[50:51]
	v_pk_fma_f32 v[84:85], v[48:49], v[94:95], v[84:85] op_sel_hi:[1,0,1]
	v_pk_fma_f32 v[88:89], v[40:41], v[94:95], v[90:91] op_sel_hi:[1,0,1]
	v_mov_b32_e32 v90, v95
	v_add_co_u32_e32 v100, vcc, s6, v50
	v_pk_fma_f32 v[56:57], v[42:43], v[94:95], v[56:57] op_sel_hi:[1,0,1]
	v_pk_fma_f32 v[84:85], v[48:49], v[90:91], v[84:85] op_sel:[1,0,0] op_sel_hi:[0,0,1] neg_lo:[1,0,0]
	v_xor_b32_e32 v48, 0x80000000, v43
	v_mov_b32_e32 v49, v42
	v_addc_co_u32_e32 v101, vcc, v86, v51, vcc
	global_load_dwordx4 v[16:19], v[72:73], off offset:2096
	global_load_dwordx4 v[28:31], v[72:73], off offset:2080
	;; [unrolled: 1-line block ×6, first 2 shown]
	v_pk_fma_f32 v[94:95], v[40:41], v[90:91], v[88:89] op_sel:[1,0,0] op_sel_hi:[0,0,1] neg_lo:[1,0,0]
	global_load_dwordx4 v[40:43], v[72:73], off offset:2128
	v_pk_fma_f32 v[58:59], v[92:93], v[90:91], v[58:59] op_sel_hi:[1,0,1]
	v_pk_fma_f32 v[56:57], v[48:49], v[90:91], v[56:57] op_sel_hi:[1,0,1]
	global_load_dwordx4 v[48:51], v[100:101], off
	global_load_dwordx4 v[88:91], v[100:101], off offset:16
	v_xor_b32_e32 v102, 0x80000000, v39
	v_mov_b32_e32 v103, v38
	v_subrev_co_u32_e32 v82, vcc, s16, v82
	v_subb_co_u32_e32 v83, vcc, v83, v67, vcc
	s_waitcnt vmcnt(1)
	v_pk_fma_f32 v[84:85], v[36:37], v[48:49], v[84:85] op_sel_hi:[1,0,1]
	v_pk_fma_f32 v[38:39], v[38:39], v[48:49], v[58:59] op_sel_hi:[1,0,1]
	v_pk_fma_f32 v[36:37], v[36:37], v[48:49], v[84:85] op_sel:[1,1,0] op_sel_hi:[0,1,1] neg_lo:[1,0,0]
	v_xor_b32_e32 v84, 0x80000000, v35
	v_mov_b32_e32 v85, v34
	v_pk_fma_f32 v[58:59], v[32:33], v[48:49], v[94:95] op_sel_hi:[1,0,1]
	v_pk_fma_f32 v[92:93], v[34:35], v[48:49], v[56:57] op_sel_hi:[1,0,1]
	v_pk_fma_f32 v[94:95], v[32:33], v[48:49], v[58:59] op_sel:[1,1,0] op_sel_hi:[0,1,1] neg_lo:[1,0,0]
	v_pk_fma_f32 v[38:39], v[102:103], v[48:49], v[38:39] op_sel:[0,1,0]
	v_pk_fma_f32 v[48:49], v[84:85], v[48:49], v[92:93] op_sel:[0,1,0]
	v_pk_fma_f32 v[36:37], v[24:25], v[50:51], v[36:37] op_sel_hi:[1,0,1]
	v_pk_fma_f32 v[38:39], v[26:27], v[50:51], v[38:39] op_sel_hi:[1,0,1]
	v_pk_fma_f32 v[92:93], v[20:21], v[50:51], v[94:95] op_sel_hi:[1,0,1]
	v_pk_fma_f32 v[48:49], v[22:23], v[50:51], v[48:49] op_sel_hi:[1,0,1]
	v_mov_b32_e32 v50, v51
	v_xor_b32_e32 v84, 0x80000000, v27
	v_mov_b32_e32 v85, v26
	v_pk_fma_f32 v[36:37], v[24:25], v[50:51], v[36:37] op_sel:[1,0,0] op_sel_hi:[0,0,1] neg_lo:[1,0,0]
	v_xor_b32_e32 v94, 0x80000000, v23
	v_mov_b32_e32 v95, v22
	v_pk_fma_f32 v[92:93], v[20:21], v[50:51], v[92:93] op_sel:[1,0,0] op_sel_hi:[0,0,1] neg_lo:[1,0,0]
	v_pk_fma_f32 v[38:39], v[84:85], v[50:51], v[38:39] op_sel_hi:[1,0,1]
	v_pk_fma_f32 v[84:85], v[94:95], v[50:51], v[48:49] op_sel_hi:[1,0,1]
	s_waitcnt vmcnt(0)
	v_pk_fma_f32 v[36:37], v[74:75], v[88:89], v[36:37] op_sel_hi:[1,0,1]
	v_xor_b32_e32 v94, 0x80000000, v77
	v_mov_b32_e32 v95, v76
	v_pk_fma_f32 v[76:77], v[76:77], v[88:89], v[38:39] op_sel_hi:[1,0,1]
	v_pk_fma_f32 v[100:101], v[74:75], v[88:89], v[36:37] op_sel:[1,1,0] op_sel_hi:[0,1,1] neg_lo:[1,0,0]
	v_xor_b32_e32 v102, 0x80000000, v99
	v_mov_b32_e32 v103, v98
	v_pk_fma_f32 v[74:75], v[96:97], v[88:89], v[92:93] op_sel_hi:[1,0,1]
	v_pk_fma_f32 v[84:85], v[98:99], v[88:89], v[84:85] op_sel_hi:[1,0,1]
	v_pk_fma_f32 v[94:95], v[94:95], v[88:89], v[76:77] op_sel:[0,1,0]
	v_pk_fma_f32 v[92:93], v[96:97], v[88:89], v[74:75] op_sel:[1,1,0] op_sel_hi:[0,1,1] neg_lo:[1,0,0]
	v_pk_fma_f32 v[84:85], v[102:103], v[88:89], v[84:85] op_sel:[0,1,0]
	v_pk_fma_f32 v[96:97], v[4:5], v[90:91], v[100:101] op_sel_hi:[1,0,1]
	v_pk_fma_f32 v[94:95], v[6:7], v[90:91], v[94:95] op_sel_hi:[1,0,1]
	;; [unrolled: 1-line block ×4, first 2 shown]
	v_mov_b32_e32 v90, v91
	v_pk_fma_f32 v[92:93], v[0:1], v[90:91], v[92:93] op_sel:[1,0,0] op_sel_hi:[0,0,1] neg_lo:[1,0,0]
	v_lshlrev_b64 v[0:1], 5, v[82:83]
	v_add_co_u32_e32 v82, vcc, s6, v0
	v_addc_co_u32_e32 v83, vcc, v86, v1, vcc
	v_xor_b32_e32 v98, 0x80000000, v3
	v_mov_b32_e32 v99, v2
	global_load_dwordx4 v[0:3], v[82:83], off
	v_add_co_u32_e32 v78, vcc, 0x100, v78
	v_xor_b32_e32 v88, 0x80000000, v7
	v_mov_b32_e32 v89, v6
	v_pk_fma_f32 v[96:97], v[4:5], v[90:91], v[96:97] op_sel:[1,0,0] op_sel_hi:[0,0,1] neg_lo:[1,0,0]
	s_mov_b64 s[0:1], vcc
	v_add_co_u32_e32 v68, vcc, 32, v68
	v_pk_fma_f32 v[88:89], v[88:89], v[90:91], v[94:95] op_sel_hi:[1,0,1]
	v_addc_co_u32_e32 v69, vcc, 0, v69, vcc
	global_load_dwordx4 v[56:59], v[72:73], off offset:2112
	global_load_dwordx4 v[48:51], v[72:73], off offset:3072
	;; [unrolled: 1-line block ×8, first 2 shown]
	v_xor_b32_e32 v100, 0x80000000, v55
	v_mov_b32_e32 v101, v54
	v_pk_fma_f32 v[90:91], v[98:99], v[90:91], v[84:85] op_sel_hi:[1,0,1]
	global_load_dwordx4 v[82:85], v[82:83], off offset:16
	v_addc_co_u32_e64 v79, s[0:1], 0, v79, s[0:1]
	v_cmp_ge_i64_e64 s[0:1], v[68:69], v[70:71]
	s_or_b64 s[10:11], s[0:1], s[10:11]
	s_waitcnt vmcnt(9)
	v_pk_fma_f32 v[94:95], v[52:53], v[0:1], v[96:97] op_sel_hi:[1,0,1]
	v_pk_fma_f32 v[88:89], v[54:55], v[0:1], v[88:89] op_sel_hi:[1,0,1]
	v_pk_fma_f32 v[94:95], v[52:53], v[0:1], v[94:95] op_sel:[1,1,0] op_sel_hi:[0,1,1] neg_lo:[1,0,0]
	global_load_dwordx4 v[52:55], v[72:73], off offset:3136
	v_add_co_u32_e32 v72, vcc, 0x1000, v72
	v_addc_co_u32_e32 v73, vcc, 0, v73, vcc
	v_subrev_co_u32_e32 v80, vcc, s16, v80
	v_subb_co_u32_e32 v81, vcc, v81, v67, vcc
	v_lshlrev_b64 v[80:81], 5, v[80:81]
	v_add_co_u32_e32 v80, vcc, s6, v80
	v_addc_co_u32_e32 v81, vcc, v86, v81, vcc
	v_pk_fma_f32 v[98:99], v[100:101], v[0:1], v[88:89] op_sel:[0,1,0]
	v_pk_fma_f32 v[88:89], v[44:45], v[0:1], v[92:93] op_sel_hi:[1,0,1]
	v_xor_b32_e32 v96, 0x80000000, v47
	v_mov_b32_e32 v97, v46
	v_pk_fma_f32 v[90:91], v[46:47], v[0:1], v[90:91] op_sel_hi:[1,0,1]
	v_pk_fma_f32 v[92:93], v[44:45], v[0:1], v[88:89] op_sel:[1,1,0] op_sel_hi:[0,1,1] neg_lo:[1,0,0]
	global_load_dwordx4 v[44:47], v[80:81], off
	v_pk_fma_f32 v[0:1], v[96:97], v[0:1], v[90:91] op_sel:[0,1,0]
	global_load_dwordx4 v[88:91], v[80:81], off offset:16
	v_xor_b32_e32 v100, 0x80000000, v31
	v_mov_b32_e32 v101, v30
	v_pk_fma_f32 v[80:81], v[28:29], v[2:3], v[94:95] op_sel_hi:[1,0,1]
	v_pk_fma_f32 v[30:31], v[30:31], v[2:3], v[98:99] op_sel_hi:[1,0,1]
	;; [unrolled: 1-line block ×4, first 2 shown]
	v_mov_b32_e32 v2, v3
	v_xor_b32_e32 v94, 0x80000000, v19
	v_mov_b32_e32 v95, v18
	v_pk_fma_f32 v[18:19], v[28:29], v[2:3], v[80:81] op_sel:[1,0,0] op_sel_hi:[0,0,1] neg_lo:[1,0,0]
	v_pk_fma_f32 v[16:17], v[16:17], v[2:3], v[92:93] op_sel:[1,0,0] op_sel_hi:[0,0,1] neg_lo:[1,0,0]
	v_pk_fma_f32 v[30:31], v[100:101], v[2:3], v[30:31] op_sel_hi:[1,0,1]
	v_pk_fma_f32 v[0:1], v[94:95], v[2:3], v[0:1] op_sel_hi:[1,0,1]
	s_waitcnt vmcnt(11)
	v_xor_b32_e32 v28, 0x80000000, v59
	v_xor_b32_e32 v80, 0x80000000, v43
	v_mov_b32_e32 v29, v58
	v_mov_b32_e32 v81, v42
	s_waitcnt vmcnt(3)
	v_pk_fma_f32 v[18:19], v[56:57], v[82:83], v[18:19] op_sel_hi:[1,0,1]
	v_pk_fma_f32 v[30:31], v[58:59], v[82:83], v[30:31] op_sel_hi:[1,0,1]
	;; [unrolled: 1-line block ×4, first 2 shown]
	v_pk_fma_f32 v[18:19], v[56:57], v[82:83], v[18:19] op_sel:[1,1,0] op_sel_hi:[0,1,1] neg_lo:[1,0,0]
	v_pk_fma_f32 v[16:17], v[40:41], v[82:83], v[16:17] op_sel:[1,1,0] op_sel_hi:[0,1,1] neg_lo:[1,0,0]
	v_pk_fma_f32 v[28:29], v[28:29], v[82:83], v[30:31] op_sel:[0,1,0]
	v_pk_fma_f32 v[0:1], v[80:81], v[82:83], v[0:1] op_sel:[0,1,0]
	v_xor_b32_e32 v92, 0x80000000, v15
	v_mov_b32_e32 v93, v14
	v_xor_b32_e32 v56, 0x80000000, v11
	v_mov_b32_e32 v57, v10
	v_mov_b32_e32 v80, v85
	v_pk_fma_f32 v[18:19], v[12:13], v[84:85], v[18:19] op_sel_hi:[1,0,1]
	v_pk_fma_f32 v[14:15], v[14:15], v[84:85], v[28:29] op_sel_hi:[1,0,1]
	;; [unrolled: 1-line block ×4, first 2 shown]
	v_pk_fma_f32 v[12:13], v[12:13], v[80:81], v[18:19] op_sel:[1,0,0] op_sel_hi:[0,0,1] neg_lo:[1,0,0]
	v_pk_fma_f32 v[8:9], v[8:9], v[80:81], v[16:17] op_sel:[1,0,0] op_sel_hi:[0,0,1] neg_lo:[1,0,0]
	v_pk_fma_f32 v[14:15], v[92:93], v[80:81], v[14:15] op_sel_hi:[1,0,1]
	v_pk_fma_f32 v[0:1], v[56:57], v[80:81], v[0:1] op_sel_hi:[1,0,1]
	v_xor_b32_e32 v96, 0x80000000, v51
	v_mov_b32_e32 v97, v50
	v_xor_b32_e32 v58, 0x80000000, v23
	v_mov_b32_e32 v59, v22
	;; [unrolled: 2-line block ×7, first 2 shown]
	s_waitcnt vmcnt(2)
	v_xor_b32_e32 v2, 0x80000000, v55
	v_mov_b32_e32 v3, v54
	s_waitcnt vmcnt(1)
	v_pk_fma_f32 v[12:13], v[48:49], v[44:45], v[12:13] op_sel_hi:[1,0,1]
	v_pk_fma_f32 v[14:15], v[50:51], v[44:45], v[14:15] op_sel_hi:[1,0,1]
	;; [unrolled: 1-line block ×4, first 2 shown]
	v_pk_fma_f32 v[12:13], v[48:49], v[44:45], v[12:13] op_sel:[1,1,0] op_sel_hi:[0,1,1] neg_lo:[1,0,0]
	v_pk_fma_f32 v[14:15], v[96:97], v[44:45], v[14:15] op_sel:[0,1,0]
	v_pk_fma_f32 v[8:9], v[20:21], v[44:45], v[8:9] op_sel:[1,1,0] op_sel_hi:[0,1,1] neg_lo:[1,0,0]
	v_pk_fma_f32 v[0:1], v[58:59], v[44:45], v[0:1] op_sel:[0,1,0]
	v_mov_b32_e32 v10, v47
	v_pk_fma_f32 v[12:13], v[24:25], v[46:47], v[12:13] op_sel_hi:[1,0,1]
	v_pk_fma_f32 v[14:15], v[26:27], v[46:47], v[14:15] op_sel_hi:[1,0,1]
	;; [unrolled: 1-line block ×4, first 2 shown]
	v_pk_fma_f32 v[12:13], v[24:25], v[10:11], v[12:13] op_sel:[1,0,0] op_sel_hi:[0,0,1] neg_lo:[1,0,0]
	v_pk_fma_f32 v[14:15], v[98:99], v[10:11], v[14:15] op_sel_hi:[1,0,1]
	v_pk_fma_f32 v[8:9], v[32:33], v[10:11], v[8:9] op_sel:[1,0,0] op_sel_hi:[0,0,1] neg_lo:[1,0,0]
	v_pk_fma_f32 v[0:1], v[40:41], v[10:11], v[0:1] op_sel_hi:[1,0,1]
	s_waitcnt vmcnt(0)
	v_pk_fma_f32 v[10:11], v[52:53], v[88:89], v[12:13] op_sel_hi:[1,0,1]
	v_pk_fma_f32 v[12:13], v[54:55], v[88:89], v[14:15] op_sel_hi:[1,0,1]
	;; [unrolled: 1-line block ×4, first 2 shown]
	v_pk_fma_f32 v[6:7], v[52:53], v[88:89], v[10:11] op_sel:[1,1,0] op_sel_hi:[0,1,1] neg_lo:[1,0,0]
	v_pk_fma_f32 v[2:3], v[2:3], v[88:89], v[12:13] op_sel:[0,1,0]
	v_pk_fma_f32 v[4:5], v[4:5], v[88:89], v[8:9] op_sel:[1,1,0] op_sel_hi:[0,1,1] neg_lo:[1,0,0]
	v_pk_fma_f32 v[0:1], v[42:43], v[88:89], v[0:1] op_sel:[0,1,0]
	v_mov_b32_e32 v28, v91
	v_pk_fma_f32 v[6:7], v[74:75], v[90:91], v[6:7] op_sel_hi:[1,0,1]
	v_pk_fma_f32 v[2:3], v[76:77], v[90:91], v[2:3] op_sel_hi:[1,0,1]
	;; [unrolled: 1-line block ×4, first 2 shown]
	v_pk_fma_f32 v[74:75], v[74:75], v[28:29], v[6:7] op_sel:[1,0,0] op_sel_hi:[0,0,1] neg_lo:[1,0,0]
	v_pk_fma_f32 v[56:57], v[94:95], v[28:29], v[2:3] op_sel_hi:[1,0,1]
	v_pk_fma_f32 v[76:77], v[36:37], v[28:29], v[4:5] op_sel:[1,0,0] op_sel_hi:[0,0,1] neg_lo:[1,0,0]
	v_pk_fma_f32 v[58:59], v[30:31], v[28:29], v[0:1] op_sel_hi:[1,0,1]
	s_andn2_b64 exec, exec, s[10:11]
	s_cbranch_execnz .LBB51_41
; %bb.42:
	s_or_b64 exec, exec, s[10:11]
.LBB51_43:
	s_or_b64 exec, exec, s[8:9]
.LBB51_44:
	s_or_b64 exec, exec, s[2:3]
.LBB51_45:
	v_mov_b32_dpp v6, v57 row_shr:1 row_mask:0xf bank_mask:0xf
	v_add_f32_e32 v6, v57, v6
	v_mov_b32_dpp v0, v74 row_shr:1 row_mask:0xf bank_mask:0xf
	v_mov_b32_dpp v2, v75 row_shr:1 row_mask:0xf bank_mask:0xf
	;; [unrolled: 1-line block ×3, first 2 shown]
	v_add_f32_e32 v7, v6, v7
	v_mov_b32_dpp v6, v76 row_shr:1 row_mask:0xf bank_mask:0xf
	v_add_f32_e32 v6, v76, v6
	v_mov_b32_dpp v4, v56 row_shr:1 row_mask:0xf bank_mask:0xf
	;; [unrolled: 2-line block ×4, first 2 shown]
	v_add_f32_e32 v6, v77, v6
	v_add_f32_e32 v2, v75, v2
	;; [unrolled: 1-line block ×3, first 2 shown]
	v_mov_b32_dpp v8, v6 row_shr:2 row_mask:0xf bank_mask:0xf
	v_add_f32_e32 v13, v6, v8
	v_mov_b32_dpp v6, v58 row_shr:1 row_mask:0xf bank_mask:0xf
	v_add_f32_e32 v6, v58, v6
	v_mov_b32_dpp v1, v0 row_shr:2 row_mask:0xf bank_mask:0xf
	v_mov_b32_dpp v3, v2 row_shr:2 row_mask:0xf bank_mask:0xf
	;; [unrolled: 1-line block ×3, first 2 shown]
	v_add_f32_e32 v16, v6, v8
	v_mov_b32_dpp v6, v59 row_shr:1 row_mask:0xf bank_mask:0xf
	v_add_f32_e32 v6, v59, v6
	v_mov_b32_dpp v5, v4 row_shr:2 row_mask:0xf bank_mask:0xf
	;; [unrolled: 2-line block ×3, first 2 shown]
	v_add_f32_e32 v2, v2, v3
	v_add_f32_e32 v4, v4, v5
	;; [unrolled: 1-line block ×3, first 2 shown]
	v_mov_b32_dpp v1, v0 row_shr:4 row_mask:0xf bank_mask:0xe
	v_mov_b32_dpp v3, v2 row_shr:4 row_mask:0xf bank_mask:0xe
	;; [unrolled: 1-line block ×8, first 2 shown]
	v_cmp_eq_u32_e32 vcc, 7, v66
	s_and_b64 exec, exec, vcc
	s_cbranch_execz .LBB51_14
; %bb.46:
	s_load_dwordx2 s[2:3], s[4:5], 0x58
	v_add_f32_e32 v8, v0, v1
	v_and_b32_e32 v1, 0x7fffffff, v62
	v_cmp_eq_u32_e32 vcc, 0, v1
	v_cmp_eq_f32_e64 s[0:1], 0, v63
	v_add_f32_e32 v14, v2, v3
	v_add_f32_e32 v6, v4, v5
	;; [unrolled: 1-line block ×7, first 2 shown]
	s_and_b64 s[0:1], vcc, s[0:1]
	v_lshlrev_b64 v[16:17], 5, v[64:65]
	s_and_saveexec_b64 s[4:5], s[0:1]
	s_xor_b64 s[0:1], exec, s[4:5]
	s_cbranch_execz .LBB51_48
; %bb.47:
	v_xor_b32_e32 v18, 0x80000000, v61
	v_mov_b32_e32 v19, v60
	v_pk_mul_f32 v[14:15], v[14:15], v[18:19] op_sel_hi:[0,1]
	s_waitcnt lgkmcnt(0)
	v_mov_b32_e32 v1, s3
	v_add_co_u32_e32 v20, vcc, s2, v16
	v_pk_fma_f32 v[14:15], v[60:61], v[8:9], v[14:15] op_sel_hi:[1,0,1]
	v_pk_mul_f32 v[8:9], v[12:13], v[18:19] op_sel_hi:[0,1]
	v_addc_co_u32_e32 v21, vcc, v1, v17, vcc
	v_pk_fma_f32 v[16:17], v[60:61], v[6:7], v[8:9] op_sel_hi:[1,0,1]
	v_pk_mul_f32 v[6:7], v[10:11], v[18:19] op_sel_hi:[0,1]
	v_pk_mul_f32 v[4:5], v[4:5], v[18:19] op_sel_hi:[0,1]
	v_pk_fma_f32 v[2:3], v[60:61], v[2:3], v[6:7] op_sel_hi:[1,0,1]
	v_pk_fma_f32 v[4:5], v[60:61], v[0:1], v[4:5] op_sel_hi:[1,0,1]
	global_store_dwordx4 v[20:21], v[14:17], off
	global_store_dwordx4 v[20:21], v[2:5], off offset:16
                                        ; implicit-def: $vgpr61
                                        ; implicit-def: $vgpr62
                                        ; implicit-def: $vgpr8
                                        ; implicit-def: $vgpr14
                                        ; implicit-def: $vgpr6
                                        ; implicit-def: $vgpr12
                                        ; implicit-def: $vgpr2
                                        ; implicit-def: $vgpr10
                                        ; implicit-def: $vgpr0
                                        ; implicit-def: $vgpr4
                                        ; implicit-def: $vgpr16_vgpr17
.LBB51_48:
	s_andn2_saveexec_b64 s[0:1], s[0:1]
	s_cbranch_execz .LBB51_14
; %bb.49:
	s_waitcnt lgkmcnt(0)
	v_mov_b32_e32 v1, s3
	v_add_co_u32_e32 v24, vcc, s2, v16
	v_addc_co_u32_e32 v25, vcc, v1, v17, vcc
	global_load_dwordx4 v[16:19], v[24:25], off
	global_load_dwordx4 v[20:23], v[24:25], off offset:16
	v_xor_b32_e32 v26, 0x80000000, v61
	v_mov_b32_e32 v27, v60
	v_pk_mul_f32 v[14:15], v[14:15], v[26:27] op_sel_hi:[0,1]
	v_pk_mul_f32 v[12:13], v[12:13], v[26:27] op_sel_hi:[0,1]
	;; [unrolled: 1-line block ×4, first 2 shown]
	v_pk_fma_f32 v[8:9], v[60:61], v[8:9], v[14:15] op_sel_hi:[1,0,1]
	v_pk_fma_f32 v[6:7], v[60:61], v[6:7], v[12:13] op_sel_hi:[1,0,1]
	v_xor_b32_e32 v28, 0x80000000, v63
	v_mov_b32_e32 v29, v62
	v_pk_fma_f32 v[2:3], v[60:61], v[2:3], v[10:11] op_sel_hi:[1,0,1]
	v_pk_fma_f32 v[0:1], v[60:61], v[0:1], v[4:5] op_sel_hi:[1,0,1]
	s_waitcnt vmcnt(1)
	v_pk_fma_f32 v[4:5], v[62:63], v[16:17], v[8:9] op_sel_hi:[1,0,1]
	v_pk_fma_f32 v[6:7], v[62:63], v[18:19], v[6:7] op_sel_hi:[1,0,1]
	v_mov_b32_e32 v8, v19
	s_waitcnt vmcnt(0)
	v_pk_fma_f32 v[10:11], v[62:63], v[20:21], v[2:3] op_sel_hi:[1,0,1]
	v_pk_fma_f32 v[12:13], v[62:63], v[22:23], v[0:1] op_sel_hi:[1,0,1]
	v_mov_b32_e32 v14, v23
	v_pk_fma_f32 v[0:1], v[28:29], v[16:17], v[4:5] op_sel:[0,1,0]
	v_pk_fma_f32 v[2:3], v[28:29], v[8:9], v[6:7] op_sel_hi:[1,0,1]
	v_pk_fma_f32 v[4:5], v[28:29], v[20:21], v[10:11] op_sel:[0,1,0]
	v_pk_fma_f32 v[6:7], v[28:29], v[14:15], v[12:13] op_sel_hi:[1,0,1]
	global_store_dwordx4 v[24:25], v[0:3], off
	global_store_dwordx4 v[24:25], v[4:7], off offset:16
	s_endpgm
	.section	.rodata,"a",@progbits
	.p2align	6, 0x0
	.amdhsa_kernel _ZN9rocsparseL18bsrxmvn_4x4_kernelILj128ELj8E21rocsparse_complex_numIfEllS2_S2_S2_EEvT3_20rocsparse_direction_NS_24const_host_device_scalarIT1_EES3_PKS3_PKT2_SC_S9_PKT4_PKT5_S7_PT6_21rocsparse_index_base_b
		.amdhsa_group_segment_fixed_size 0
		.amdhsa_private_segment_fixed_size 0
		.amdhsa_kernarg_size 104
		.amdhsa_user_sgpr_count 6
		.amdhsa_user_sgpr_private_segment_buffer 1
		.amdhsa_user_sgpr_dispatch_ptr 0
		.amdhsa_user_sgpr_queue_ptr 0
		.amdhsa_user_sgpr_kernarg_segment_ptr 1
		.amdhsa_user_sgpr_dispatch_id 0
		.amdhsa_user_sgpr_flat_scratch_init 0
		.amdhsa_user_sgpr_kernarg_preload_length 0
		.amdhsa_user_sgpr_kernarg_preload_offset 0
		.amdhsa_user_sgpr_private_segment_size 0
		.amdhsa_uses_dynamic_stack 0
		.amdhsa_system_sgpr_private_segment_wavefront_offset 0
		.amdhsa_system_sgpr_workgroup_id_x 1
		.amdhsa_system_sgpr_workgroup_id_y 0
		.amdhsa_system_sgpr_workgroup_id_z 0
		.amdhsa_system_sgpr_workgroup_info 0
		.amdhsa_system_vgpr_workitem_id 0
		.amdhsa_next_free_vgpr 104
		.amdhsa_next_free_sgpr 20
		.amdhsa_accum_offset 104
		.amdhsa_reserve_vcc 1
		.amdhsa_reserve_flat_scratch 0
		.amdhsa_float_round_mode_32 0
		.amdhsa_float_round_mode_16_64 0
		.amdhsa_float_denorm_mode_32 3
		.amdhsa_float_denorm_mode_16_64 3
		.amdhsa_dx10_clamp 1
		.amdhsa_ieee_mode 1
		.amdhsa_fp16_overflow 0
		.amdhsa_tg_split 0
		.amdhsa_exception_fp_ieee_invalid_op 0
		.amdhsa_exception_fp_denorm_src 0
		.amdhsa_exception_fp_ieee_div_zero 0
		.amdhsa_exception_fp_ieee_overflow 0
		.amdhsa_exception_fp_ieee_underflow 0
		.amdhsa_exception_fp_ieee_inexact 0
		.amdhsa_exception_int_div_zero 0
	.end_amdhsa_kernel
	.section	.text._ZN9rocsparseL18bsrxmvn_4x4_kernelILj128ELj8E21rocsparse_complex_numIfEllS2_S2_S2_EEvT3_20rocsparse_direction_NS_24const_host_device_scalarIT1_EES3_PKS3_PKT2_SC_S9_PKT4_PKT5_S7_PT6_21rocsparse_index_base_b,"axG",@progbits,_ZN9rocsparseL18bsrxmvn_4x4_kernelILj128ELj8E21rocsparse_complex_numIfEllS2_S2_S2_EEvT3_20rocsparse_direction_NS_24const_host_device_scalarIT1_EES3_PKS3_PKT2_SC_S9_PKT4_PKT5_S7_PT6_21rocsparse_index_base_b,comdat
.Lfunc_end51:
	.size	_ZN9rocsparseL18bsrxmvn_4x4_kernelILj128ELj8E21rocsparse_complex_numIfEllS2_S2_S2_EEvT3_20rocsparse_direction_NS_24const_host_device_scalarIT1_EES3_PKS3_PKT2_SC_S9_PKT4_PKT5_S7_PT6_21rocsparse_index_base_b, .Lfunc_end51-_ZN9rocsparseL18bsrxmvn_4x4_kernelILj128ELj8E21rocsparse_complex_numIfEllS2_S2_S2_EEvT3_20rocsparse_direction_NS_24const_host_device_scalarIT1_EES3_PKS3_PKT2_SC_S9_PKT4_PKT5_S7_PT6_21rocsparse_index_base_b
                                        ; -- End function
	.section	.AMDGPU.csdata,"",@progbits
; Kernel info:
; codeLenInByte = 7096
; NumSgprs: 24
; NumVgprs: 104
; NumAgprs: 0
; TotalNumVgprs: 104
; ScratchSize: 0
; MemoryBound: 0
; FloatMode: 240
; IeeeMode: 1
; LDSByteSize: 0 bytes/workgroup (compile time only)
; SGPRBlocks: 2
; VGPRBlocks: 12
; NumSGPRsForWavesPerEU: 24
; NumVGPRsForWavesPerEU: 104
; AccumOffset: 104
; Occupancy: 4
; WaveLimiterHint : 1
; COMPUTE_PGM_RSRC2:SCRATCH_EN: 0
; COMPUTE_PGM_RSRC2:USER_SGPR: 6
; COMPUTE_PGM_RSRC2:TRAP_HANDLER: 0
; COMPUTE_PGM_RSRC2:TGID_X_EN: 1
; COMPUTE_PGM_RSRC2:TGID_Y_EN: 0
; COMPUTE_PGM_RSRC2:TGID_Z_EN: 0
; COMPUTE_PGM_RSRC2:TIDIG_COMP_CNT: 0
; COMPUTE_PGM_RSRC3_GFX90A:ACCUM_OFFSET: 25
; COMPUTE_PGM_RSRC3_GFX90A:TG_SPLIT: 0
	.section	.text._ZN9rocsparseL18bsrxmvn_4x4_kernelILj128ELj16E21rocsparse_complex_numIfEllS2_S2_S2_EEvT3_20rocsparse_direction_NS_24const_host_device_scalarIT1_EES3_PKS3_PKT2_SC_S9_PKT4_PKT5_S7_PT6_21rocsparse_index_base_b,"axG",@progbits,_ZN9rocsparseL18bsrxmvn_4x4_kernelILj128ELj16E21rocsparse_complex_numIfEllS2_S2_S2_EEvT3_20rocsparse_direction_NS_24const_host_device_scalarIT1_EES3_PKS3_PKT2_SC_S9_PKT4_PKT5_S7_PT6_21rocsparse_index_base_b,comdat
	.globl	_ZN9rocsparseL18bsrxmvn_4x4_kernelILj128ELj16E21rocsparse_complex_numIfEllS2_S2_S2_EEvT3_20rocsparse_direction_NS_24const_host_device_scalarIT1_EES3_PKS3_PKT2_SC_S9_PKT4_PKT5_S7_PT6_21rocsparse_index_base_b ; -- Begin function _ZN9rocsparseL18bsrxmvn_4x4_kernelILj128ELj16E21rocsparse_complex_numIfEllS2_S2_S2_EEvT3_20rocsparse_direction_NS_24const_host_device_scalarIT1_EES3_PKS3_PKT2_SC_S9_PKT4_PKT5_S7_PT6_21rocsparse_index_base_b
	.p2align	8
	.type	_ZN9rocsparseL18bsrxmvn_4x4_kernelILj128ELj16E21rocsparse_complex_numIfEllS2_S2_S2_EEvT3_20rocsparse_direction_NS_24const_host_device_scalarIT1_EES3_PKS3_PKT2_SC_S9_PKT4_PKT5_S7_PT6_21rocsparse_index_base_b,@function
_ZN9rocsparseL18bsrxmvn_4x4_kernelILj128ELj16E21rocsparse_complex_numIfEllS2_S2_S2_EEvT3_20rocsparse_direction_NS_24const_host_device_scalarIT1_EES3_PKS3_PKT2_SC_S9_PKT4_PKT5_S7_PT6_21rocsparse_index_base_b: ; @_ZN9rocsparseL18bsrxmvn_4x4_kernelILj128ELj16E21rocsparse_complex_numIfEllS2_S2_S2_EEvT3_20rocsparse_direction_NS_24const_host_device_scalarIT1_EES3_PKS3_PKT2_SC_S9_PKT4_PKT5_S7_PT6_21rocsparse_index_base_b
; %bb.0:
	s_load_dwordx2 s[16:17], s[4:5], 0x60
	s_load_dwordx4 s[8:11], s[4:5], 0x10
	s_load_dwordx2 s[2:3], s[4:5], 0x50
	s_waitcnt lgkmcnt(0)
	s_bitcmp1_b32 s17, 0
	s_cselect_b64 s[0:1], -1, 0
	s_xor_b64 s[12:13], s[0:1], -1
	s_and_b64 vcc, exec, s[0:1]
	v_mov_b32_e32 v56, s8
	s_cbranch_vccnz .LBB52_2
; %bb.1:
	v_pk_mov_b32 v[2:3], s[8:9], s[8:9] op_sel:[0,1]
	flat_load_dword v56, v[2:3]
.LBB52_2:
	v_cndmask_b32_e64 v1, 0, 1, s[12:13]
	v_cmp_ne_u32_e64 s[0:1], 1, v1
	s_andn2_b64 vcc, exec, s[12:13]
	v_mov_b32_e32 v57, s9
	s_cbranch_vccz .LBB52_15
; %bb.3:
	s_and_b64 vcc, exec, s[0:1]
	v_mov_b32_e32 v58, s2
	s_cbranch_vccz .LBB52_16
.LBB52_4:
	s_and_b64 vcc, exec, s[0:1]
	v_mov_b32_e32 v59, s3
	s_cbranch_vccnz .LBB52_6
.LBB52_5:
	v_pk_mov_b32 v[2:3], s[2:3], s[2:3] op_sel:[0,1]
	flat_load_dword v59, v[2:3] offset:4
.LBB52_6:
	s_waitcnt vmcnt(0) lgkmcnt(0)
	v_and_b32_e32 v1, 0x7fffffff, v56
	v_cmp_eq_u32_e32 vcc, 0, v1
	v_cmp_eq_f32_e64 s[0:1], 0, v57
	s_and_b64 s[8:9], vcc, s[0:1]
	s_mov_b64 s[0:1], -1
	s_and_saveexec_b64 s[2:3], s[8:9]
; %bb.7:
	v_and_b32_e32 v1, 0x7fffffff, v59
	v_cmp_neq_f32_e32 vcc, 1.0, v58
	v_cmp_ne_u32_e64 s[0:1], 0, v1
	s_or_b64 s[0:1], vcc, s[0:1]
	s_orn2_b64 s[0:1], s[0:1], exec
; %bb.8:
	s_or_b64 exec, exec, s[2:3]
	s_and_saveexec_b64 s[2:3], s[0:1]
	s_cbranch_execz .LBB52_14
; %bb.9:
	s_load_dwordx2 s[2:3], s[4:5], 0x20
	v_lshrrev_b32_e32 v1, 4, v0
	v_lshl_or_b32 v2, s6, 3, v1
	v_mov_b32_e32 v3, 0
	s_mov_b64 s[0:1], 0
	s_waitcnt lgkmcnt(0)
	s_cmp_lg_u64 s[2:3], 0
	s_cbranch_scc0 .LBB52_17
; %bb.10:
	v_cmp_gt_i64_e32 vcc, s[10:11], v[2:3]
                                        ; implicit-def: $vgpr60_vgpr61
	s_and_saveexec_b64 s[6:7], vcc
	s_xor_b64 s[6:7], exec, s[6:7]
                                        ; implicit-def: $sgpr18_sgpr19
	s_cbranch_execz .LBB52_12
; %bb.11:
	v_lshlrev_b64 v[4:5], 3, v[2:3]
	v_mov_b32_e32 v1, s3
	v_add_co_u32_e32 v4, vcc, s2, v4
	v_addc_co_u32_e32 v5, vcc, v1, v5, vcc
	global_load_dwordx2 v[4:5], v[4:5], off
	s_mov_b64 s[0:1], exec
	s_mov_b32 s19, 0
	s_waitcnt vmcnt(0)
	v_subrev_co_u32_e32 v60, vcc, s16, v4
	v_subbrev_co_u32_e32 v61, vcc, 0, v5, vcc
.LBB52_12:
	s_or_b64 exec, exec, s[6:7]
.LBB52_13:
	s_and_b64 exec, exec, s[0:1]
	s_cbranch_execnz .LBB52_21
.LBB52_14:
	s_endpgm
.LBB52_15:
	v_pk_mov_b32 v[2:3], s[8:9], s[8:9] op_sel:[0,1]
	flat_load_dword v57, v[2:3] offset:4
	s_and_b64 vcc, exec, s[0:1]
	v_mov_b32_e32 v58, s2
	s_cbranch_vccnz .LBB52_4
.LBB52_16:
	v_pk_mov_b32 v[2:3], s[2:3], s[2:3] op_sel:[0,1]
	flat_load_dword v58, v[2:3]
	s_and_b64 vcc, exec, s[0:1]
	v_mov_b32_e32 v59, s3
	s_cbranch_vccz .LBB52_5
	s_branch .LBB52_6
.LBB52_17:
                                        ; implicit-def: $vgpr60_vgpr61
                                        ; implicit-def: $sgpr18_sgpr19
	s_cbranch_execz .LBB52_13
; %bb.18:
	s_load_dwordx2 s[2:3], s[4:5], 0x0
                                        ; implicit-def: $vgpr60_vgpr61
	s_waitcnt lgkmcnt(0)
	v_cmp_gt_i64_e32 vcc, s[2:3], v[2:3]
	s_and_saveexec_b64 s[2:3], vcc
                                        ; implicit-def: $sgpr18_sgpr19
; %bb.19:
	s_mov_b32 s19, 0
	s_or_b64 s[0:1], s[0:1], exec
	v_pk_mov_b32 v[60:61], v[2:3], v[2:3] op_sel:[0,1]
; %bb.20:
	s_or_b64 exec, exec, s[2:3]
	s_and_b64 exec, exec, s[0:1]
	s_cbranch_execz .LBB52_14
.LBB52_21:
	s_load_dwordx8 s[8:15], s[4:5], 0x28
	v_lshlrev_b64 v[2:3], 3, v[60:61]
	v_and_b32_e32 v62, 15, v0
	v_mov_b32_e32 v0, s19
	v_mov_b32_e32 v77, 0
	s_waitcnt lgkmcnt(0)
	v_mov_b32_e32 v1, s9
	v_add_co_u32_e32 v4, vcc, s8, v2
	v_addc_co_u32_e32 v5, vcc, v1, v3, vcc
	v_add_co_u32_e32 v1, vcc, 8, v4
	global_load_dwordx2 v[24:25], v[4:5], off
	v_addc_co_u32_e32 v4, vcc, 0, v5, vcc
	v_mov_b32_e32 v5, s11
	v_add_co_u32_e32 v2, vcc, s10, v2
	s_cmp_eq_u64 s[10:11], 0
	v_addc_co_u32_e32 v3, vcc, v5, v3, vcc
	s_cselect_b64 vcc, -1, 0
	v_cndmask_b32_e32 v3, v3, v4, vcc
	v_cndmask_b32_e32 v2, v2, v1, vcc
	global_load_dwordx2 v[2:3], v[2:3], off
	s_load_dwordx2 s[6:7], s[4:5], 0x48
	s_load_dword s0, s[4:5], 0x8
	v_mov_b32_e32 v4, s15
	s_waitcnt lgkmcnt(0)
	s_cmp_eq_u32 s0, 1
	s_waitcnt vmcnt(1)
	v_subrev_co_u32_e32 v1, vcc, s16, v24
	v_subb_co_u32_e32 v5, vcc, v25, v0, vcc
	v_add_co_u32_e32 v64, vcc, v1, v62
	v_addc_co_u32_e32 v65, vcc, 0, v5, vcc
	s_waitcnt vmcnt(0)
	v_subrev_co_u32_e32 v66, vcc, s16, v2
	v_subb_co_u32_e32 v67, vcc, v3, v0, vcc
	v_lshlrev_b64 v[0:1], 7, v[64:65]
	v_add_co_u32_e32 v68, vcc, s14, v0
	v_addc_co_u32_e32 v69, vcc, v4, v1, vcc
	v_cmp_lt_i64_e64 s[0:1], v[64:65], v[66:67]
	s_cbranch_scc1 .LBB52_33
; %bb.22:
	v_mov_b32_e32 v76, 0
	v_mov_b32_e32 v71, 0
	;; [unrolled: 1-line block ×7, first 2 shown]
	s_and_saveexec_b64 s[8:9], s[0:1]
	s_cbranch_execz .LBB52_32
; %bb.23:
	v_or_b32_e32 v0, 16, v62
	v_mov_b32_e32 v1, s19
	v_subrev_co_u32_e32 v0, vcc, s16, v0
	v_subb_co_u32_e32 v1, vcc, 0, v1, vcc
	v_add_co_u32_e32 v0, vcc, v0, v24
	v_addc_co_u32_e32 v1, vcc, v1, v25, vcc
	v_cmp_gt_i64_e32 vcc, v[0:1], v[66:67]
	v_cndmask_b32_e32 v1, v67, v1, vcc
	v_cndmask_b32_e32 v0, v66, v0, vcc
	v_mov_b32_e32 v4, s19
	v_sub_co_u32_e32 v5, vcc, s16, v62
	v_not_b32_e32 v3, v24
	v_subbrev_co_u32_e32 v4, vcc, 0, v4, vcc
	v_not_b32_e32 v2, v25
	v_add_co_u32_e32 v3, vcc, v5, v3
	v_addc_co_u32_e32 v2, vcc, v4, v2, vcc
	v_add_co_u32_e32 v0, vcc, v3, v0
	v_addc_co_u32_e32 v1, vcc, v2, v1, vcc
	v_lshrrev_b32_e32 v2, 4, v0
	v_add_u32_e32 v2, 1, v2
	v_and_b32_e32 v2, 3, v2
	v_mov_b32_e32 v75, 0
	v_cmp_ne_u32_e32 vcc, 0, v2
	v_mov_b32_e32 v74, v75
	v_mov_b32_e32 v73, v75
	;; [unrolled: 1-line block ×7, first 2 shown]
	v_pk_mov_b32 v[26:27], v[68:69], v[68:69] op_sel:[0,1]
	v_pk_mov_b32 v[28:29], v[64:65], v[64:65] op_sel:[0,1]
	s_and_saveexec_b64 s[10:11], vcc
	s_cbranch_execz .LBB52_27
; %bb.24:
	v_lshlrev_b64 v[4:5], 3, v[64:65]
	v_mov_b32_e32 v3, 0
	v_mov_b32_e32 v6, s13
	v_add_co_u32_e32 v4, vcc, s12, v4
	v_addc_co_u32_e32 v5, vcc, v6, v5, vcc
	v_lshlrev_b32_e32 v2, 3, v2
	s_mov_b64 s[14:15], 0
	s_movk_i32 s17, 0x800
	v_mov_b32_e32 v6, s19
	v_mov_b32_e32 v7, s7
	v_pk_mov_b32 v[28:29], v[64:65], v[64:65] op_sel:[0,1]
	v_pk_mov_b32 v[26:27], v[68:69], v[68:69] op_sel:[0,1]
	v_mov_b32_e32 v74, v3
	v_mov_b32_e32 v75, v3
	;; [unrolled: 1-line block ×8, first 2 shown]
.LBB52_25:                              ; =>This Inner Loop Header: Depth=1
	global_load_dwordx2 v[46:47], v[4:5], off
	global_load_dwordx4 v[8:11], v[26:27], off offset:16
	global_load_dwordx4 v[12:15], v[26:27], off
	global_load_dwordx4 v[16:19], v[26:27], off offset:48
	global_load_dwordx4 v[20:23], v[26:27], off offset:32
	;; [unrolled: 1-line block ×6, first 2 shown]
	v_add_co_u32_e64 v28, s[2:3], 16, v28
	v_addc_co_u32_e64 v29, s[2:3], 0, v29, s[2:3]
	v_add_co_u32_e64 v2, s[2:3], -8, v2
	v_addc_co_u32_e64 v3, s[2:3], -1, v3, s[2:3]
	v_cmp_eq_u64_e64 s[2:3], 0, v[2:3]
	s_or_b64 s[14:15], s[2:3], s[14:15]
	s_waitcnt vmcnt(8)
	v_subrev_co_u32_e32 v46, vcc, s16, v46
	v_subb_co_u32_e32 v47, vcc, v47, v6, vcc
	v_lshlrev_b64 v[46:47], 5, v[46:47]
	v_add_co_u32_e32 v54, vcc, s6, v46
	v_addc_co_u32_e32 v55, vcc, v7, v47, vcc
	global_load_dwordx4 v[46:49], v[54:55], off
	global_load_dwordx4 v[50:53], v[54:55], off offset:16
	s_waitcnt vmcnt(8)
	v_xor_b32_e32 v54, 0x80000000, v15
	v_mov_b32_e32 v55, v14
	s_waitcnt vmcnt(6)
	v_xor_b32_e32 v80, 0x80000000, v23
	v_mov_b32_e32 v81, v22
	s_waitcnt vmcnt(2)
	v_xor_b32_e32 v84, 0x80000000, v45
	v_mov_b32_e32 v85, v44
	v_xor_b32_e32 v88, 0x80000000, v37
	v_mov_b32_e32 v89, v36
	v_add_co_u32_e32 v26, vcc, s17, v26
	v_addc_co_u32_e32 v27, vcc, 0, v27, vcc
	v_add_co_u32_e32 v4, vcc, 0x80, v4
	v_xor_b32_e32 v78, 0x80000000, v11
	v_mov_b32_e32 v79, v10
	v_xor_b32_e32 v82, 0x80000000, v19
	v_mov_b32_e32 v83, v18
	v_xor_b32_e32 v86, 0x80000000, v41
	v_mov_b32_e32 v87, v40
	v_xor_b32_e32 v90, 0x80000000, v33
	v_mov_b32_e32 v91, v32
	v_addc_co_u32_e32 v5, vcc, 0, v5, vcc
	s_waitcnt vmcnt(1)
	v_pk_fma_f32 v[76:77], v[12:13], v[46:47], v[76:77] op_sel_hi:[1,0,1]
	v_pk_fma_f32 v[74:75], v[20:21], v[46:47], v[74:75] op_sel_hi:[1,0,1]
	;; [unrolled: 1-line block ×4, first 2 shown]
	v_pk_fma_f32 v[12:13], v[12:13], v[46:47], v[76:77] op_sel:[1,1,0] op_sel_hi:[0,1,1] neg_lo:[1,0,0]
	v_pk_fma_f32 v[20:21], v[20:21], v[46:47], v[74:75] op_sel:[1,1,0] op_sel_hi:[0,1,1] neg_lo:[1,0,0]
	;; [unrolled: 1-line block ×4, first 2 shown]
	v_mov_b32_e32 v92, v49
	v_pk_fma_f32 v[12:13], v[14:15], v[48:49], v[12:13] op_sel_hi:[1,0,1]
	v_pk_fma_f32 v[14:15], v[22:23], v[48:49], v[20:21] op_sel_hi:[1,0,1]
	;; [unrolled: 1-line block ×8, first 2 shown]
	s_waitcnt vmcnt(0)
	v_pk_fma_f32 v[12:13], v[8:9], v[50:51], v[12:13] op_sel_hi:[1,0,1]
	v_pk_fma_f32 v[14:15], v[16:17], v[50:51], v[14:15] op_sel_hi:[1,0,1]
	;; [unrolled: 1-line block ×4, first 2 shown]
	v_pk_fma_f32 v[8:9], v[8:9], v[50:51], v[12:13] op_sel:[1,1,0] op_sel_hi:[0,1,1] neg_lo:[1,0,0]
	v_pk_fma_f32 v[12:13], v[16:17], v[50:51], v[14:15] op_sel:[1,1,0] op_sel_hi:[0,1,1] neg_lo:[1,0,0]
	;; [unrolled: 1-line block ×4, first 2 shown]
	v_mov_b32_e32 v94, v53
	v_pk_fma_f32 v[8:9], v[10:11], v[52:53], v[8:9] op_sel_hi:[1,0,1]
	v_pk_fma_f32 v[10:11], v[18:19], v[52:53], v[12:13] op_sel_hi:[1,0,1]
	;; [unrolled: 1-line block ×8, first 2 shown]
	s_andn2_b64 exec, exec, s[14:15]
	s_cbranch_execnz .LBB52_25
; %bb.26:
	s_or_b64 exec, exec, s[14:15]
.LBB52_27:
	s_or_b64 exec, exec, s[10:11]
	v_cmp_lt_u64_e32 vcc, 47, v[0:1]
	s_and_saveexec_b64 s[10:11], vcc
	s_cbranch_execz .LBB52_31
; %bb.28:
	v_lshlrev_b64 v[0:1], 3, v[28:29]
	v_mov_b32_e32 v2, s13
	v_add_co_u32_e32 v0, vcc, s12, v0
	v_addc_co_u32_e32 v1, vcc, v1, v2, vcc
	v_add_co_u32_e32 v30, vcc, 0x100, v0
	v_addc_co_u32_e32 v31, vcc, 0, v1, vcc
	s_mov_b64 s[14:15], 0
	v_mov_b32_e32 v34, s19
	v_mov_b32_e32 v35, s7
	s_movk_i32 s17, 0x1000
.LBB52_29:                              ; =>This Inner Loop Header: Depth=1
	global_load_dwordx2 v[0:1], v[30:31], off offset:-256
	s_waitcnt vmcnt(0)
	v_subrev_co_u32_e32 v0, vcc, s16, v0
	v_subb_co_u32_e32 v1, vcc, v1, v34, vcc
	v_lshlrev_b64 v[0:1], 5, v[0:1]
	v_add_co_u32_e32 v0, vcc, s6, v0
	v_addc_co_u32_e32 v1, vcc, v35, v1, vcc
	global_load_dwordx4 v[8:11], v[0:1], off offset:16
	global_load_dwordx4 v[20:23], v[0:1], off
	global_load_dwordx2 v[2:3], v[30:31], off offset:-128
	s_waitcnt vmcnt(2)
	v_mov_b32_e32 v86, v11
	s_waitcnt vmcnt(1)
	v_mov_b32_e32 v84, v23
	s_waitcnt vmcnt(0)
	v_subrev_co_u32_e32 v0, vcc, s16, v2
	v_subb_co_u32_e32 v1, vcc, v3, v34, vcc
	v_lshlrev_b64 v[0:1], 5, v[0:1]
	v_add_co_u32_e32 v32, vcc, s6, v0
	v_addc_co_u32_e32 v33, vcc, v35, v1, vcc
	global_load_dwordx4 v[0:3], v[32:33], off offset:16
	global_load_dwordx4 v[4:7], v[32:33], off
	global_load_dwordx4 v[36:39], v[26:27], off offset:48
	global_load_dwordx4 v[40:43], v[26:27], off offset:32
	;; [unrolled: 1-line block ×3, first 2 shown]
	global_load_dwordx4 v[16:19], v[26:27], off
	s_waitcnt vmcnt(0)
	v_pk_fma_f32 v[32:33], v[16:17], v[20:21], v[76:77] op_sel_hi:[1,0,1]
	v_pk_fma_f32 v[16:17], v[16:17], v[20:21], v[32:33] op_sel:[1,1,0] op_sel_hi:[0,1,1] neg_lo:[1,0,0]
	v_xor_b32_e32 v32, 0x80000000, v19
	v_pk_fma_f32 v[16:17], v[18:19], v[22:23], v[16:17] op_sel_hi:[1,0,1]
	v_mov_b32_e32 v33, v18
	v_pk_fma_f32 v[16:17], v[32:33], v[84:85], v[16:17] op_sel_hi:[1,0,1]
	v_pk_fma_f32 v[16:17], v[12:13], v[8:9], v[16:17] op_sel_hi:[1,0,1]
	v_pk_fma_f32 v[12:13], v[12:13], v[8:9], v[16:17] op_sel:[1,1,0] op_sel_hi:[0,1,1] neg_lo:[1,0,0]
	v_xor_b32_e32 v16, 0x80000000, v15
	v_pk_fma_f32 v[12:13], v[14:15], v[10:11], v[12:13] op_sel_hi:[1,0,1]
	v_mov_b32_e32 v17, v14
	v_pk_fma_f32 v[32:33], v[16:17], v[86:87], v[12:13] op_sel_hi:[1,0,1]
	global_load_dwordx4 v[12:15], v[26:27], off offset:2096
	global_load_dwordx4 v[16:19], v[26:27], off offset:2080
	global_load_dwordx4 v[44:47], v[26:27], off offset:2064
	global_load_dwordx4 v[48:51], v[26:27], off offset:2048
	s_waitcnt vmcnt(0)
	v_pk_fma_f32 v[32:33], v[48:49], v[4:5], v[32:33] op_sel_hi:[1,0,1]
	v_pk_fma_f32 v[48:49], v[48:49], v[4:5], v[32:33] op_sel:[1,1,0] op_sel_hi:[0,1,1] neg_lo:[1,0,0]
	v_pk_fma_f32 v[32:33], v[40:41], v[20:21], v[74:75] op_sel_hi:[1,0,1]
	v_pk_fma_f32 v[32:33], v[40:41], v[20:21], v[32:33] op_sel:[1,1,0] op_sel_hi:[0,1,1] neg_lo:[1,0,0]
	v_xor_b32_e32 v40, 0x80000000, v43
	v_pk_fma_f32 v[32:33], v[42:43], v[22:23], v[32:33] op_sel_hi:[1,0,1]
	v_mov_b32_e32 v41, v42
	v_pk_fma_f32 v[32:33], v[40:41], v[84:85], v[32:33] op_sel_hi:[1,0,1]
	v_pk_fma_f32 v[32:33], v[36:37], v[8:9], v[32:33] op_sel_hi:[1,0,1]
	v_pk_fma_f32 v[32:33], v[36:37], v[8:9], v[32:33] op_sel:[1,1,0] op_sel_hi:[0,1,1] neg_lo:[1,0,0]
	v_xor_b32_e32 v36, 0x80000000, v39
	v_pk_fma_f32 v[32:33], v[38:39], v[10:11], v[32:33] op_sel_hi:[1,0,1]
	v_mov_b32_e32 v37, v38
	v_pk_fma_f32 v[32:33], v[36:37], v[86:87], v[32:33] op_sel_hi:[1,0,1]
	global_load_dwordx4 v[36:39], v[26:27], off offset:112
	global_load_dwordx4 v[40:43], v[26:27], off offset:96
	;; [unrolled: 1-line block ×4, first 2 shown]
	v_pk_fma_f32 v[32:33], v[16:17], v[4:5], v[32:33] op_sel_hi:[1,0,1]
	v_pk_fma_f32 v[32:33], v[16:17], v[4:5], v[32:33] op_sel:[1,1,0] op_sel_hi:[0,1,1] neg_lo:[1,0,0]
	v_xor_b32_e32 v88, 0x80000000, v51
	v_mov_b32_e32 v89, v50
	v_xor_b32_e32 v16, 0x80000000, v19
	v_pk_fma_f32 v[32:33], v[18:19], v[6:7], v[32:33] op_sel_hi:[1,0,1]
	v_mov_b32_e32 v17, v18
	s_waitcnt vmcnt(2)
	v_pk_fma_f32 v[70:71], v[40:41], v[20:21], v[70:71] op_sel_hi:[1,0,1]
	s_waitcnt vmcnt(0)
	v_pk_fma_f32 v[72:73], v[74:75], v[20:21], v[72:73] op_sel_hi:[1,0,1]
	v_pk_fma_f32 v[72:73], v[74:75], v[20:21], v[72:73] op_sel:[1,1,0] op_sel_hi:[0,1,1] neg_lo:[1,0,0]
	v_xor_b32_e32 v74, 0x80000000, v77
	v_pk_fma_f32 v[72:73], v[76:77], v[22:23], v[72:73] op_sel_hi:[1,0,1]
	v_mov_b32_e32 v75, v76
	v_pk_fma_f32 v[72:73], v[74:75], v[84:85], v[72:73] op_sel_hi:[1,0,1]
	v_pk_fma_f32 v[72:73], v[52:53], v[8:9], v[72:73] op_sel_hi:[1,0,1]
	v_pk_fma_f32 v[52:53], v[52:53], v[8:9], v[72:73] op_sel:[1,1,0] op_sel_hi:[0,1,1] neg_lo:[1,0,0]
	v_xor_b32_e32 v72, 0x80000000, v55
	v_pk_fma_f32 v[52:53], v[54:55], v[10:11], v[52:53] op_sel_hi:[1,0,1]
	v_mov_b32_e32 v73, v54
	v_pk_fma_f32 v[90:91], v[72:73], v[86:87], v[52:53] op_sel_hi:[1,0,1]
	global_load_dwordx4 v[52:55], v[26:27], off offset:2160
	global_load_dwordx4 v[72:75], v[26:27], off offset:2144
	;; [unrolled: 1-line block ×4, first 2 shown]
	v_pk_fma_f32 v[20:21], v[40:41], v[20:21], v[70:71] op_sel:[1,1,0] op_sel_hi:[0,1,1] neg_lo:[1,0,0]
	v_xor_b32_e32 v40, 0x80000000, v43
	v_pk_fma_f32 v[20:21], v[42:43], v[22:23], v[20:21] op_sel_hi:[1,0,1]
	v_mov_b32_e32 v41, v42
	v_pk_fma_f32 v[20:21], v[40:41], v[84:85], v[20:21] op_sel_hi:[1,0,1]
	v_pk_fma_f32 v[20:21], v[36:37], v[8:9], v[20:21] op_sel_hi:[1,0,1]
	v_pk_fma_f32 v[8:9], v[36:37], v[8:9], v[20:21] op_sel:[1,1,0] op_sel_hi:[0,1,1] neg_lo:[1,0,0]
	v_xor_b32_e32 v20, 0x80000000, v39
	v_pk_fma_f32 v[8:9], v[38:39], v[10:11], v[8:9] op_sel_hi:[1,0,1]
	v_mov_b32_e32 v21, v38
	v_pk_fma_f32 v[8:9], v[20:21], v[86:87], v[8:9] op_sel_hi:[1,0,1]
	v_mov_b32_e32 v84, v7
	v_xor_b32_e32 v20, 0x80000000, v47
	v_mov_b32_e32 v21, v46
	v_mov_b32_e32 v86, v3
	v_pk_fma_f32 v[16:17], v[16:17], v[84:85], v[32:33] op_sel_hi:[1,0,1]
	v_pk_fma_f32 v[16:17], v[12:13], v[0:1], v[16:17] op_sel_hi:[1,0,1]
	v_pk_fma_f32 v[12:13], v[12:13], v[0:1], v[16:17] op_sel:[1,1,0] op_sel_hi:[0,1,1] neg_lo:[1,0,0]
	v_xor_b32_e32 v16, 0x80000000, v15
	v_pk_fma_f32 v[12:13], v[14:15], v[2:3], v[12:13] op_sel_hi:[1,0,1]
	v_mov_b32_e32 v17, v14
	v_pk_fma_f32 v[12:13], v[16:17], v[86:87], v[12:13] op_sel_hi:[1,0,1]
	s_waitcnt vmcnt(2)
	v_pk_fma_f32 v[8:9], v[72:73], v[4:5], v[8:9] op_sel_hi:[1,0,1]
	v_pk_fma_f32 v[70:71], v[72:73], v[4:5], v[8:9] op_sel:[1,1,0] op_sel_hi:[0,1,1] neg_lo:[1,0,0]
	s_waitcnt vmcnt(0)
	v_pk_fma_f32 v[90:91], v[80:81], v[4:5], v[90:91] op_sel_hi:[1,0,1]
	v_pk_fma_f32 v[80:81], v[80:81], v[4:5], v[90:91] op_sel:[1,1,0] op_sel_hi:[0,1,1] neg_lo:[1,0,0]
	global_load_dwordx2 v[4:5], v[30:31], off
	v_xor_b32_e32 v90, 0x80000000, v83
	v_mov_b32_e32 v91, v82
	v_xor_b32_e32 v72, 0x80000000, v75
	v_mov_b32_e32 v73, v74
	s_waitcnt vmcnt(0)
	v_subrev_co_u32_e32 v4, vcc, s16, v4
	v_subb_co_u32_e32 v5, vcc, v5, v34, vcc
	v_lshlrev_b64 v[4:5], 5, v[4:5]
	v_add_co_u32_e32 v4, vcc, s6, v4
	v_addc_co_u32_e32 v5, vcc, v35, v5, vcc
	global_load_dwordx4 v[8:11], v[4:5], off offset:16
	global_load_dwordx4 v[36:39], v[4:5], off
	v_pk_fma_f32 v[4:5], v[50:51], v[6:7], v[48:49] op_sel_hi:[1,0,1]
	v_pk_fma_f32 v[4:5], v[88:89], v[84:85], v[4:5] op_sel_hi:[1,0,1]
	;; [unrolled: 1-line block ×3, first 2 shown]
	v_pk_fma_f32 v[4:5], v[44:45], v[0:1], v[4:5] op_sel:[1,1,0] op_sel_hi:[0,1,1] neg_lo:[1,0,0]
	v_pk_fma_f32 v[4:5], v[46:47], v[2:3], v[4:5] op_sel_hi:[1,0,1]
	v_pk_fma_f32 v[88:89], v[20:21], v[86:87], v[4:5] op_sel_hi:[1,0,1]
	v_add_co_u32_e32 v4, vcc, s17, v26
	v_addc_co_u32_e32 v5, vcc, 0, v27, vcc
	global_load_dwordx4 v[40:43], v[4:5], off
	global_load_dwordx4 v[20:23], v[4:5], off offset:48
	global_load_dwordx4 v[44:47], v[4:5], off offset:32
	;; [unrolled: 1-line block ×3, first 2 shown]
	s_waitcnt vmcnt(4)
	v_mov_b32_e32 v92, v39
	s_waitcnt vmcnt(3)
	v_pk_fma_f32 v[88:89], v[40:41], v[36:37], v[88:89] op_sel_hi:[1,0,1]
	v_pk_fma_f32 v[40:41], v[40:41], v[36:37], v[88:89] op_sel:[1,1,0] op_sel_hi:[0,1,1] neg_lo:[1,0,0]
	s_waitcnt vmcnt(1)
	v_pk_fma_f32 v[12:13], v[44:45], v[36:37], v[12:13] op_sel_hi:[1,0,1]
	v_pk_fma_f32 v[12:13], v[44:45], v[36:37], v[12:13] op_sel:[1,1,0] op_sel_hi:[0,1,1] neg_lo:[1,0,0]
	v_xor_b32_e32 v14, 0x80000000, v47
	v_pk_fma_f32 v[12:13], v[46:47], v[38:39], v[12:13] op_sel_hi:[1,0,1]
	v_mov_b32_e32 v15, v46
	v_pk_fma_f32 v[12:13], v[14:15], v[92:93], v[12:13] op_sel_hi:[1,0,1]
	v_pk_fma_f32 v[32:33], v[20:21], v[8:9], v[12:13] op_sel_hi:[1,0,1]
	;; [unrolled: 1-line block ×5, first 2 shown]
	v_xor_b32_e32 v88, 0x80000000, v43
	v_pk_fma_f32 v[40:41], v[42:43], v[38:39], v[40:41] op_sel_hi:[1,0,1]
	v_mov_b32_e32 v89, v42
	v_pk_fma_f32 v[12:13], v[76:77], v[0:1], v[12:13] op_sel:[1,1,0] op_sel_hi:[0,1,1] neg_lo:[1,0,0]
	v_pk_fma_f32 v[40:41], v[88:89], v[92:93], v[40:41] op_sel_hi:[1,0,1]
	v_xor_b32_e32 v14, 0x80000000, v79
	v_pk_fma_f32 v[12:13], v[78:79], v[2:3], v[12:13] op_sel_hi:[1,0,1]
	v_mov_b32_e32 v15, v78
	s_waitcnt vmcnt(0)
	v_pk_fma_f32 v[88:89], v[48:49], v[8:9], v[40:41] op_sel_hi:[1,0,1]
	v_pk_fma_f32 v[76:77], v[14:15], v[86:87], v[12:13] op_sel_hi:[1,0,1]
	global_load_dwordx4 v[12:15], v[4:5], off offset:112
	global_load_dwordx4 v[40:43], v[4:5], off offset:96
	;; [unrolled: 1-line block ×4, first 2 shown]
	v_pk_fma_f32 v[6:7], v[74:75], v[6:7], v[70:71] op_sel_hi:[1,0,1]
	v_pk_fma_f32 v[6:7], v[72:73], v[84:85], v[6:7] op_sel_hi:[1,0,1]
	;; [unrolled: 1-line block ×3, first 2 shown]
	v_pk_fma_f32 v[0:1], v[52:53], v[0:1], v[6:7] op_sel:[1,1,0] op_sel_hi:[0,1,1] neg_lo:[1,0,0]
	v_xor_b32_e32 v6, 0x80000000, v55
	v_pk_fma_f32 v[0:1], v[54:55], v[2:3], v[0:1] op_sel_hi:[1,0,1]
	v_mov_b32_e32 v7, v54
	v_pk_fma_f32 v[0:1], v[6:7], v[86:87], v[0:1] op_sel_hi:[1,0,1]
	v_mov_b32_e32 v70, v11
	v_pk_fma_f32 v[20:21], v[20:21], v[8:9], v[32:33] op_sel:[1,1,0] op_sel_hi:[0,1,1] neg_lo:[1,0,0]
	v_xor_b32_e32 v32, 0x80000000, v23
	v_pk_fma_f32 v[20:21], v[22:23], v[10:11], v[20:21] op_sel_hi:[1,0,1]
	v_mov_b32_e32 v33, v22
	v_pk_fma_f32 v[20:21], v[32:33], v[70:71], v[20:21] op_sel_hi:[1,0,1]
	s_waitcnt vmcnt(2)
	v_pk_fma_f32 v[0:1], v[40:41], v[36:37], v[0:1] op_sel_hi:[1,0,1]
	v_pk_fma_f32 v[0:1], v[40:41], v[36:37], v[0:1] op_sel:[1,1,0] op_sel_hi:[0,1,1] neg_lo:[1,0,0]
	v_xor_b32_e32 v2, 0x80000000, v43
	v_pk_fma_f32 v[0:1], v[42:43], v[38:39], v[0:1] op_sel_hi:[1,0,1]
	v_mov_b32_e32 v3, v42
	v_pk_fma_f32 v[0:1], v[2:3], v[92:93], v[0:1] op_sel_hi:[1,0,1]
	v_pk_fma_f32 v[6:7], v[12:13], v[8:9], v[0:1] op_sel_hi:[1,0,1]
	global_load_dwordx2 v[0:1], v[30:31], off offset:128
	s_waitcnt vmcnt(1)
	v_pk_fma_f32 v[76:77], v[44:45], v[36:37], v[76:77] op_sel_hi:[1,0,1]
	v_pk_fma_f32 v[44:45], v[44:45], v[36:37], v[76:77] op_sel:[1,1,0] op_sel_hi:[0,1,1] neg_lo:[1,0,0]
	v_xor_b32_e32 v76, 0x80000000, v47
	v_pk_fma_f32 v[44:45], v[46:47], v[38:39], v[44:45] op_sel_hi:[1,0,1]
	v_mov_b32_e32 v77, v46
	v_pk_fma_f32 v[44:45], v[76:77], v[92:93], v[44:45] op_sel_hi:[1,0,1]
	v_xor_b32_e32 v42, 0x80000000, v51
	v_mov_b32_e32 v43, v50
	v_pk_fma_f32 v[78:79], v[16:17], v[8:9], v[44:45] op_sel_hi:[1,0,1]
	v_pk_fma_f32 v[16:17], v[16:17], v[8:9], v[78:79] op_sel:[1,1,0] op_sel_hi:[0,1,1] neg_lo:[1,0,0]
	v_pk_fma_f32 v[16:17], v[18:19], v[10:11], v[16:17] op_sel_hi:[1,0,1]
	s_waitcnt vmcnt(0)
	v_subrev_co_u32_e32 v0, vcc, s16, v0
	v_subb_co_u32_e32 v1, vcc, v1, v34, vcc
	v_lshlrev_b64 v[0:1], 5, v[0:1]
	v_add_co_u32_e32 v40, vcc, s6, v0
	v_addc_co_u32_e32 v41, vcc, v35, v1, vcc
	global_load_dwordx4 v[0:3], v[40:41], off offset:16
	global_load_dwordx4 v[36:39], v[40:41], off
	v_pk_fma_f32 v[40:41], v[48:49], v[8:9], v[88:89] op_sel:[1,1,0] op_sel_hi:[0,1,1] neg_lo:[1,0,0]
	v_pk_fma_f32 v[40:41], v[50:51], v[10:11], v[40:41] op_sel_hi:[1,0,1]
	v_pk_fma_f32 v[72:73], v[42:43], v[70:71], v[40:41] op_sel_hi:[1,0,1]
	global_load_dwordx4 v[40:43], v[4:5], off offset:2096
	global_load_dwordx4 v[44:47], v[4:5], off offset:2080
	;; [unrolled: 1-line block ×4, first 2 shown]
	v_add_co_u32_e32 v28, vcc, 64, v28
	v_addc_co_u32_e32 v29, vcc, 0, v29, vcc
	v_add_co_u32_e32 v30, vcc, 0x200, v30
	v_addc_co_u32_e32 v31, vcc, 0, v31, vcc
	v_cmp_ge_i64_e64 s[2:3], v[28:29], v[66:67]
	v_add_co_u32_e32 v26, vcc, 0x2000, v26
	v_addc_co_u32_e32 v27, vcc, 0, v27, vcc
	s_or_b64 s[14:15], s[2:3], s[14:15]
	s_waitcnt vmcnt(2)
	v_pk_fma_f32 v[20:21], v[44:45], v[36:37], v[20:21] op_sel_hi:[1,0,1]
	v_pk_fma_f32 v[20:21], v[44:45], v[36:37], v[20:21] op_sel:[1,1,0] op_sel_hi:[0,1,1] neg_lo:[1,0,0]
	s_waitcnt vmcnt(0)
	v_pk_fma_f32 v[72:73], v[52:53], v[36:37], v[72:73] op_sel_hi:[1,0,1]
	v_pk_fma_f32 v[52:53], v[52:53], v[36:37], v[72:73] op_sel:[1,1,0] op_sel_hi:[0,1,1] neg_lo:[1,0,0]
	v_xor_b32_e32 v72, 0x80000000, v55
	v_pk_fma_f32 v[52:53], v[54:55], v[38:39], v[52:53] op_sel_hi:[1,0,1]
	v_mov_b32_e32 v73, v54
	v_mov_b32_e32 v54, v39
	v_xor_b32_e32 v22, 0x80000000, v47
	v_pk_fma_f32 v[20:21], v[46:47], v[38:39], v[20:21] op_sel_hi:[1,0,1]
	v_mov_b32_e32 v23, v46
	v_pk_fma_f32 v[52:53], v[72:73], v[54:55], v[52:53] op_sel_hi:[1,0,1]
	v_pk_fma_f32 v[20:21], v[22:23], v[54:55], v[20:21] op_sel_hi:[1,0,1]
	;; [unrolled: 1-line block ×4, first 2 shown]
	v_pk_fma_f32 v[48:49], v[48:49], v[0:1], v[52:53] op_sel:[1,1,0] op_sel_hi:[0,1,1] neg_lo:[1,0,0]
	v_pk_fma_f32 v[20:21], v[40:41], v[0:1], v[20:21] op_sel:[1,1,0] op_sel_hi:[0,1,1] neg_lo:[1,0,0]
	v_pk_fma_f32 v[48:49], v[50:51], v[2:3], v[48:49] op_sel_hi:[1,0,1]
	v_mov_b32_e32 v53, v50
	v_mov_b32_e32 v50, v3
	v_xor_b32_e32 v22, 0x80000000, v43
	v_pk_fma_f32 v[20:21], v[42:43], v[2:3], v[20:21] op_sel_hi:[1,0,1]
	v_mov_b32_e32 v23, v42
	v_pk_fma_f32 v[74:75], v[22:23], v[50:51], v[20:21] op_sel_hi:[1,0,1]
	v_xor_b32_e32 v20, 0x80000000, v19
	v_mov_b32_e32 v21, v18
	v_pk_fma_f32 v[32:33], v[20:21], v[70:71], v[16:17] op_sel_hi:[1,0,1]
	global_load_dwordx4 v[16:19], v[4:5], off offset:2160
	global_load_dwordx4 v[20:23], v[4:5], off offset:2144
	;; [unrolled: 1-line block ×4, first 2 shown]
	v_xor_b32_e32 v52, 0x80000000, v51
	v_pk_fma_f32 v[76:77], v[52:53], v[50:51], v[48:49] op_sel_hi:[1,0,1]
	s_waitcnt vmcnt(0)
	v_pk_fma_f32 v[4:5], v[44:45], v[36:37], v[32:33] op_sel_hi:[1,0,1]
	v_pk_fma_f32 v[4:5], v[44:45], v[36:37], v[4:5] op_sel:[1,1,0] op_sel_hi:[0,1,1] neg_lo:[1,0,0]
	v_xor_b32_e32 v32, 0x80000000, v47
	v_pk_fma_f32 v[4:5], v[46:47], v[38:39], v[4:5] op_sel_hi:[1,0,1]
	v_mov_b32_e32 v33, v46
	v_pk_fma_f32 v[4:5], v[32:33], v[54:55], v[4:5] op_sel_hi:[1,0,1]
	v_pk_fma_f32 v[4:5], v[40:41], v[0:1], v[4:5] op_sel_hi:[1,0,1]
	v_pk_fma_f32 v[4:5], v[40:41], v[0:1], v[4:5] op_sel:[1,1,0] op_sel_hi:[0,1,1] neg_lo:[1,0,0]
	v_xor_b32_e32 v32, 0x80000000, v43
	v_pk_fma_f32 v[4:5], v[42:43], v[2:3], v[4:5] op_sel_hi:[1,0,1]
	v_mov_b32_e32 v33, v42
	v_pk_fma_f32 v[72:73], v[32:33], v[50:51], v[4:5] op_sel_hi:[1,0,1]
	v_pk_fma_f32 v[4:5], v[12:13], v[8:9], v[6:7] op_sel:[1,1,0] op_sel_hi:[0,1,1] neg_lo:[1,0,0]
	v_xor_b32_e32 v6, 0x80000000, v15
	v_pk_fma_f32 v[4:5], v[14:15], v[10:11], v[4:5] op_sel_hi:[1,0,1]
	v_mov_b32_e32 v7, v14
	v_pk_fma_f32 v[4:5], v[6:7], v[70:71], v[4:5] op_sel_hi:[1,0,1]
	v_pk_fma_f32 v[4:5], v[20:21], v[36:37], v[4:5] op_sel_hi:[1,0,1]
	v_pk_fma_f32 v[4:5], v[20:21], v[36:37], v[4:5] op_sel:[1,1,0] op_sel_hi:[0,1,1] neg_lo:[1,0,0]
	v_xor_b32_e32 v6, 0x80000000, v23
	v_pk_fma_f32 v[4:5], v[22:23], v[38:39], v[4:5] op_sel_hi:[1,0,1]
	v_mov_b32_e32 v7, v22
	v_pk_fma_f32 v[4:5], v[6:7], v[54:55], v[4:5] op_sel_hi:[1,0,1]
	;; [unrolled: 6-line block ×3, first 2 shown]
	s_andn2_b64 exec, exec, s[14:15]
	s_cbranch_execnz .LBB52_29
; %bb.30:
	s_or_b64 exec, exec, s[14:15]
.LBB52_31:
	s_or_b64 exec, exec, s[10:11]
.LBB52_32:
	s_or_b64 exec, exec, s[8:9]
	s_cbranch_execz .LBB52_34
	s_branch .LBB52_45
.LBB52_33:
                                        ; implicit-def: $vgpr77
                                        ; implicit-def: $vgpr71
                                        ; implicit-def: $vgpr73
                                        ; implicit-def: $vgpr75
.LBB52_34:
	v_mov_b32_e32 v77, 0
	v_mov_b32_e32 v76, 0
	;; [unrolled: 1-line block ×8, first 2 shown]
	s_and_saveexec_b64 s[8:9], s[0:1]
	s_cbranch_execz .LBB52_44
; %bb.35:
	v_or_b32_e32 v0, 16, v62
	v_mov_b32_e32 v1, s19
	v_subrev_co_u32_e32 v0, vcc, s16, v0
	v_subb_co_u32_e32 v1, vcc, 0, v1, vcc
	v_add_co_u32_e32 v0, vcc, v0, v24
	v_addc_co_u32_e32 v1, vcc, v1, v25, vcc
	v_cmp_gt_i64_e32 vcc, v[0:1], v[66:67]
	v_cndmask_b32_e32 v1, v67, v1, vcc
	v_cndmask_b32_e32 v0, v66, v0, vcc
	v_mov_b32_e32 v4, s19
	v_sub_co_u32_e32 v5, vcc, s16, v62
	v_not_b32_e32 v3, v24
	v_subbrev_co_u32_e32 v4, vcc, 0, v4, vcc
	v_not_b32_e32 v2, v25
	v_add_co_u32_e32 v3, vcc, v5, v3
	v_addc_co_u32_e32 v2, vcc, v4, v2, vcc
	v_add_co_u32_e32 v0, vcc, v3, v0
	v_addc_co_u32_e32 v1, vcc, v2, v1, vcc
	v_lshrrev_b32_e32 v2, 4, v0
	v_add_u32_e32 v2, 1, v2
	v_and_b32_e32 v2, 3, v2
	v_mov_b32_e32 v75, 0
	v_cmp_ne_u32_e32 vcc, 0, v2
	v_mov_b32_e32 v74, v75
	v_mov_b32_e32 v73, v75
	;; [unrolled: 1-line block ×7, first 2 shown]
	s_and_saveexec_b64 s[2:3], vcc
	s_cbranch_execz .LBB52_39
; %bb.36:
	v_lshlrev_b64 v[4:5], 3, v[64:65]
	v_mov_b32_e32 v3, 0
	v_mov_b32_e32 v6, s13
	v_add_co_u32_e32 v4, vcc, s12, v4
	v_addc_co_u32_e32 v5, vcc, v6, v5, vcc
	v_lshlrev_b32_e32 v2, 3, v2
	s_mov_b64 s[10:11], 0
	s_movk_i32 s14, 0x800
	v_mov_b32_e32 v6, s19
	v_mov_b32_e32 v7, s7
	;; [unrolled: 1-line block ×10, first 2 shown]
.LBB52_37:                              ; =>This Inner Loop Header: Depth=1
	global_load_dwordx2 v[36:37], v[4:5], off
	global_load_dwordx4 v[8:11], v[68:69], off offset:48
	global_load_dwordx4 v[12:15], v[68:69], off offset:32
	;; [unrolled: 1-line block ×3, first 2 shown]
	global_load_dwordx4 v[20:23], v[68:69], off
	global_load_dwordx4 v[24:27], v[68:69], off offset:96
	global_load_dwordx4 v[28:31], v[68:69], off offset:80
	;; [unrolled: 1-line block ×3, first 2 shown]
	v_add_co_u32_e64 v64, s[0:1], 16, v64
	v_addc_co_u32_e64 v65, s[0:1], 0, v65, s[0:1]
	v_add_co_u32_e64 v2, s[0:1], -8, v2
	v_addc_co_u32_e64 v3, s[0:1], -1, v3, s[0:1]
	v_cmp_eq_u64_e64 s[0:1], 0, v[2:3]
	s_or_b64 s[10:11], s[0:1], s[10:11]
	s_waitcnt vmcnt(7)
	v_subrev_co_u32_e32 v36, vcc, s16, v36
	v_subb_co_u32_e32 v37, vcc, v37, v6, vcc
	v_lshlrev_b64 v[36:37], 5, v[36:37]
	v_add_co_u32_e32 v48, vcc, s6, v36
	v_addc_co_u32_e32 v49, vcc, v7, v37, vcc
	global_load_dwordx4 v[36:39], v[48:49], off offset:16
	global_load_dwordx4 v[40:43], v[48:49], off
	global_load_dwordx4 v[44:47], v[68:69], off offset:112
	s_waitcnt vmcnt(6)
	v_xor_b32_e32 v48, 0x80000000, v23
	v_mov_b32_e32 v49, v22
	v_xor_b32_e32 v78, 0x80000000, v19
	v_mov_b32_e32 v79, v18
	;; [unrolled: 2-line block ×4, first 2 shown]
	v_add_co_u32_e32 v68, vcc, s14, v68
	s_waitcnt vmcnt(3)
	v_xor_b32_e32 v52, 0x80000000, v35
	v_mov_b32_e32 v53, v34
	v_xor_b32_e32 v82, 0x80000000, v31
	v_mov_b32_e32 v83, v30
	v_addc_co_u32_e32 v69, vcc, 0, v69, vcc
	v_add_co_u32_e32 v4, vcc, 0x80, v4
	v_xor_b32_e32 v54, 0x80000000, v27
	v_mov_b32_e32 v55, v26
	v_addc_co_u32_e32 v5, vcc, 0, v5, vcc
	s_waitcnt vmcnt(2)
	v_mov_b32_e32 v88, v39
	s_waitcnt vmcnt(1)
	v_pk_fma_f32 v[76:77], v[20:21], v[40:41], v[76:77] op_sel_hi:[1,0,1]
	v_pk_fma_f32 v[22:23], v[22:23], v[40:41], v[74:75] op_sel_hi:[1,0,1]
	;; [unrolled: 1-line block ×4, first 2 shown]
	v_pk_fma_f32 v[20:21], v[20:21], v[40:41], v[76:77] op_sel:[1,1,0] op_sel_hi:[0,1,1] neg_lo:[1,0,0]
	v_pk_fma_f32 v[22:23], v[48:49], v[40:41], v[22:23] op_sel:[0,1,0]
	v_pk_fma_f32 v[16:17], v[16:17], v[40:41], v[72:73] op_sel:[1,1,0] op_sel_hi:[0,1,1] neg_lo:[1,0,0]
	v_pk_fma_f32 v[18:19], v[78:79], v[40:41], v[18:19] op_sel:[0,1,0]
	v_mov_b32_e32 v86, v43
	v_pk_fma_f32 v[20:21], v[12:13], v[42:43], v[20:21] op_sel_hi:[1,0,1]
	v_pk_fma_f32 v[14:15], v[14:15], v[42:43], v[22:23] op_sel_hi:[1,0,1]
	;; [unrolled: 1-line block ×4, first 2 shown]
	v_pk_fma_f32 v[12:13], v[12:13], v[86:87], v[20:21] op_sel:[1,0,0] op_sel_hi:[0,0,1] neg_lo:[1,0,0]
	v_pk_fma_f32 v[14:15], v[50:51], v[86:87], v[14:15] op_sel_hi:[1,0,1]
	v_pk_fma_f32 v[8:9], v[8:9], v[86:87], v[16:17] op_sel:[1,0,0] op_sel_hi:[0,0,1] neg_lo:[1,0,0]
	v_pk_fma_f32 v[10:11], v[80:81], v[86:87], v[10:11] op_sel_hi:[1,0,1]
	v_pk_fma_f32 v[12:13], v[32:33], v[36:37], v[12:13] op_sel_hi:[1,0,1]
	;; [unrolled: 1-line block ×5, first 2 shown]
	v_pk_fma_f32 v[12:13], v[32:33], v[36:37], v[12:13] op_sel:[1,1,0] op_sel_hi:[0,1,1] neg_lo:[1,0,0]
	v_pk_fma_f32 v[14:15], v[52:53], v[36:37], v[14:15] op_sel:[0,1,0]
	v_pk_fma_f32 v[8:9], v[28:29], v[36:37], v[8:9] op_sel:[1,1,0] op_sel_hi:[0,1,1] neg_lo:[1,0,0]
	v_pk_fma_f32 v[10:11], v[82:83], v[36:37], v[10:11] op_sel:[0,1,0]
	s_waitcnt vmcnt(0)
	v_xor_b32_e32 v84, 0x80000000, v47
	v_mov_b32_e32 v85, v46
	v_pk_fma_f32 v[12:13], v[24:25], v[38:39], v[12:13] op_sel_hi:[1,0,1]
	v_pk_fma_f32 v[14:15], v[26:27], v[38:39], v[14:15] op_sel_hi:[1,0,1]
	;; [unrolled: 1-line block ×4, first 2 shown]
	v_pk_fma_f32 v[76:77], v[24:25], v[88:89], v[12:13] op_sel:[1,0,0] op_sel_hi:[0,0,1] neg_lo:[1,0,0]
	v_pk_fma_f32 v[74:75], v[54:55], v[88:89], v[14:15] op_sel_hi:[1,0,1]
	v_pk_fma_f32 v[72:73], v[44:45], v[88:89], v[8:9] op_sel:[1,0,0] op_sel_hi:[0,0,1] neg_lo:[1,0,0]
	v_pk_fma_f32 v[70:71], v[84:85], v[88:89], v[10:11] op_sel_hi:[1,0,1]
	s_andn2_b64 exec, exec, s[10:11]
	s_cbranch_execnz .LBB52_37
; %bb.38:
	s_or_b64 exec, exec, s[10:11]
.LBB52_39:
	s_or_b64 exec, exec, s[2:3]
	v_cmp_lt_u64_e32 vcc, 47, v[0:1]
	s_and_saveexec_b64 s[10:11], vcc
	s_cbranch_execz .LBB52_43
; %bb.40:
	v_lshlrev_b64 v[0:1], 3, v[64:65]
	v_mov_b32_e32 v2, s13
	v_add_co_u32_e32 v0, vcc, s12, v0
	v_addc_co_u32_e32 v1, vcc, v1, v2, vcc
	v_add_co_u32_e32 v78, vcc, 0x100, v0
	v_addc_co_u32_e32 v79, vcc, 0, v1, vcc
	s_mov_b64 s[12:13], 0
	v_mov_b32_e32 v63, s19
	v_mov_b32_e32 v88, s7
	s_movk_i32 s7, 0x1000
.LBB52_41:                              ; =>This Inner Loop Header: Depth=1
	global_load_dwordx4 v[52:55], v[68:69], off
	global_load_dwordx2 v[82:83], v[78:79], off offset:-256
	global_load_dwordx4 v[48:51], v[68:69], off offset:16
	global_load_dwordx4 v[36:39], v[68:69], off offset:48
	;; [unrolled: 1-line block ×13, first 2 shown]
	global_load_dwordx2 v[86:87], v[78:79], off offset:-128
	global_load_dwordx2 v[80:81], v[78:79], off
	global_load_dwordx2 v[84:85], v[78:79], off offset:128
	s_waitcnt vmcnt(17)
	v_xor_b32_e32 v98, 0x80000000, v55
	s_waitcnt vmcnt(16)
	v_subrev_co_u32_e32 v82, vcc, s16, v82
	v_subb_co_u32_e32 v83, vcc, v83, v63, vcc
	v_lshlrev_b64 v[82:83], 5, v[82:83]
	v_add_co_u32_e32 v82, vcc, s6, v82
	v_addc_co_u32_e32 v83, vcc, v88, v83, vcc
	global_load_dwordx4 v[90:93], v[82:83], off
	global_load_dwordx4 v[94:97], v[82:83], off offset:16
	v_mov_b32_e32 v99, v54
	s_waitcnt vmcnt(17)
	v_xor_b32_e32 v82, 0x80000000, v51
	v_mov_b32_e32 v83, v50
	s_waitcnt vmcnt(7)
	v_xor_b32_e32 v102, 0x80000000, v23
	s_waitcnt vmcnt(4)
	v_subrev_co_u32_e64 v86, s[2:3], s16, v86
	v_subb_co_u32_e64 v87, s[2:3], v87, v63, s[2:3]
	v_mov_b32_e32 v103, v22
	v_add_co_u32_e32 v78, vcc, 0x200, v78
	s_mov_b64 s[0:1], vcc
	v_addc_co_u32_e64 v79, s[0:1], 0, v79, s[0:1]
	s_waitcnt vmcnt(1)
	v_pk_fma_f32 v[76:77], v[52:53], v[90:91], v[76:77] op_sel_hi:[1,0,1]
	v_pk_fma_f32 v[74:75], v[54:55], v[90:91], v[74:75] op_sel_hi:[1,0,1]
	;; [unrolled: 1-line block ×4, first 2 shown]
	v_pk_fma_f32 v[76:77], v[52:53], v[90:91], v[76:77] op_sel:[1,1,0] op_sel_hi:[0,1,1] neg_lo:[1,0,0]
	v_pk_fma_f32 v[100:101], v[48:49], v[90:91], v[72:73] op_sel:[1,1,0] op_sel_hi:[0,1,1] neg_lo:[1,0,0]
	v_pk_fma_f32 v[74:75], v[98:99], v[90:91], v[74:75] op_sel:[0,1,0]
	v_pk_fma_f32 v[50:51], v[82:83], v[90:91], v[50:51] op_sel:[0,1,0]
	v_xor_b32_e32 v82, 0x80000000, v43
	v_mov_b32_e32 v83, v42
	v_pk_fma_f32 v[76:77], v[40:41], v[92:93], v[76:77] op_sel_hi:[1,0,1]
	v_pk_fma_f32 v[74:75], v[42:43], v[92:93], v[74:75] op_sel_hi:[1,0,1]
	;; [unrolled: 1-line block ×4, first 2 shown]
	v_mov_b32_e32 v92, v93
	v_pk_fma_f32 v[98:99], v[40:41], v[92:93], v[76:77] op_sel:[1,0,0] op_sel_hi:[0,0,1] neg_lo:[1,0,0]
	v_xor_b32_e32 v76, 0x80000000, v39
	v_mov_b32_e32 v77, v38
	v_pk_fma_f32 v[82:83], v[82:83], v[92:93], v[74:75] op_sel_hi:[1,0,1]
	v_pk_fma_f32 v[90:91], v[36:37], v[92:93], v[90:91] op_sel:[1,0,0] op_sel_hi:[0,0,1] neg_lo:[1,0,0]
	v_pk_fma_f32 v[50:51], v[76:77], v[92:93], v[50:51] op_sel_hi:[1,0,1]
	v_xor_b32_e32 v92, 0x80000000, v47
	v_mov_b32_e32 v93, v46
	s_waitcnt vmcnt(0)
	v_pk_fma_f32 v[82:83], v[46:47], v[94:95], v[82:83] op_sel_hi:[1,0,1]
	v_pk_fma_f32 v[98:99], v[44:45], v[94:95], v[98:99] op_sel_hi:[1,0,1]
	v_pk_fma_f32 v[82:83], v[92:93], v[94:95], v[82:83] op_sel:[0,1,0]
	v_xor_b32_e32 v92, 0x80000000, v35
	v_mov_b32_e32 v93, v34
	v_pk_fma_f32 v[90:91], v[32:33], v[94:95], v[90:91] op_sel_hi:[1,0,1]
	v_pk_fma_f32 v[50:51], v[34:35], v[94:95], v[50:51] op_sel_hi:[1,0,1]
	v_pk_fma_f32 v[98:99], v[44:45], v[94:95], v[98:99] op_sel:[1,1,0] op_sel_hi:[0,1,1] neg_lo:[1,0,0]
	v_pk_fma_f32 v[90:91], v[32:33], v[94:95], v[90:91] op_sel:[1,1,0] op_sel_hi:[0,1,1] neg_lo:[1,0,0]
	v_pk_fma_f32 v[50:51], v[92:93], v[94:95], v[50:51] op_sel:[0,1,0]
	v_pk_fma_f32 v[94:95], v[28:29], v[96:97], v[98:99] op_sel_hi:[1,0,1]
	v_pk_fma_f32 v[82:83], v[30:31], v[96:97], v[82:83] op_sel_hi:[1,0,1]
	;; [unrolled: 1-line block ×4, first 2 shown]
	v_mov_b32_e32 v96, v97
	v_pk_fma_f32 v[100:101], v[24:25], v[96:97], v[90:91] op_sel:[1,0,0] op_sel_hi:[0,0,1] neg_lo:[1,0,0]
	v_lshlrev_b64 v[24:25], 5, v[86:87]
	v_add_co_u32_e64 v86, s[2:3], s6, v24
	v_addc_co_u32_e64 v87, s[2:3], v88, v25, s[2:3]
	v_xor_b32_e32 v98, 0x80000000, v27
	v_mov_b32_e32 v99, v26
	global_load_dwordx4 v[24:27], v[86:87], off
	v_xor_b32_e32 v92, 0x80000000, v31
	v_mov_b32_e32 v93, v30
	global_load_dwordx4 v[52:55], v[68:69], off offset:2128
	global_load_dwordx4 v[70:73], v[68:69], off offset:2112
	v_pk_fma_f32 v[82:83], v[92:93], v[96:97], v[82:83] op_sel_hi:[1,0,1]
	global_load_dwordx4 v[90:93], v[86:87], off offset:16
	v_pk_fma_f32 v[94:95], v[28:29], v[96:97], v[94:95] op_sel:[1,0,0] op_sel_hi:[0,0,1] neg_lo:[1,0,0]
	v_pk_fma_f32 v[50:51], v[98:99], v[96:97], v[50:51] op_sel_hi:[1,0,1]
	v_xor_b32_e32 v98, 0x80000000, v15
	v_mov_b32_e32 v99, v14
	v_add_co_u32_e32 v48, vcc, s7, v68
	v_addc_co_u32_e32 v49, vcc, 0, v69, vcc
	global_load_dwordx4 v[74:77], v[48:49], off
	global_load_dwordx4 v[44:47], v[48:49], off offset:16
	global_load_dwordx4 v[40:43], v[48:49], off offset:48
	;; [unrolled: 1-line block ×5, first 2 shown]
	v_add_co_u32_e32 v64, vcc, 64, v64
	v_addc_co_u32_e32 v65, vcc, 0, v65, vcc
	v_add_co_u32_e32 v68, vcc, 0x2000, v68
	v_addc_co_u32_e32 v69, vcc, 0, v69, vcc
	v_cmp_ge_i64_e64 s[0:1], v[64:65], v[66:67]
	s_or_b64 s[12:13], s[0:1], s[12:13]
	s_waitcnt vmcnt(9)
	v_pk_fma_f32 v[86:87], v[20:21], v[24:25], v[94:95] op_sel_hi:[1,0,1]
	v_pk_fma_f32 v[82:83], v[22:23], v[24:25], v[82:83] op_sel_hi:[1,0,1]
	;; [unrolled: 1-line block ×4, first 2 shown]
	v_pk_fma_f32 v[86:87], v[20:21], v[24:25], v[86:87] op_sel:[1,1,0] op_sel_hi:[0,1,1] neg_lo:[1,0,0]
	v_pk_fma_f32 v[50:51], v[12:13], v[24:25], v[94:95] op_sel:[1,1,0] op_sel_hi:[0,1,1] neg_lo:[1,0,0]
	v_pk_fma_f32 v[82:83], v[102:103], v[24:25], v[82:83] op_sel:[0,1,0]
	v_pk_fma_f32 v[24:25], v[98:99], v[24:25], v[14:15] op_sel:[0,1,0]
	v_pk_fma_f32 v[86:87], v[4:5], v[26:27], v[86:87] op_sel_hi:[1,0,1]
	v_pk_fma_f32 v[82:83], v[6:7], v[26:27], v[82:83] op_sel_hi:[1,0,1]
	;; [unrolled: 1-line block ×4, first 2 shown]
	v_mov_b32_e32 v26, v27
	v_xor_b32_e32 v98, 0x80000000, v7
	v_mov_b32_e32 v99, v6
	v_pk_fma_f32 v[86:87], v[4:5], v[26:27], v[86:87] op_sel:[1,0,0] op_sel_hi:[0,0,1] neg_lo:[1,0,0]
	v_xor_b32_e32 v100, 0x80000000, v3
	v_mov_b32_e32 v101, v2
	v_pk_fma_f32 v[82:83], v[98:99], v[26:27], v[82:83] op_sel_hi:[1,0,1]
	v_pk_fma_f32 v[50:51], v[0:1], v[26:27], v[50:51] op_sel:[1,0,0] op_sel_hi:[0,0,1] neg_lo:[1,0,0]
	v_pk_fma_f32 v[98:99], v[100:101], v[26:27], v[24:25] op_sel_hi:[1,0,1]
	s_waitcnt vmcnt(7)
	v_xor_b32_e32 v100, 0x80000000, v73
	v_mov_b32_e32 v101, v72
	s_waitcnt vmcnt(6)
	v_pk_fma_f32 v[24:25], v[70:71], v[90:91], v[86:87] op_sel_hi:[1,0,1]
	v_pk_fma_f32 v[72:73], v[72:73], v[90:91], v[82:83] op_sel_hi:[1,0,1]
	v_pk_fma_f32 v[82:83], v[70:71], v[90:91], v[24:25] op_sel:[1,1,0] op_sel_hi:[0,1,1] neg_lo:[1,0,0]
	v_xor_b32_e32 v70, 0x80000000, v55
	v_mov_b32_e32 v71, v54
	v_pk_fma_f32 v[50:51], v[52:53], v[90:91], v[50:51] op_sel_hi:[1,0,1]
	v_pk_fma_f32 v[54:55], v[54:55], v[90:91], v[98:99] op_sel_hi:[1,0,1]
	v_pk_fma_f32 v[98:99], v[100:101], v[90:91], v[72:73] op_sel:[0,1,0]
	v_pk_fma_f32 v[86:87], v[52:53], v[90:91], v[50:51] op_sel:[1,1,0] op_sel_hi:[0,1,1] neg_lo:[1,0,0]
	v_pk_fma_f32 v[54:55], v[70:71], v[90:91], v[54:55] op_sel:[0,1,0]
	v_pk_fma_f32 v[90:91], v[18:19], v[92:93], v[98:99] op_sel_hi:[1,0,1]
	v_mov_b32_e32 v99, v18
	v_subrev_co_u32_e64 v18, s[2:3], s16, v80
	v_xor_b32_e32 v98, 0x80000000, v19
	v_subb_co_u32_e64 v19, s[2:3], v81, v63, s[2:3]
	v_lshlrev_b64 v[18:19], 5, v[18:19]
	v_pk_fma_f32 v[82:83], v[16:17], v[92:93], v[82:83] op_sel_hi:[1,0,1]
	v_pk_fma_f32 v[86:87], v[8:9], v[92:93], v[86:87] op_sel_hi:[1,0,1]
	;; [unrolled: 1-line block ×3, first 2 shown]
	v_mov_b32_e32 v92, v93
	v_add_co_u32_e64 v102, s[2:3], s6, v18
	v_pk_fma_f32 v[100:101], v[16:17], v[92:93], v[82:83] op_sel:[1,0,0] op_sel_hi:[0,0,1] neg_lo:[1,0,0]
	v_xor_b32_e32 v16, 0x80000000, v11
	v_mov_b32_e32 v17, v10
	v_addc_co_u32_e64 v103, s[2:3], v88, v19, s[2:3]
	global_load_dwordx4 v[20:23], v[48:49], off offset:80
	global_load_dwordx4 v[94:97], v[48:49], off offset:64
	;; [unrolled: 1-line block ×8, first 2 shown]
	v_pk_fma_f32 v[86:87], v[8:9], v[92:93], v[86:87] op_sel:[1,0,0] op_sel_hi:[0,0,1] neg_lo:[1,0,0]
	global_load_dwordx4 v[8:11], v[48:49], off offset:2112
	v_pk_fma_f32 v[54:55], v[16:17], v[92:93], v[54:55] op_sel_hi:[1,0,1]
	global_load_dwordx4 v[16:19], v[102:103], off
	global_load_dwordx4 v[80:83], v[102:103], off offset:16
	v_pk_fma_f32 v[90:91], v[98:99], v[92:93], v[90:91] op_sel_hi:[1,0,1]
	s_waitcnt vmcnt(16)
	v_xor_b32_e32 v104, 0x80000000, v77
	v_mov_b32_e32 v105, v76
	s_waitcnt vmcnt(1)
	v_pk_fma_f32 v[92:93], v[74:75], v[16:17], v[100:101] op_sel_hi:[1,0,1]
	v_pk_fma_f32 v[90:91], v[76:77], v[16:17], v[90:91] op_sel_hi:[1,0,1]
	v_pk_fma_f32 v[92:93], v[74:75], v[16:17], v[92:93] op_sel:[1,1,0] op_sel_hi:[0,1,1] neg_lo:[1,0,0]
	global_load_dwordx4 v[74:77], v[48:49], off offset:2144
	v_subrev_co_u32_e32 v48, vcc, s16, v84
	v_subb_co_u32_e32 v49, vcc, v85, v63, vcc
	v_lshlrev_b64 v[48:49], 5, v[48:49]
	v_add_co_u32_e32 v48, vcc, s6, v48
	v_pk_fma_f32 v[86:87], v[44:45], v[16:17], v[86:87] op_sel_hi:[1,0,1]
	v_addc_co_u32_e32 v49, vcc, v88, v49, vcc
	v_xor_b32_e32 v84, 0x80000000, v47
	v_mov_b32_e32 v85, v46
	v_pk_fma_f32 v[54:55], v[46:47], v[16:17], v[54:55] op_sel_hi:[1,0,1]
	v_pk_fma_f32 v[98:99], v[44:45], v[16:17], v[86:87] op_sel:[1,1,0] op_sel_hi:[0,1,1] neg_lo:[1,0,0]
	global_load_dwordx4 v[44:47], v[48:49], off
	v_pk_fma_f32 v[90:91], v[104:105], v[16:17], v[90:91] op_sel:[0,1,0]
	v_pk_fma_f32 v[16:17], v[84:85], v[16:17], v[54:55] op_sel:[0,1,0]
	global_load_dwordx4 v[84:87], v[48:49], off offset:16
	v_xor_b32_e32 v100, 0x80000000, v39
	v_mov_b32_e32 v101, v38
	v_pk_fma_f32 v[48:49], v[36:37], v[18:19], v[92:93] op_sel_hi:[1,0,1]
	v_pk_fma_f32 v[38:39], v[38:39], v[18:19], v[90:91] op_sel_hi:[1,0,1]
	;; [unrolled: 1-line block ×4, first 2 shown]
	v_mov_b32_e32 v18, v19
	v_xor_b32_e32 v90, 0x80000000, v43
	v_mov_b32_e32 v91, v42
	v_pk_fma_f32 v[36:37], v[36:37], v[18:19], v[48:49] op_sel:[1,0,0] op_sel_hi:[0,0,1] neg_lo:[1,0,0]
	v_pk_fma_f32 v[40:41], v[40:41], v[18:19], v[54:55] op_sel:[1,0,0] op_sel_hi:[0,0,1] neg_lo:[1,0,0]
	v_pk_fma_f32 v[38:39], v[100:101], v[18:19], v[38:39] op_sel_hi:[1,0,1]
	v_pk_fma_f32 v[16:17], v[90:91], v[18:19], v[16:17] op_sel_hi:[1,0,1]
	v_xor_b32_e32 v42, 0x80000000, v97
	v_xor_b32_e32 v48, 0x80000000, v23
	v_mov_b32_e32 v43, v96
	v_mov_b32_e32 v49, v22
	s_waitcnt vmcnt(3)
	v_pk_fma_f32 v[36:37], v[94:95], v[80:81], v[36:37] op_sel_hi:[1,0,1]
	v_pk_fma_f32 v[38:39], v[96:97], v[80:81], v[38:39] op_sel_hi:[1,0,1]
	;; [unrolled: 1-line block ×4, first 2 shown]
	v_pk_fma_f32 v[36:37], v[94:95], v[80:81], v[36:37] op_sel:[1,1,0] op_sel_hi:[0,1,1] neg_lo:[1,0,0]
	v_pk_fma_f32 v[20:21], v[20:21], v[80:81], v[40:41] op_sel:[1,1,0] op_sel_hi:[0,1,1] neg_lo:[1,0,0]
	v_pk_fma_f32 v[38:39], v[42:43], v[80:81], v[38:39] op_sel:[0,1,0]
	v_pk_fma_f32 v[16:17], v[48:49], v[80:81], v[16:17] op_sel:[0,1,0]
	v_xor_b32_e32 v54, 0x80000000, v31
	v_mov_b32_e32 v55, v30
	v_xor_b32_e32 v94, 0x80000000, v35
	v_mov_b32_e32 v95, v34
	v_mov_b32_e32 v48, v83
	v_pk_fma_f32 v[36:37], v[28:29], v[82:83], v[36:37] op_sel_hi:[1,0,1]
	v_pk_fma_f32 v[30:31], v[30:31], v[82:83], v[38:39] op_sel_hi:[1,0,1]
	;; [unrolled: 1-line block ×4, first 2 shown]
	v_pk_fma_f32 v[28:29], v[28:29], v[48:49], v[36:37] op_sel:[1,0,0] op_sel_hi:[0,0,1] neg_lo:[1,0,0]
	v_pk_fma_f32 v[20:21], v[32:33], v[48:49], v[20:21] op_sel:[1,0,0] op_sel_hi:[0,0,1] neg_lo:[1,0,0]
	v_pk_fma_f32 v[30:31], v[54:55], v[48:49], v[30:31] op_sel_hi:[1,0,1]
	v_pk_fma_f32 v[16:17], v[94:95], v[48:49], v[16:17] op_sel_hi:[1,0,1]
	v_xor_b32_e32 v92, 0x80000000, v27
	v_mov_b32_e32 v93, v26
	v_xor_b32_e32 v96, 0x80000000, v7
	v_mov_b32_e32 v97, v6
	;; [unrolled: 2-line block ×7, first 2 shown]
	s_waitcnt vmcnt(2)
	v_xor_b32_e32 v90, 0x80000000, v77
	v_mov_b32_e32 v91, v76
	s_waitcnt vmcnt(1)
	v_pk_fma_f32 v[28:29], v[24:25], v[44:45], v[28:29] op_sel_hi:[1,0,1]
	v_pk_fma_f32 v[26:27], v[26:27], v[44:45], v[30:31] op_sel_hi:[1,0,1]
	;; [unrolled: 1-line block ×4, first 2 shown]
	v_pk_fma_f32 v[16:17], v[24:25], v[44:45], v[28:29] op_sel:[1,1,0] op_sel_hi:[0,1,1] neg_lo:[1,0,0]
	v_pk_fma_f32 v[24:25], v[92:93], v[44:45], v[26:27] op_sel:[0,1,0]
	v_pk_fma_f32 v[4:5], v[4:5], v[44:45], v[20:21] op_sel:[1,1,0] op_sel_hi:[0,1,1] neg_lo:[1,0,0]
	v_pk_fma_f32 v[6:7], v[96:97], v[44:45], v[6:7] op_sel:[0,1,0]
	v_mov_b32_e32 v34, v47
	v_pk_fma_f32 v[16:17], v[0:1], v[46:47], v[16:17] op_sel_hi:[1,0,1]
	v_pk_fma_f32 v[2:3], v[2:3], v[46:47], v[24:25] op_sel_hi:[1,0,1]
	;; [unrolled: 1-line block ×4, first 2 shown]
	v_pk_fma_f32 v[0:1], v[0:1], v[34:35], v[16:17] op_sel:[1,0,0] op_sel_hi:[0,0,1] neg_lo:[1,0,0]
	v_pk_fma_f32 v[2:3], v[98:99], v[34:35], v[2:3] op_sel_hi:[1,0,1]
	v_pk_fma_f32 v[4:5], v[12:13], v[34:35], v[4:5] op_sel:[1,0,0] op_sel_hi:[0,0,1] neg_lo:[1,0,0]
	v_pk_fma_f32 v[6:7], v[22:23], v[34:35], v[6:7] op_sel_hi:[1,0,1]
	s_waitcnt vmcnt(0)
	v_pk_fma_f32 v[0:1], v[8:9], v[84:85], v[0:1] op_sel_hi:[1,0,1]
	v_pk_fma_f32 v[2:3], v[10:11], v[84:85], v[2:3] op_sel_hi:[1,0,1]
	;; [unrolled: 1-line block ×4, first 2 shown]
	v_pk_fma_f32 v[0:1], v[8:9], v[84:85], v[0:1] op_sel:[1,1,0] op_sel_hi:[0,1,1] neg_lo:[1,0,0]
	v_pk_fma_f32 v[2:3], v[18:19], v[84:85], v[2:3] op_sel:[0,1,0]
	v_pk_fma_f32 v[4:5], v[70:71], v[84:85], v[4:5] op_sel:[1,1,0] op_sel_hi:[0,1,1] neg_lo:[1,0,0]
	v_pk_fma_f32 v[6:7], v[40:41], v[84:85], v[6:7] op_sel:[0,1,0]
	v_mov_b32_e32 v38, v87
	v_pk_fma_f32 v[0:1], v[74:75], v[86:87], v[0:1] op_sel_hi:[1,0,1]
	v_pk_fma_f32 v[2:3], v[76:77], v[86:87], v[2:3] op_sel_hi:[1,0,1]
	;; [unrolled: 1-line block ×4, first 2 shown]
	v_pk_fma_f32 v[76:77], v[74:75], v[38:39], v[0:1] op_sel:[1,0,0] op_sel_hi:[0,0,1] neg_lo:[1,0,0]
	v_pk_fma_f32 v[74:75], v[90:91], v[38:39], v[2:3] op_sel_hi:[1,0,1]
	v_pk_fma_f32 v[72:73], v[50:51], v[38:39], v[4:5] op_sel:[1,0,0] op_sel_hi:[0,0,1] neg_lo:[1,0,0]
	v_pk_fma_f32 v[70:71], v[42:43], v[38:39], v[6:7] op_sel_hi:[1,0,1]
	s_andn2_b64 exec, exec, s[12:13]
	s_cbranch_execnz .LBB52_41
; %bb.42:
	s_or_b64 exec, exec, s[12:13]
.LBB52_43:
	s_or_b64 exec, exec, s[10:11]
.LBB52_44:
	s_or_b64 exec, exec, s[8:9]
.LBB52_45:
	v_mov_b32_dpp v6, v75 row_shr:1 row_mask:0xf bank_mask:0xf
	v_add_f32_e32 v6, v75, v6
	v_mov_b32_dpp v0, v76 row_shr:1 row_mask:0xf bank_mask:0xf
	v_mov_b32_dpp v2, v77 row_shr:1 row_mask:0xf bank_mask:0xf
	;; [unrolled: 1-line block ×3, first 2 shown]
	v_add_f32_e32 v6, v6, v7
	v_mov_b32_dpp v4, v74 row_shr:1 row_mask:0xf bank_mask:0xf
	v_add_f32_e32 v0, v76, v0
	v_mov_b32_dpp v7, v6 row_shr:4 row_mask:0xf bank_mask:0xe
	;; [unrolled: 2-line block ×3, first 2 shown]
	v_add_f32_e32 v6, v72, v6
	v_add_f32_e32 v2, v77, v2
	;; [unrolled: 1-line block ×3, first 2 shown]
	v_mov_b32_dpp v8, v6 row_shr:2 row_mask:0xf bank_mask:0xf
	v_add_f32_e32 v6, v6, v8
	v_mov_b32_dpp v1, v0 row_shr:2 row_mask:0xf bank_mask:0xf
	v_mov_b32_dpp v3, v2 row_shr:2 row_mask:0xf bank_mask:0xf
	;; [unrolled: 1-line block ×3, first 2 shown]
	v_add_f32_e32 v10, v6, v8
	v_mov_b32_dpp v6, v73 row_shr:1 row_mask:0xf bank_mask:0xf
	v_add_f32_e32 v6, v73, v6
	v_mov_b32_dpp v5, v4 row_shr:2 row_mask:0xf bank_mask:0xf
	;; [unrolled: 2-line block ×3, first 2 shown]
	v_add_f32_e32 v6, v6, v8
	v_add_f32_e32 v2, v2, v3
	;; [unrolled: 1-line block ×3, first 2 shown]
	v_mov_b32_dpp v8, v6 row_shr:4 row_mask:0xf bank_mask:0xe
	v_add_f32_e32 v13, v6, v8
	v_mov_b32_dpp v6, v70 row_shr:1 row_mask:0xf bank_mask:0xf
	v_add_f32_e32 v6, v70, v6
	v_mov_b32_dpp v1, v0 row_shr:4 row_mask:0xf bank_mask:0xe
	v_mov_b32_dpp v3, v2 row_shr:4 row_mask:0xf bank_mask:0xe
	;; [unrolled: 1-line block ×3, first 2 shown]
	v_add_f32_e32 v6, v6, v8
	v_mov_b32_dpp v5, v4 row_shr:4 row_mask:0xf bank_mask:0xe
	v_add_f32_e32 v0, v0, v1
	v_mov_b32_dpp v8, v6 row_shr:4 row_mask:0xf bank_mask:0xe
	;; [unrolled: 2-line block ×3, first 2 shown]
	v_add_f32_e32 v6, v71, v6
	v_add_f32_e32 v2, v2, v3
	v_add_f32_e32 v4, v4, v5
	v_mov_b32_dpp v8, v6 row_shr:2 row_mask:0xf bank_mask:0xf
	v_add_f32_e32 v6, v6, v8
	v_mov_b32_dpp v1, v0 row_shr:8 row_mask:0xf bank_mask:0xc
	v_mov_b32_dpp v3, v2 row_shr:8 row_mask:0xf bank_mask:0xc
	;; [unrolled: 1-line block ×3, first 2 shown]
	v_add_f32_e32 v18, v6, v8
	v_mov_b32_dpp v5, v4 row_shr:8 row_mask:0xf bank_mask:0xc
	v_mov_b32_dpp v9, v7 row_shr:8 row_mask:0xf bank_mask:0xc
	;; [unrolled: 1-line block ×6, first 2 shown]
	v_cmp_eq_u32_e32 vcc, 15, v62
	s_and_b64 exec, exec, vcc
	s_cbranch_execz .LBB52_14
; %bb.46:
	s_load_dwordx2 s[2:3], s[4:5], 0x58
	v_add_f32_e32 v8, v0, v1
	v_and_b32_e32 v1, 0x7fffffff, v58
	v_cmp_eq_u32_e32 vcc, 0, v1
	v_cmp_eq_f32_e64 s[0:1], 0, v59
	v_add_f32_e32 v14, v2, v3
	v_add_f32_e32 v6, v4, v5
	;; [unrolled: 1-line block ×7, first 2 shown]
	s_and_b64 s[0:1], vcc, s[0:1]
	v_lshlrev_b64 v[16:17], 5, v[60:61]
	s_and_saveexec_b64 s[4:5], s[0:1]
	s_xor_b64 s[0:1], exec, s[4:5]
	s_cbranch_execz .LBB52_48
; %bb.47:
	v_xor_b32_e32 v18, 0x80000000, v57
	v_mov_b32_e32 v19, v56
	v_pk_mul_f32 v[14:15], v[14:15], v[18:19] op_sel_hi:[0,1]
	s_waitcnt lgkmcnt(0)
	v_mov_b32_e32 v1, s3
	v_add_co_u32_e32 v20, vcc, s2, v16
	v_pk_fma_f32 v[14:15], v[56:57], v[8:9], v[14:15] op_sel_hi:[1,0,1]
	v_pk_mul_f32 v[8:9], v[12:13], v[18:19] op_sel_hi:[0,1]
	v_addc_co_u32_e32 v21, vcc, v1, v17, vcc
	v_pk_fma_f32 v[16:17], v[56:57], v[6:7], v[8:9] op_sel_hi:[1,0,1]
	v_pk_mul_f32 v[6:7], v[10:11], v[18:19] op_sel_hi:[0,1]
	v_pk_mul_f32 v[4:5], v[4:5], v[18:19] op_sel_hi:[0,1]
	v_pk_fma_f32 v[2:3], v[56:57], v[2:3], v[6:7] op_sel_hi:[1,0,1]
	v_pk_fma_f32 v[4:5], v[56:57], v[0:1], v[4:5] op_sel_hi:[1,0,1]
	global_store_dwordx4 v[20:21], v[14:17], off
	global_store_dwordx4 v[20:21], v[2:5], off offset:16
                                        ; implicit-def: $vgpr57
                                        ; implicit-def: $vgpr58
                                        ; implicit-def: $vgpr8
                                        ; implicit-def: $vgpr14
                                        ; implicit-def: $vgpr6
                                        ; implicit-def: $vgpr12
                                        ; implicit-def: $vgpr2
                                        ; implicit-def: $vgpr10
                                        ; implicit-def: $vgpr0
                                        ; implicit-def: $vgpr4
                                        ; implicit-def: $vgpr16_vgpr17
.LBB52_48:
	s_andn2_saveexec_b64 s[0:1], s[0:1]
	s_cbranch_execz .LBB52_14
; %bb.49:
	s_waitcnt lgkmcnt(0)
	v_mov_b32_e32 v1, s3
	v_add_co_u32_e32 v24, vcc, s2, v16
	v_addc_co_u32_e32 v25, vcc, v1, v17, vcc
	global_load_dwordx4 v[16:19], v[24:25], off
	global_load_dwordx4 v[20:23], v[24:25], off offset:16
	v_xor_b32_e32 v26, 0x80000000, v57
	v_mov_b32_e32 v27, v56
	v_pk_mul_f32 v[14:15], v[14:15], v[26:27] op_sel_hi:[0,1]
	v_pk_mul_f32 v[12:13], v[12:13], v[26:27] op_sel_hi:[0,1]
	;; [unrolled: 1-line block ×4, first 2 shown]
	v_pk_fma_f32 v[8:9], v[56:57], v[8:9], v[14:15] op_sel_hi:[1,0,1]
	v_pk_fma_f32 v[6:7], v[56:57], v[6:7], v[12:13] op_sel_hi:[1,0,1]
	v_xor_b32_e32 v28, 0x80000000, v59
	v_mov_b32_e32 v29, v58
	v_pk_fma_f32 v[2:3], v[56:57], v[2:3], v[10:11] op_sel_hi:[1,0,1]
	v_pk_fma_f32 v[0:1], v[56:57], v[0:1], v[4:5] op_sel_hi:[1,0,1]
	s_waitcnt vmcnt(1)
	v_pk_fma_f32 v[4:5], v[58:59], v[16:17], v[8:9] op_sel_hi:[1,0,1]
	v_pk_fma_f32 v[6:7], v[58:59], v[18:19], v[6:7] op_sel_hi:[1,0,1]
	v_mov_b32_e32 v8, v19
	s_waitcnt vmcnt(0)
	v_pk_fma_f32 v[10:11], v[58:59], v[20:21], v[2:3] op_sel_hi:[1,0,1]
	v_pk_fma_f32 v[12:13], v[58:59], v[22:23], v[0:1] op_sel_hi:[1,0,1]
	v_mov_b32_e32 v14, v23
	v_pk_fma_f32 v[0:1], v[28:29], v[16:17], v[4:5] op_sel:[0,1,0]
	v_pk_fma_f32 v[2:3], v[28:29], v[8:9], v[6:7] op_sel_hi:[1,0,1]
	v_pk_fma_f32 v[4:5], v[28:29], v[20:21], v[10:11] op_sel:[0,1,0]
	v_pk_fma_f32 v[6:7], v[28:29], v[14:15], v[12:13] op_sel_hi:[1,0,1]
	global_store_dwordx4 v[24:25], v[0:3], off
	global_store_dwordx4 v[24:25], v[4:7], off offset:16
	s_endpgm
	.section	.rodata,"a",@progbits
	.p2align	6, 0x0
	.amdhsa_kernel _ZN9rocsparseL18bsrxmvn_4x4_kernelILj128ELj16E21rocsparse_complex_numIfEllS2_S2_S2_EEvT3_20rocsparse_direction_NS_24const_host_device_scalarIT1_EES3_PKS3_PKT2_SC_S9_PKT4_PKT5_S7_PT6_21rocsparse_index_base_b
		.amdhsa_group_segment_fixed_size 0
		.amdhsa_private_segment_fixed_size 0
		.amdhsa_kernarg_size 104
		.amdhsa_user_sgpr_count 6
		.amdhsa_user_sgpr_private_segment_buffer 1
		.amdhsa_user_sgpr_dispatch_ptr 0
		.amdhsa_user_sgpr_queue_ptr 0
		.amdhsa_user_sgpr_kernarg_segment_ptr 1
		.amdhsa_user_sgpr_dispatch_id 0
		.amdhsa_user_sgpr_flat_scratch_init 0
		.amdhsa_user_sgpr_kernarg_preload_length 0
		.amdhsa_user_sgpr_kernarg_preload_offset 0
		.amdhsa_user_sgpr_private_segment_size 0
		.amdhsa_uses_dynamic_stack 0
		.amdhsa_system_sgpr_private_segment_wavefront_offset 0
		.amdhsa_system_sgpr_workgroup_id_x 1
		.amdhsa_system_sgpr_workgroup_id_y 0
		.amdhsa_system_sgpr_workgroup_id_z 0
		.amdhsa_system_sgpr_workgroup_info 0
		.amdhsa_system_vgpr_workitem_id 0
		.amdhsa_next_free_vgpr 106
		.amdhsa_next_free_sgpr 20
		.amdhsa_accum_offset 108
		.amdhsa_reserve_vcc 1
		.amdhsa_reserve_flat_scratch 0
		.amdhsa_float_round_mode_32 0
		.amdhsa_float_round_mode_16_64 0
		.amdhsa_float_denorm_mode_32 3
		.amdhsa_float_denorm_mode_16_64 3
		.amdhsa_dx10_clamp 1
		.amdhsa_ieee_mode 1
		.amdhsa_fp16_overflow 0
		.amdhsa_tg_split 0
		.amdhsa_exception_fp_ieee_invalid_op 0
		.amdhsa_exception_fp_denorm_src 0
		.amdhsa_exception_fp_ieee_div_zero 0
		.amdhsa_exception_fp_ieee_overflow 0
		.amdhsa_exception_fp_ieee_underflow 0
		.amdhsa_exception_fp_ieee_inexact 0
		.amdhsa_exception_int_div_zero 0
	.end_amdhsa_kernel
	.section	.text._ZN9rocsparseL18bsrxmvn_4x4_kernelILj128ELj16E21rocsparse_complex_numIfEllS2_S2_S2_EEvT3_20rocsparse_direction_NS_24const_host_device_scalarIT1_EES3_PKS3_PKT2_SC_S9_PKT4_PKT5_S7_PT6_21rocsparse_index_base_b,"axG",@progbits,_ZN9rocsparseL18bsrxmvn_4x4_kernelILj128ELj16E21rocsparse_complex_numIfEllS2_S2_S2_EEvT3_20rocsparse_direction_NS_24const_host_device_scalarIT1_EES3_PKS3_PKT2_SC_S9_PKT4_PKT5_S7_PT6_21rocsparse_index_base_b,comdat
.Lfunc_end52:
	.size	_ZN9rocsparseL18bsrxmvn_4x4_kernelILj128ELj16E21rocsparse_complex_numIfEllS2_S2_S2_EEvT3_20rocsparse_direction_NS_24const_host_device_scalarIT1_EES3_PKS3_PKT2_SC_S9_PKT4_PKT5_S7_PT6_21rocsparse_index_base_b, .Lfunc_end52-_ZN9rocsparseL18bsrxmvn_4x4_kernelILj128ELj16E21rocsparse_complex_numIfEllS2_S2_S2_EEvT3_20rocsparse_direction_NS_24const_host_device_scalarIT1_EES3_PKS3_PKT2_SC_S9_PKT4_PKT5_S7_PT6_21rocsparse_index_base_b
                                        ; -- End function
	.section	.AMDGPU.csdata,"",@progbits
; Kernel info:
; codeLenInByte = 7316
; NumSgprs: 24
; NumVgprs: 106
; NumAgprs: 0
; TotalNumVgprs: 106
; ScratchSize: 0
; MemoryBound: 0
; FloatMode: 240
; IeeeMode: 1
; LDSByteSize: 0 bytes/workgroup (compile time only)
; SGPRBlocks: 2
; VGPRBlocks: 13
; NumSGPRsForWavesPerEU: 24
; NumVGPRsForWavesPerEU: 106
; AccumOffset: 108
; Occupancy: 4
; WaveLimiterHint : 1
; COMPUTE_PGM_RSRC2:SCRATCH_EN: 0
; COMPUTE_PGM_RSRC2:USER_SGPR: 6
; COMPUTE_PGM_RSRC2:TRAP_HANDLER: 0
; COMPUTE_PGM_RSRC2:TGID_X_EN: 1
; COMPUTE_PGM_RSRC2:TGID_Y_EN: 0
; COMPUTE_PGM_RSRC2:TGID_Z_EN: 0
; COMPUTE_PGM_RSRC2:TIDIG_COMP_CNT: 0
; COMPUTE_PGM_RSRC3_GFX90A:ACCUM_OFFSET: 26
; COMPUTE_PGM_RSRC3_GFX90A:TG_SPLIT: 0
	.section	.text._ZN9rocsparseL18bsrxmvn_4x4_kernelILj128ELj32E21rocsparse_complex_numIfEllS2_S2_S2_EEvT3_20rocsparse_direction_NS_24const_host_device_scalarIT1_EES3_PKS3_PKT2_SC_S9_PKT4_PKT5_S7_PT6_21rocsparse_index_base_b,"axG",@progbits,_ZN9rocsparseL18bsrxmvn_4x4_kernelILj128ELj32E21rocsparse_complex_numIfEllS2_S2_S2_EEvT3_20rocsparse_direction_NS_24const_host_device_scalarIT1_EES3_PKS3_PKT2_SC_S9_PKT4_PKT5_S7_PT6_21rocsparse_index_base_b,comdat
	.globl	_ZN9rocsparseL18bsrxmvn_4x4_kernelILj128ELj32E21rocsparse_complex_numIfEllS2_S2_S2_EEvT3_20rocsparse_direction_NS_24const_host_device_scalarIT1_EES3_PKS3_PKT2_SC_S9_PKT4_PKT5_S7_PT6_21rocsparse_index_base_b ; -- Begin function _ZN9rocsparseL18bsrxmvn_4x4_kernelILj128ELj32E21rocsparse_complex_numIfEllS2_S2_S2_EEvT3_20rocsparse_direction_NS_24const_host_device_scalarIT1_EES3_PKS3_PKT2_SC_S9_PKT4_PKT5_S7_PT6_21rocsparse_index_base_b
	.p2align	8
	.type	_ZN9rocsparseL18bsrxmvn_4x4_kernelILj128ELj32E21rocsparse_complex_numIfEllS2_S2_S2_EEvT3_20rocsparse_direction_NS_24const_host_device_scalarIT1_EES3_PKS3_PKT2_SC_S9_PKT4_PKT5_S7_PT6_21rocsparse_index_base_b,@function
_ZN9rocsparseL18bsrxmvn_4x4_kernelILj128ELj32E21rocsparse_complex_numIfEllS2_S2_S2_EEvT3_20rocsparse_direction_NS_24const_host_device_scalarIT1_EES3_PKS3_PKT2_SC_S9_PKT4_PKT5_S7_PT6_21rocsparse_index_base_b: ; @_ZN9rocsparseL18bsrxmvn_4x4_kernelILj128ELj32E21rocsparse_complex_numIfEllS2_S2_S2_EEvT3_20rocsparse_direction_NS_24const_host_device_scalarIT1_EES3_PKS3_PKT2_SC_S9_PKT4_PKT5_S7_PT6_21rocsparse_index_base_b
; %bb.0:
	s_load_dwordx2 s[16:17], s[4:5], 0x60
	s_load_dwordx4 s[8:11], s[4:5], 0x10
	s_load_dwordx2 s[2:3], s[4:5], 0x50
	s_waitcnt lgkmcnt(0)
	s_bitcmp1_b32 s17, 0
	s_cselect_b64 s[0:1], -1, 0
	s_xor_b64 s[12:13], s[0:1], -1
	s_and_b64 vcc, exec, s[0:1]
	v_mov_b32_e32 v40, s8
	s_cbranch_vccnz .LBB53_2
; %bb.1:
	v_pk_mov_b32 v[2:3], s[8:9], s[8:9] op_sel:[0,1]
	flat_load_dword v40, v[2:3]
.LBB53_2:
	v_cndmask_b32_e64 v1, 0, 1, s[12:13]
	v_cmp_ne_u32_e64 s[0:1], 1, v1
	s_andn2_b64 vcc, exec, s[12:13]
	v_mov_b32_e32 v41, s9
	s_cbranch_vccz .LBB53_15
; %bb.3:
	s_and_b64 vcc, exec, s[0:1]
	v_mov_b32_e32 v42, s2
	s_cbranch_vccz .LBB53_16
.LBB53_4:
	s_and_b64 vcc, exec, s[0:1]
	v_mov_b32_e32 v43, s3
	s_cbranch_vccnz .LBB53_6
.LBB53_5:
	v_pk_mov_b32 v[2:3], s[2:3], s[2:3] op_sel:[0,1]
	flat_load_dword v43, v[2:3] offset:4
.LBB53_6:
	s_waitcnt vmcnt(0) lgkmcnt(0)
	v_and_b32_e32 v1, 0x7fffffff, v40
	v_cmp_eq_u32_e32 vcc, 0, v1
	v_cmp_eq_f32_e64 s[0:1], 0, v41
	s_and_b64 s[8:9], vcc, s[0:1]
	s_mov_b64 s[0:1], -1
	s_and_saveexec_b64 s[2:3], s[8:9]
; %bb.7:
	v_and_b32_e32 v1, 0x7fffffff, v43
	v_cmp_neq_f32_e32 vcc, 1.0, v42
	v_cmp_ne_u32_e64 s[0:1], 0, v1
	s_or_b64 s[0:1], vcc, s[0:1]
	s_orn2_b64 s[0:1], s[0:1], exec
; %bb.8:
	s_or_b64 exec, exec, s[2:3]
	s_and_saveexec_b64 s[2:3], s[0:1]
	s_cbranch_execz .LBB53_14
; %bb.9:
	s_load_dwordx2 s[2:3], s[4:5], 0x20
	v_lshrrev_b32_e32 v1, 5, v0
	v_lshl_or_b32 v2, s6, 2, v1
	v_mov_b32_e32 v3, 0
	s_mov_b64 s[0:1], 0
	s_waitcnt lgkmcnt(0)
	s_cmp_lg_u64 s[2:3], 0
	s_cbranch_scc0 .LBB53_17
; %bb.10:
	v_cmp_gt_i64_e32 vcc, s[10:11], v[2:3]
                                        ; implicit-def: $vgpr44_vgpr45
	s_and_saveexec_b64 s[6:7], vcc
	s_xor_b64 s[6:7], exec, s[6:7]
                                        ; implicit-def: $sgpr18_sgpr19
	s_cbranch_execz .LBB53_12
; %bb.11:
	v_lshlrev_b64 v[4:5], 3, v[2:3]
	v_mov_b32_e32 v1, s3
	v_add_co_u32_e32 v4, vcc, s2, v4
	v_addc_co_u32_e32 v5, vcc, v1, v5, vcc
	global_load_dwordx2 v[4:5], v[4:5], off
	s_mov_b64 s[0:1], exec
	s_mov_b32 s19, 0
	s_waitcnt vmcnt(0)
	v_subrev_co_u32_e32 v44, vcc, s16, v4
	v_subbrev_co_u32_e32 v45, vcc, 0, v5, vcc
.LBB53_12:
	s_or_b64 exec, exec, s[6:7]
.LBB53_13:
	s_and_b64 exec, exec, s[0:1]
	s_cbranch_execnz .LBB53_21
.LBB53_14:
	s_endpgm
.LBB53_15:
	v_pk_mov_b32 v[2:3], s[8:9], s[8:9] op_sel:[0,1]
	flat_load_dword v41, v[2:3] offset:4
	s_and_b64 vcc, exec, s[0:1]
	v_mov_b32_e32 v42, s2
	s_cbranch_vccnz .LBB53_4
.LBB53_16:
	v_pk_mov_b32 v[2:3], s[2:3], s[2:3] op_sel:[0,1]
	flat_load_dword v42, v[2:3]
	s_and_b64 vcc, exec, s[0:1]
	v_mov_b32_e32 v43, s3
	s_cbranch_vccz .LBB53_5
	s_branch .LBB53_6
.LBB53_17:
                                        ; implicit-def: $vgpr44_vgpr45
                                        ; implicit-def: $sgpr18_sgpr19
	s_cbranch_execz .LBB53_13
; %bb.18:
	s_load_dwordx2 s[2:3], s[4:5], 0x0
                                        ; implicit-def: $vgpr44_vgpr45
	s_waitcnt lgkmcnt(0)
	v_cmp_gt_i64_e32 vcc, s[2:3], v[2:3]
	s_and_saveexec_b64 s[2:3], vcc
                                        ; implicit-def: $sgpr18_sgpr19
; %bb.19:
	s_mov_b32 s19, 0
	s_or_b64 s[0:1], s[0:1], exec
	v_pk_mov_b32 v[44:45], v[2:3], v[2:3] op_sel:[0,1]
; %bb.20:
	s_or_b64 exec, exec, s[2:3]
	s_and_b64 exec, exec, s[0:1]
	s_cbranch_execz .LBB53_14
.LBB53_21:
	s_load_dwordx8 s[8:15], s[4:5], 0x28
	v_lshlrev_b64 v[2:3], 3, v[44:45]
	v_and_b32_e32 v46, 31, v0
	v_mov_b32_e32 v0, s19
	v_mov_b32_e32 v61, 0
	s_waitcnt lgkmcnt(0)
	v_mov_b32_e32 v1, s9
	v_add_co_u32_e32 v4, vcc, s8, v2
	v_addc_co_u32_e32 v5, vcc, v1, v3, vcc
	v_add_co_u32_e32 v1, vcc, 8, v4
	global_load_dwordx2 v[28:29], v[4:5], off
	v_addc_co_u32_e32 v4, vcc, 0, v5, vcc
	v_mov_b32_e32 v5, s11
	v_add_co_u32_e32 v2, vcc, s10, v2
	s_cmp_eq_u64 s[10:11], 0
	v_addc_co_u32_e32 v3, vcc, v5, v3, vcc
	s_cselect_b64 vcc, -1, 0
	v_cndmask_b32_e32 v3, v3, v4, vcc
	v_cndmask_b32_e32 v2, v2, v1, vcc
	global_load_dwordx2 v[2:3], v[2:3], off
	s_load_dwordx2 s[6:7], s[4:5], 0x48
	s_load_dword s0, s[4:5], 0x8
	v_mov_b32_e32 v4, s15
	s_waitcnt lgkmcnt(0)
	s_cmp_eq_u32 s0, 1
	s_waitcnt vmcnt(1)
	v_subrev_co_u32_e32 v1, vcc, s16, v28
	v_subb_co_u32_e32 v5, vcc, v29, v0, vcc
	v_add_co_u32_e32 v48, vcc, v1, v46
	v_addc_co_u32_e32 v49, vcc, 0, v5, vcc
	s_waitcnt vmcnt(0)
	v_subrev_co_u32_e32 v50, vcc, s16, v2
	v_subb_co_u32_e32 v51, vcc, v3, v0, vcc
	v_lshlrev_b64 v[0:1], 7, v[48:49]
	v_add_co_u32_e32 v52, vcc, s14, v0
	v_addc_co_u32_e32 v53, vcc, v4, v1, vcc
	v_cmp_lt_i64_e64 s[0:1], v[48:49], v[50:51]
	s_cbranch_scc1 .LBB53_33
; %bb.22:
	v_mov_b32_e32 v60, 0
	v_mov_b32_e32 v55, 0
	;; [unrolled: 1-line block ×7, first 2 shown]
	s_and_saveexec_b64 s[8:9], s[0:1]
	s_cbranch_execz .LBB53_32
; %bb.23:
	v_or_b32_e32 v0, 32, v46
	v_mov_b32_e32 v1, s19
	v_subrev_co_u32_e32 v0, vcc, s16, v0
	v_subb_co_u32_e32 v1, vcc, 0, v1, vcc
	v_add_co_u32_e32 v0, vcc, v0, v28
	v_addc_co_u32_e32 v1, vcc, v1, v29, vcc
	v_cmp_gt_i64_e32 vcc, v[0:1], v[50:51]
	v_cndmask_b32_e32 v1, v51, v1, vcc
	v_cndmask_b32_e32 v0, v50, v0, vcc
	v_mov_b32_e32 v4, s19
	v_sub_co_u32_e32 v5, vcc, s16, v46
	v_not_b32_e32 v3, v28
	v_subbrev_co_u32_e32 v4, vcc, 0, v4, vcc
	v_not_b32_e32 v2, v29
	v_add_co_u32_e32 v3, vcc, v5, v3
	v_addc_co_u32_e32 v2, vcc, v4, v2, vcc
	v_add_co_u32_e32 v0, vcc, v3, v0
	v_addc_co_u32_e32 v1, vcc, v2, v1, vcc
	v_lshrrev_b32_e32 v2, 5, v0
	v_add_u32_e32 v2, 1, v2
	v_and_b32_e32 v2, 3, v2
	v_mov_b32_e32 v59, 0
	v_cmp_ne_u32_e32 vcc, 0, v2
	v_mov_b32_e32 v58, v59
	v_mov_b32_e32 v57, v59
	;; [unrolled: 1-line block ×7, first 2 shown]
	v_pk_mov_b32 v[30:31], v[52:53], v[52:53] op_sel:[0,1]
	v_pk_mov_b32 v[32:33], v[48:49], v[48:49] op_sel:[0,1]
	s_and_saveexec_b64 s[10:11], vcc
	s_cbranch_execz .LBB53_27
; %bb.24:
	v_lshlrev_b64 v[4:5], 3, v[48:49]
	v_mov_b32_e32 v3, 0
	v_mov_b32_e32 v6, s13
	v_add_co_u32_e32 v4, vcc, s12, v4
	v_addc_co_u32_e32 v5, vcc, v6, v5, vcc
	v_lshlrev_b32_e32 v2, 3, v2
	s_mov_b64 s[14:15], 0
	s_movk_i32 s17, 0x1000
	v_mov_b32_e32 v6, s19
	v_mov_b32_e32 v7, s7
	v_pk_mov_b32 v[32:33], v[48:49], v[48:49] op_sel:[0,1]
	v_pk_mov_b32 v[30:31], v[52:53], v[52:53] op_sel:[0,1]
	v_mov_b32_e32 v58, v3
	v_mov_b32_e32 v59, v3
	v_mov_b32_e32 v56, v3
	v_mov_b32_e32 v57, v3
	v_mov_b32_e32 v54, v3
	v_mov_b32_e32 v55, v3
	v_mov_b32_e32 v60, v3
	v_mov_b32_e32 v61, v3
.LBB53_25:                              ; =>This Inner Loop Header: Depth=1
	global_load_dwordx2 v[38:39], v[4:5], off
	global_load_dwordx4 v[8:11], v[30:31], off offset:16
	global_load_dwordx4 v[12:15], v[30:31], off
	global_load_dwordx4 v[16:19], v[30:31], off offset:48
	global_load_dwordx4 v[20:23], v[30:31], off offset:32
	;; [unrolled: 1-line block ×6, first 2 shown]
	v_add_co_u32_e64 v32, s[2:3], 32, v32
	v_addc_co_u32_e64 v33, s[2:3], 0, v33, s[2:3]
	v_add_co_u32_e64 v2, s[2:3], -8, v2
	v_addc_co_u32_e64 v3, s[2:3], -1, v3, s[2:3]
	v_cmp_eq_u64_e64 s[2:3], 0, v[2:3]
	s_or_b64 s[14:15], s[2:3], s[14:15]
	s_waitcnt vmcnt(8)
	v_subrev_co_u32_e32 v38, vcc, s16, v38
	v_subb_co_u32_e32 v39, vcc, v39, v6, vcc
	v_lshlrev_b64 v[38:39], 5, v[38:39]
	v_add_co_u32_e32 v38, vcc, s6, v38
	v_addc_co_u32_e32 v39, vcc, v7, v39, vcc
	global_load_dwordx4 v[70:73], v[38:39], off
	global_load_dwordx4 v[74:77], v[38:39], off offset:16
	s_waitcnt vmcnt(8)
	v_xor_b32_e32 v38, 0x80000000, v15
	v_mov_b32_e32 v39, v14
	s_waitcnt vmcnt(6)
	v_xor_b32_e32 v80, 0x80000000, v23
	v_mov_b32_e32 v81, v22
	;; [unrolled: 3-line block ×3, first 2 shown]
	v_xor_b32_e32 v88, 0x80000000, v37
	v_mov_b32_e32 v89, v36
	v_add_co_u32_e32 v30, vcc, s17, v30
	v_addc_co_u32_e32 v31, vcc, 0, v31, vcc
	v_add_co_u32_e32 v4, vcc, 0x100, v4
	v_xor_b32_e32 v78, 0x80000000, v11
	v_mov_b32_e32 v79, v10
	v_xor_b32_e32 v82, 0x80000000, v19
	v_mov_b32_e32 v83, v18
	;; [unrolled: 2-line block ×4, first 2 shown]
	v_addc_co_u32_e32 v5, vcc, 0, v5, vcc
	s_waitcnt vmcnt(1)
	v_pk_fma_f32 v[60:61], v[12:13], v[70:71], v[60:61] op_sel_hi:[1,0,1]
	v_pk_fma_f32 v[58:59], v[20:21], v[70:71], v[58:59] op_sel_hi:[1,0,1]
	;; [unrolled: 1-line block ×4, first 2 shown]
	v_pk_fma_f32 v[12:13], v[12:13], v[70:71], v[60:61] op_sel:[1,1,0] op_sel_hi:[0,1,1] neg_lo:[1,0,0]
	v_pk_fma_f32 v[20:21], v[20:21], v[70:71], v[58:59] op_sel:[1,1,0] op_sel_hi:[0,1,1] neg_lo:[1,0,0]
	;; [unrolled: 1-line block ×4, first 2 shown]
	v_mov_b32_e32 v92, v73
	v_pk_fma_f32 v[12:13], v[14:15], v[72:73], v[12:13] op_sel_hi:[1,0,1]
	v_pk_fma_f32 v[14:15], v[22:23], v[72:73], v[20:21] op_sel_hi:[1,0,1]
	;; [unrolled: 1-line block ×8, first 2 shown]
	s_waitcnt vmcnt(0)
	v_pk_fma_f32 v[12:13], v[8:9], v[74:75], v[12:13] op_sel_hi:[1,0,1]
	v_pk_fma_f32 v[14:15], v[16:17], v[74:75], v[14:15] op_sel_hi:[1,0,1]
	;; [unrolled: 1-line block ×4, first 2 shown]
	v_pk_fma_f32 v[8:9], v[8:9], v[74:75], v[12:13] op_sel:[1,1,0] op_sel_hi:[0,1,1] neg_lo:[1,0,0]
	v_pk_fma_f32 v[12:13], v[16:17], v[74:75], v[14:15] op_sel:[1,1,0] op_sel_hi:[0,1,1] neg_lo:[1,0,0]
	;; [unrolled: 1-line block ×4, first 2 shown]
	v_mov_b32_e32 v94, v77
	v_pk_fma_f32 v[8:9], v[10:11], v[76:77], v[8:9] op_sel_hi:[1,0,1]
	v_pk_fma_f32 v[10:11], v[18:19], v[76:77], v[12:13] op_sel_hi:[1,0,1]
	;; [unrolled: 1-line block ×8, first 2 shown]
	s_andn2_b64 exec, exec, s[14:15]
	s_cbranch_execnz .LBB53_25
; %bb.26:
	s_or_b64 exec, exec, s[14:15]
.LBB53_27:
	s_or_b64 exec, exec, s[10:11]
	s_mov_b64 s[2:3], 0x5f
	v_cmp_lt_u64_e32 vcc, s[2:3], v[0:1]
	s_and_saveexec_b64 s[10:11], vcc
	s_cbranch_execz .LBB53_31
; %bb.28:
	v_lshlrev_b64 v[0:1], 3, v[32:33]
	v_mov_b32_e32 v2, s13
	v_add_co_u32_e32 v0, vcc, s12, v0
	v_addc_co_u32_e32 v1, vcc, v1, v2, vcc
	v_add_co_u32_e32 v34, vcc, 0x200, v0
	v_addc_co_u32_e32 v35, vcc, 0, v1, vcc
	s_mov_b64 s[14:15], 0
	v_mov_b32_e32 v47, s19
	v_mov_b32_e32 v62, s7
	s_movk_i32 s17, 0x1000
	s_movk_i32 s18, 0x2000
	;; [unrolled: 1-line block ×4, first 2 shown]
.LBB53_29:                              ; =>This Inner Loop Header: Depth=1
	global_load_dwordx2 v[0:1], v[34:35], off offset:-512
	s_waitcnt vmcnt(0)
	v_subrev_co_u32_e32 v0, vcc, s16, v0
	v_subb_co_u32_e32 v1, vcc, v1, v47, vcc
	v_lshlrev_b64 v[0:1], 5, v[0:1]
	v_add_co_u32_e32 v0, vcc, s6, v0
	v_addc_co_u32_e32 v1, vcc, v62, v1, vcc
	global_load_dwordx4 v[8:11], v[0:1], off offset:16
	global_load_dwordx4 v[22:25], v[0:1], off
	global_load_dwordx2 v[2:3], v[34:35], off offset:-256
	s_waitcnt vmcnt(2)
	v_mov_b32_e32 v38, v11
	s_waitcnt vmcnt(1)
	v_mov_b32_e32 v26, v25
	s_waitcnt vmcnt(0)
	v_subrev_co_u32_e32 v0, vcc, s16, v2
	v_subb_co_u32_e32 v1, vcc, v3, v47, vcc
	v_lshlrev_b64 v[0:1], 5, v[0:1]
	v_add_co_u32_e32 v20, vcc, s6, v0
	v_addc_co_u32_e32 v21, vcc, v62, v1, vcc
	global_load_dwordx4 v[0:3], v[20:21], off offset:16
	global_load_dwordx4 v[4:7], v[20:21], off
	global_load_dwordx4 v[64:67], v[30:31], off offset:48
	global_load_dwordx4 v[68:71], v[30:31], off offset:32
	;; [unrolled: 1-line block ×3, first 2 shown]
	global_load_dwordx4 v[16:19], v[30:31], off
	v_add_co_u32_e32 v88, vcc, s17, v30
	v_addc_co_u32_e32 v89, vcc, 0, v31, vcc
	v_add_co_u32_e32 v36, vcc, s18, v30
	v_addc_co_u32_e32 v37, vcc, 0, v31, vcc
	s_waitcnt vmcnt(4)
	v_mov_b32_e32 v98, v7
	s_waitcnt vmcnt(0)
	v_pk_fma_f32 v[20:21], v[16:17], v[22:23], v[60:61] op_sel_hi:[1,0,1]
	v_pk_fma_f32 v[16:17], v[16:17], v[22:23], v[20:21] op_sel:[1,1,0] op_sel_hi:[0,1,1] neg_lo:[1,0,0]
	v_xor_b32_e32 v20, 0x80000000, v19
	v_pk_fma_f32 v[16:17], v[18:19], v[24:25], v[16:17] op_sel_hi:[1,0,1]
	v_mov_b32_e32 v21, v18
	v_pk_fma_f32 v[16:17], v[20:21], v[26:27], v[16:17] op_sel_hi:[1,0,1]
	v_pk_fma_f32 v[16:17], v[12:13], v[8:9], v[16:17] op_sel_hi:[1,0,1]
	v_pk_fma_f32 v[12:13], v[12:13], v[8:9], v[16:17] op_sel:[1,1,0] op_sel_hi:[0,1,1] neg_lo:[1,0,0]
	v_xor_b32_e32 v16, 0x80000000, v15
	v_pk_fma_f32 v[12:13], v[14:15], v[10:11], v[12:13] op_sel_hi:[1,0,1]
	v_mov_b32_e32 v17, v14
	v_pk_fma_f32 v[16:17], v[16:17], v[38:39], v[12:13] op_sel_hi:[1,0,1]
	global_load_dwordx4 v[72:75], v[36:37], off offset:-4096
	global_load_dwordx4 v[12:15], v[88:89], off offset:48
	global_load_dwordx4 v[18:21], v[88:89], off offset:32
	;; [unrolled: 1-line block ×3, first 2 shown]
	s_waitcnt vmcnt(3)
	v_pk_fma_f32 v[16:17], v[72:73], v[4:5], v[16:17] op_sel_hi:[1,0,1]
	v_pk_fma_f32 v[72:73], v[72:73], v[4:5], v[16:17] op_sel:[1,1,0] op_sel_hi:[0,1,1] neg_lo:[1,0,0]
	v_pk_fma_f32 v[16:17], v[68:69], v[22:23], v[58:59] op_sel_hi:[1,0,1]
	v_pk_fma_f32 v[16:17], v[68:69], v[22:23], v[16:17] op_sel:[1,1,0] op_sel_hi:[0,1,1] neg_lo:[1,0,0]
	v_xor_b32_e32 v58, 0x80000000, v71
	v_pk_fma_f32 v[16:17], v[70:71], v[24:25], v[16:17] op_sel_hi:[1,0,1]
	v_mov_b32_e32 v59, v70
	v_pk_fma_f32 v[16:17], v[58:59], v[26:27], v[16:17] op_sel_hi:[1,0,1]
	v_pk_fma_f32 v[16:17], v[64:65], v[8:9], v[16:17] op_sel_hi:[1,0,1]
	v_pk_fma_f32 v[16:17], v[64:65], v[8:9], v[16:17] op_sel:[1,1,0] op_sel_hi:[0,1,1] neg_lo:[1,0,0]
	v_xor_b32_e32 v58, 0x80000000, v67
	v_pk_fma_f32 v[16:17], v[66:67], v[10:11], v[16:17] op_sel_hi:[1,0,1]
	v_mov_b32_e32 v59, v66
	v_pk_fma_f32 v[16:17], v[58:59], v[38:39], v[16:17] op_sel_hi:[1,0,1]
	s_waitcnt vmcnt(1)
	v_pk_fma_f32 v[16:17], v[18:19], v[4:5], v[16:17] op_sel_hi:[1,0,1]
	v_pk_fma_f32 v[92:93], v[18:19], v[4:5], v[16:17] op_sel:[1,1,0] op_sel_hi:[0,1,1] neg_lo:[1,0,0]
	global_load_dwordx4 v[16:19], v[30:31], off offset:112
	global_load_dwordx4 v[58:61], v[30:31], off offset:96
	;; [unrolled: 1-line block ×4, first 2 shown]
	v_xor_b32_e32 v90, 0x80000000, v75
	v_mov_b32_e32 v91, v74
	v_xor_b32_e32 v94, 0x80000000, v21
	v_mov_b32_e32 v95, v20
	s_waitcnt vmcnt(2)
	v_pk_fma_f32 v[54:55], v[58:59], v[22:23], v[54:55] op_sel_hi:[1,0,1]
	s_waitcnt vmcnt(0)
	v_pk_fma_f32 v[56:57], v[68:69], v[22:23], v[56:57] op_sel_hi:[1,0,1]
	v_pk_fma_f32 v[56:57], v[68:69], v[22:23], v[56:57] op_sel:[1,1,0] op_sel_hi:[0,1,1] neg_lo:[1,0,0]
	v_xor_b32_e32 v68, 0x80000000, v71
	v_pk_fma_f32 v[56:57], v[70:71], v[24:25], v[56:57] op_sel_hi:[1,0,1]
	v_mov_b32_e32 v69, v70
	v_pk_fma_f32 v[56:57], v[68:69], v[26:27], v[56:57] op_sel_hi:[1,0,1]
	v_pk_fma_f32 v[56:57], v[64:65], v[8:9], v[56:57] op_sel_hi:[1,0,1]
	v_pk_fma_f32 v[56:57], v[64:65], v[8:9], v[56:57] op_sel:[1,1,0] op_sel_hi:[0,1,1] neg_lo:[1,0,0]
	v_xor_b32_e32 v64, 0x80000000, v67
	v_pk_fma_f32 v[56:57], v[66:67], v[10:11], v[56:57] op_sel_hi:[1,0,1]
	v_mov_b32_e32 v65, v66
	v_pk_fma_f32 v[56:57], v[64:65], v[38:39], v[56:57] op_sel_hi:[1,0,1]
	global_load_dwordx4 v[64:67], v[88:89], off offset:112
	global_load_dwordx4 v[68:71], v[88:89], off offset:96
	;; [unrolled: 1-line block ×4, first 2 shown]
	v_pk_fma_f32 v[22:23], v[58:59], v[22:23], v[54:55] op_sel:[1,1,0] op_sel_hi:[0,1,1] neg_lo:[1,0,0]
	v_xor_b32_e32 v54, 0x80000000, v61
	v_pk_fma_f32 v[22:23], v[60:61], v[24:25], v[22:23] op_sel_hi:[1,0,1]
	v_mov_b32_e32 v55, v60
	v_pk_fma_f32 v[22:23], v[54:55], v[26:27], v[22:23] op_sel_hi:[1,0,1]
	v_pk_fma_f32 v[22:23], v[16:17], v[8:9], v[22:23] op_sel_hi:[1,0,1]
	v_pk_fma_f32 v[8:9], v[16:17], v[8:9], v[22:23] op_sel:[1,1,0] op_sel_hi:[0,1,1] neg_lo:[1,0,0]
	v_xor_b32_e32 v16, 0x80000000, v19
	v_pk_fma_f32 v[8:9], v[18:19], v[10:11], v[8:9] op_sel_hi:[1,0,1]
	v_mov_b32_e32 v17, v18
	v_pk_fma_f32 v[8:9], v[16:17], v[38:39], v[8:9] op_sel_hi:[1,0,1]
	v_xor_b32_e32 v16, 0x80000000, v79
	v_mov_b32_e32 v17, v78
	s_waitcnt vmcnt(2)
	v_pk_fma_f32 v[8:9], v[68:69], v[4:5], v[8:9] op_sel_hi:[1,0,1]
	v_pk_fma_f32 v[68:69], v[68:69], v[4:5], v[8:9] op_sel:[1,1,0] op_sel_hi:[0,1,1] neg_lo:[1,0,0]
	s_waitcnt vmcnt(0)
	v_pk_fma_f32 v[56:57], v[84:85], v[4:5], v[56:57] op_sel_hi:[1,0,1]
	v_pk_fma_f32 v[84:85], v[84:85], v[4:5], v[56:57] op_sel:[1,1,0] op_sel_hi:[0,1,1] neg_lo:[1,0,0]
	global_load_dwordx2 v[4:5], v[34:35], off
	v_xor_b32_e32 v88, 0x80000000, v87
	v_mov_b32_e32 v89, v86
	v_xor_b32_e32 v96, 0x80000000, v71
	v_mov_b32_e32 v97, v70
	s_waitcnt vmcnt(0)
	v_subrev_co_u32_e32 v4, vcc, s16, v4
	v_subb_co_u32_e32 v5, vcc, v5, v47, vcc
	v_lshlrev_b64 v[4:5], 5, v[4:5]
	v_add_co_u32_e32 v4, vcc, s6, v4
	v_addc_co_u32_e32 v5, vcc, v62, v5, vcc
	global_load_dwordx4 v[8:11], v[4:5], off offset:16
	global_load_dwordx4 v[54:57], v[4:5], off
	v_pk_fma_f32 v[4:5], v[74:75], v[6:7], v[72:73] op_sel_hi:[1,0,1]
	v_pk_fma_f32 v[4:5], v[90:91], v[98:99], v[4:5] op_sel_hi:[1,0,1]
	;; [unrolled: 1-line block ×3, first 2 shown]
	v_pk_fma_f32 v[4:5], v[76:77], v[0:1], v[4:5] op_sel:[1,1,0] op_sel_hi:[0,1,1] neg_lo:[1,0,0]
	v_pk_fma_f32 v[4:5], v[78:79], v[2:3], v[4:5] op_sel_hi:[1,0,1]
	v_mov_b32_e32 v76, v3
	v_pk_fma_f32 v[4:5], v[16:17], v[76:77], v[4:5] op_sel_hi:[1,0,1]
	global_load_dwordx4 v[58:61], v[36:37], off
	global_load_dwordx4 v[16:19], v[36:37], off offset:48
	global_load_dwordx4 v[72:75], v[36:37], off offset:32
	;; [unrolled: 1-line block ×3, first 2 shown]
	s_waitcnt vmcnt(4)
	v_mov_b32_e32 v78, v57
	s_waitcnt vmcnt(3)
	v_pk_fma_f32 v[4:5], v[58:59], v[54:55], v[4:5] op_sel_hi:[1,0,1]
	v_pk_fma_f32 v[4:5], v[58:59], v[54:55], v[4:5] op_sel:[1,1,0] op_sel_hi:[0,1,1] neg_lo:[1,0,0]
	v_xor_b32_e32 v22, 0x80000000, v61
	v_pk_fma_f32 v[4:5], v[60:61], v[56:57], v[4:5] op_sel_hi:[1,0,1]
	v_mov_b32_e32 v23, v60
	v_pk_fma_f32 v[4:5], v[22:23], v[78:79], v[4:5] op_sel_hi:[1,0,1]
	s_waitcnt vmcnt(0)
	v_pk_fma_f32 v[38:39], v[24:25], v[8:9], v[4:5] op_sel_hi:[1,0,1]
	v_pk_fma_f32 v[4:5], v[20:21], v[6:7], v[92:93] op_sel_hi:[1,0,1]
	;; [unrolled: 1-line block ×4, first 2 shown]
	v_pk_fma_f32 v[4:5], v[12:13], v[0:1], v[4:5] op_sel:[1,1,0] op_sel_hi:[0,1,1] neg_lo:[1,0,0]
	v_xor_b32_e32 v12, 0x80000000, v15
	v_pk_fma_f32 v[4:5], v[14:15], v[2:3], v[4:5] op_sel_hi:[1,0,1]
	v_mov_b32_e32 v13, v14
	v_pk_fma_f32 v[4:5], v[12:13], v[76:77], v[4:5] op_sel_hi:[1,0,1]
	v_pk_fma_f32 v[4:5], v[72:73], v[54:55], v[4:5] op_sel_hi:[1,0,1]
	v_pk_fma_f32 v[4:5], v[72:73], v[54:55], v[4:5] op_sel:[1,1,0] op_sel_hi:[0,1,1] neg_lo:[1,0,0]
	v_xor_b32_e32 v12, 0x80000000, v75
	v_pk_fma_f32 v[4:5], v[74:75], v[56:57], v[4:5] op_sel_hi:[1,0,1]
	v_mov_b32_e32 v13, v74
	v_pk_fma_f32 v[4:5], v[12:13], v[78:79], v[4:5] op_sel_hi:[1,0,1]
	v_pk_fma_f32 v[12:13], v[86:87], v[6:7], v[84:85] op_sel_hi:[1,0,1]
	;; [unrolled: 1-line block ×4, first 2 shown]
	v_pk_fma_f32 v[12:13], v[80:81], v[0:1], v[12:13] op_sel:[1,1,0] op_sel_hi:[0,1,1] neg_lo:[1,0,0]
	v_xor_b32_e32 v14, 0x80000000, v83
	v_pk_fma_f32 v[12:13], v[82:83], v[2:3], v[12:13] op_sel_hi:[1,0,1]
	v_mov_b32_e32 v15, v82
	v_pk_fma_f32 v[80:81], v[14:15], v[76:77], v[12:13] op_sel_hi:[1,0,1]
	global_load_dwordx4 v[12:15], v[36:37], off offset:112
	global_load_dwordx4 v[58:61], v[36:37], off offset:96
	;; [unrolled: 1-line block ×4, first 2 shown]
	v_pk_fma_f32 v[6:7], v[70:71], v[6:7], v[68:69] op_sel_hi:[1,0,1]
	v_pk_fma_f32 v[6:7], v[96:97], v[98:99], v[6:7] op_sel_hi:[1,0,1]
	;; [unrolled: 1-line block ×3, first 2 shown]
	v_pk_fma_f32 v[0:1], v[64:65], v[0:1], v[6:7] op_sel:[1,1,0] op_sel_hi:[0,1,1] neg_lo:[1,0,0]
	v_xor_b32_e32 v6, 0x80000000, v67
	v_pk_fma_f32 v[0:1], v[66:67], v[2:3], v[0:1] op_sel_hi:[1,0,1]
	v_mov_b32_e32 v7, v66
	v_pk_fma_f32 v[0:1], v[6:7], v[76:77], v[0:1] op_sel_hi:[1,0,1]
	v_xor_b32_e32 v6, 0x80000000, v27
	v_mov_b32_e32 v7, v26
	v_pk_fma_f32 v[4:5], v[16:17], v[8:9], v[4:5] op_sel_hi:[1,0,1]
	s_waitcnt vmcnt(2)
	v_pk_fma_f32 v[0:1], v[58:59], v[54:55], v[0:1] op_sel_hi:[1,0,1]
	v_pk_fma_f32 v[0:1], v[58:59], v[54:55], v[0:1] op_sel:[1,1,0] op_sel_hi:[0,1,1] neg_lo:[1,0,0]
	v_xor_b32_e32 v2, 0x80000000, v61
	v_pk_fma_f32 v[0:1], v[60:61], v[56:57], v[0:1] op_sel_hi:[1,0,1]
	v_mov_b32_e32 v3, v60
	v_pk_fma_f32 v[0:1], v[2:3], v[78:79], v[0:1] op_sel_hi:[1,0,1]
	global_load_dwordx2 v[2:3], v[34:35], off offset:256
	s_waitcnt vmcnt(1)
	v_pk_fma_f32 v[36:37], v[72:73], v[54:55], v[80:81] op_sel_hi:[1,0,1]
	v_pk_fma_f32 v[36:37], v[72:73], v[54:55], v[36:37] op_sel:[1,1,0] op_sel_hi:[0,1,1] neg_lo:[1,0,0]
	v_xor_b32_e32 v72, 0x80000000, v75
	v_pk_fma_f32 v[36:37], v[74:75], v[56:57], v[36:37] op_sel_hi:[1,0,1]
	v_mov_b32_e32 v73, v74
	v_pk_fma_f32 v[36:37], v[72:73], v[78:79], v[36:37] op_sel_hi:[1,0,1]
	v_pk_fma_f32 v[36:37], v[20:21], v[8:9], v[36:37] op_sel_hi:[1,0,1]
	;; [unrolled: 1-line block ×3, first 2 shown]
	v_pk_fma_f32 v[0:1], v[12:13], v[8:9], v[0:1] op_sel:[1,1,0] op_sel_hi:[0,1,1] neg_lo:[1,0,0]
	v_pk_fma_f32 v[0:1], v[14:15], v[10:11], v[0:1] op_sel_hi:[1,0,1]
	s_waitcnt vmcnt(0)
	v_subrev_co_u32_e32 v2, vcc, s16, v2
	v_subb_co_u32_e32 v3, vcc, v3, v47, vcc
	v_lshlrev_b64 v[2:3], 5, v[2:3]
	v_add_co_u32_e32 v2, vcc, s6, v2
	v_addc_co_u32_e32 v3, vcc, v62, v3, vcc
	global_load_dwordx4 v[64:67], v[2:3], off offset:16
	global_load_dwordx4 v[68:71], v[2:3], off
	v_pk_fma_f32 v[2:3], v[24:25], v[8:9], v[38:39] op_sel:[1,1,0] op_sel_hi:[0,1,1] neg_lo:[1,0,0]
	v_pk_fma_f32 v[2:3], v[26:27], v[10:11], v[2:3] op_sel_hi:[1,0,1]
	v_mov_b32_e32 v38, v11
	v_pk_fma_f32 v[2:3], v[6:7], v[38:39], v[2:3] op_sel_hi:[1,0,1]
	v_add_co_u32_e32 v6, vcc, s20, v30
	v_addc_co_u32_e32 v7, vcc, 0, v31, vcc
	global_load_dwordx4 v[24:27], v[6:7], off
	global_load_dwordx4 v[54:57], v[6:7], off offset:48
	global_load_dwordx4 v[72:75], v[6:7], off offset:32
	;; [unrolled: 1-line block ×3, first 2 shown]
	v_add_co_u32_e32 v32, vcc, s21, v32
	v_addc_co_u32_e32 v33, vcc, 0, v33, vcc
	v_add_co_u32_e32 v34, vcc, 0x400, v34
	v_addc_co_u32_e32 v35, vcc, 0, v35, vcc
	v_cmp_ge_i64_e64 s[2:3], v[32:33], v[50:51]
	v_add_co_u32_e32 v30, vcc, 0x4000, v30
	v_addc_co_u32_e32 v31, vcc, 0, v31, vcc
	s_or_b64 s[14:15], s[2:3], s[14:15]
	s_waitcnt vmcnt(5)
	v_mov_b32_e32 v78, v67
	s_waitcnt vmcnt(4)
	v_mov_b32_e32 v76, v71
	s_waitcnt vmcnt(3)
	v_pk_fma_f32 v[2:3], v[24:25], v[68:69], v[2:3] op_sel_hi:[1,0,1]
	v_pk_fma_f32 v[2:3], v[24:25], v[68:69], v[2:3] op_sel:[1,1,0] op_sel_hi:[0,1,1] neg_lo:[1,0,0]
	v_xor_b32_e32 v24, 0x80000000, v27
	v_pk_fma_f32 v[2:3], v[26:27], v[70:71], v[2:3] op_sel_hi:[1,0,1]
	v_mov_b32_e32 v25, v26
	v_pk_fma_f32 v[2:3], v[24:25], v[76:77], v[2:3] op_sel_hi:[1,0,1]
	s_waitcnt vmcnt(0)
	v_pk_fma_f32 v[2:3], v[58:59], v[64:65], v[2:3] op_sel_hi:[1,0,1]
	v_pk_fma_f32 v[2:3], v[58:59], v[64:65], v[2:3] op_sel:[1,1,0] op_sel_hi:[0,1,1] neg_lo:[1,0,0]
	v_xor_b32_e32 v24, 0x80000000, v61
	v_pk_fma_f32 v[2:3], v[60:61], v[66:67], v[2:3] op_sel_hi:[1,0,1]
	v_mov_b32_e32 v25, v60
	v_pk_fma_f32 v[60:61], v[24:25], v[78:79], v[2:3] op_sel_hi:[1,0,1]
	v_pk_fma_f32 v[2:3], v[16:17], v[8:9], v[4:5] op_sel:[1,1,0] op_sel_hi:[0,1,1] neg_lo:[1,0,0]
	v_xor_b32_e32 v4, 0x80000000, v19
	v_pk_fma_f32 v[2:3], v[18:19], v[10:11], v[2:3] op_sel_hi:[1,0,1]
	v_mov_b32_e32 v5, v18
	v_pk_fma_f32 v[2:3], v[4:5], v[38:39], v[2:3] op_sel_hi:[1,0,1]
	v_pk_fma_f32 v[2:3], v[72:73], v[68:69], v[2:3] op_sel_hi:[1,0,1]
	v_pk_fma_f32 v[2:3], v[72:73], v[68:69], v[2:3] op_sel:[1,1,0] op_sel_hi:[0,1,1] neg_lo:[1,0,0]
	v_xor_b32_e32 v4, 0x80000000, v75
	v_pk_fma_f32 v[2:3], v[74:75], v[70:71], v[2:3] op_sel_hi:[1,0,1]
	v_mov_b32_e32 v5, v74
	v_pk_fma_f32 v[2:3], v[4:5], v[76:77], v[2:3] op_sel_hi:[1,0,1]
	;; [unrolled: 6-line block ×3, first 2 shown]
	v_pk_fma_f32 v[2:3], v[20:21], v[8:9], v[36:37] op_sel:[1,1,0] op_sel_hi:[0,1,1] neg_lo:[1,0,0]
	v_xor_b32_e32 v4, 0x80000000, v23
	v_pk_fma_f32 v[2:3], v[22:23], v[10:11], v[2:3] op_sel_hi:[1,0,1]
	v_mov_b32_e32 v5, v22
	v_pk_fma_f32 v[36:37], v[4:5], v[38:39], v[2:3] op_sel_hi:[1,0,1]
	global_load_dwordx4 v[2:5], v[6:7], off offset:112
	global_load_dwordx4 v[16:19], v[6:7], off offset:96
	;; [unrolled: 1-line block ×4, first 2 shown]
	s_waitcnt vmcnt(0)
	v_pk_fma_f32 v[6:7], v[24:25], v[68:69], v[36:37] op_sel_hi:[1,0,1]
	v_pk_fma_f32 v[6:7], v[24:25], v[68:69], v[6:7] op_sel:[1,1,0] op_sel_hi:[0,1,1] neg_lo:[1,0,0]
	v_xor_b32_e32 v24, 0x80000000, v27
	v_pk_fma_f32 v[6:7], v[26:27], v[70:71], v[6:7] op_sel_hi:[1,0,1]
	v_mov_b32_e32 v25, v26
	v_pk_fma_f32 v[6:7], v[24:25], v[76:77], v[6:7] op_sel_hi:[1,0,1]
	v_pk_fma_f32 v[6:7], v[20:21], v[64:65], v[6:7] op_sel_hi:[1,0,1]
	v_pk_fma_f32 v[6:7], v[20:21], v[64:65], v[6:7] op_sel:[1,1,0] op_sel_hi:[0,1,1] neg_lo:[1,0,0]
	v_xor_b32_e32 v20, 0x80000000, v23
	v_pk_fma_f32 v[6:7], v[22:23], v[66:67], v[6:7] op_sel_hi:[1,0,1]
	v_mov_b32_e32 v21, v22
	v_pk_fma_f32 v[56:57], v[20:21], v[78:79], v[6:7] op_sel_hi:[1,0,1]
	v_xor_b32_e32 v6, 0x80000000, v15
	v_mov_b32_e32 v7, v14
	v_pk_fma_f32 v[0:1], v[6:7], v[38:39], v[0:1] op_sel_hi:[1,0,1]
	v_pk_fma_f32 v[0:1], v[16:17], v[68:69], v[0:1] op_sel_hi:[1,0,1]
	v_pk_fma_f32 v[0:1], v[16:17], v[68:69], v[0:1] op_sel:[1,1,0] op_sel_hi:[0,1,1] neg_lo:[1,0,0]
	v_xor_b32_e32 v6, 0x80000000, v19
	v_pk_fma_f32 v[0:1], v[18:19], v[70:71], v[0:1] op_sel_hi:[1,0,1]
	v_mov_b32_e32 v7, v18
	v_pk_fma_f32 v[0:1], v[6:7], v[76:77], v[0:1] op_sel_hi:[1,0,1]
	v_pk_fma_f32 v[0:1], v[2:3], v[64:65], v[0:1] op_sel_hi:[1,0,1]
	v_pk_fma_f32 v[0:1], v[2:3], v[64:65], v[0:1] op_sel:[1,1,0] op_sel_hi:[0,1,1] neg_lo:[1,0,0]
	v_xor_b32_e32 v2, 0x80000000, v5
	v_pk_fma_f32 v[0:1], v[4:5], v[66:67], v[0:1] op_sel_hi:[1,0,1]
	v_mov_b32_e32 v3, v4
	v_pk_fma_f32 v[54:55], v[2:3], v[78:79], v[0:1] op_sel_hi:[1,0,1]
	s_andn2_b64 exec, exec, s[14:15]
	s_cbranch_execnz .LBB53_29
; %bb.30:
	s_or_b64 exec, exec, s[14:15]
.LBB53_31:
	s_or_b64 exec, exec, s[10:11]
.LBB53_32:
	s_or_b64 exec, exec, s[8:9]
	s_cbranch_execz .LBB53_34
	s_branch .LBB53_45
.LBB53_33:
                                        ; implicit-def: $vgpr61
                                        ; implicit-def: $vgpr55
                                        ; implicit-def: $vgpr57
                                        ; implicit-def: $vgpr59
.LBB53_34:
	v_mov_b32_e32 v61, 0
	v_mov_b32_e32 v60, 0
	;; [unrolled: 1-line block ×8, first 2 shown]
	s_and_saveexec_b64 s[8:9], s[0:1]
	s_cbranch_execz .LBB53_44
; %bb.35:
	v_or_b32_e32 v0, 32, v46
	v_mov_b32_e32 v1, s19
	v_subrev_co_u32_e32 v0, vcc, s16, v0
	v_subb_co_u32_e32 v1, vcc, 0, v1, vcc
	v_add_co_u32_e32 v0, vcc, v0, v28
	v_addc_co_u32_e32 v1, vcc, v1, v29, vcc
	v_cmp_gt_i64_e32 vcc, v[0:1], v[50:51]
	v_cndmask_b32_e32 v1, v51, v1, vcc
	v_cndmask_b32_e32 v0, v50, v0, vcc
	v_mov_b32_e32 v4, s19
	v_sub_co_u32_e32 v5, vcc, s16, v46
	v_not_b32_e32 v3, v28
	v_subbrev_co_u32_e32 v4, vcc, 0, v4, vcc
	v_not_b32_e32 v2, v29
	v_add_co_u32_e32 v3, vcc, v5, v3
	v_addc_co_u32_e32 v2, vcc, v4, v2, vcc
	v_add_co_u32_e32 v0, vcc, v3, v0
	v_addc_co_u32_e32 v1, vcc, v2, v1, vcc
	v_lshrrev_b32_e32 v2, 5, v0
	v_add_u32_e32 v2, 1, v2
	v_and_b32_e32 v2, 3, v2
	v_mov_b32_e32 v59, 0
	v_cmp_ne_u32_e32 vcc, 0, v2
	v_mov_b32_e32 v58, v59
	v_mov_b32_e32 v57, v59
	;; [unrolled: 1-line block ×7, first 2 shown]
	s_and_saveexec_b64 s[2:3], vcc
	s_cbranch_execz .LBB53_39
; %bb.36:
	v_lshlrev_b64 v[4:5], 3, v[48:49]
	v_mov_b32_e32 v3, 0
	v_mov_b32_e32 v6, s13
	v_add_co_u32_e32 v4, vcc, s12, v4
	v_addc_co_u32_e32 v5, vcc, v6, v5, vcc
	v_lshlrev_b32_e32 v2, 3, v2
	s_mov_b64 s[10:11], 0
	s_movk_i32 s14, 0x1000
	v_mov_b32_e32 v6, s19
	v_mov_b32_e32 v7, s7
	;; [unrolled: 1-line block ×10, first 2 shown]
.LBB53_37:                              ; =>This Inner Loop Header: Depth=1
	global_load_dwordx2 v[36:37], v[4:5], off
	global_load_dwordx4 v[8:11], v[52:53], off offset:48
	global_load_dwordx4 v[12:15], v[52:53], off offset:32
	;; [unrolled: 1-line block ×3, first 2 shown]
	global_load_dwordx4 v[20:23], v[52:53], off
	global_load_dwordx4 v[24:27], v[52:53], off offset:96
	global_load_dwordx4 v[28:31], v[52:53], off offset:80
	global_load_dwordx4 v[32:35], v[52:53], off offset:64
	v_add_co_u32_e64 v48, s[0:1], 32, v48
	v_addc_co_u32_e64 v49, s[0:1], 0, v49, s[0:1]
	v_add_co_u32_e64 v2, s[0:1], -8, v2
	v_addc_co_u32_e64 v3, s[0:1], -1, v3, s[0:1]
	v_cmp_eq_u64_e64 s[0:1], 0, v[2:3]
	s_or_b64 s[10:11], s[0:1], s[10:11]
	s_waitcnt vmcnt(7)
	v_subrev_co_u32_e32 v36, vcc, s16, v36
	v_subb_co_u32_e32 v37, vcc, v37, v6, vcc
	v_lshlrev_b64 v[36:37], 5, v[36:37]
	v_add_co_u32_e32 v70, vcc, s6, v36
	v_addc_co_u32_e32 v71, vcc, v7, v37, vcc
	global_load_dwordx4 v[36:39], v[70:71], off offset:16
	global_load_dwordx4 v[62:65], v[70:71], off
	global_load_dwordx4 v[66:69], v[52:53], off offset:112
	s_waitcnt vmcnt(6)
	v_xor_b32_e32 v70, 0x80000000, v23
	v_mov_b32_e32 v71, v22
	v_xor_b32_e32 v78, 0x80000000, v19
	v_mov_b32_e32 v79, v18
	;; [unrolled: 2-line block ×4, first 2 shown]
	v_add_co_u32_e32 v52, vcc, s14, v52
	s_waitcnt vmcnt(3)
	v_xor_b32_e32 v74, 0x80000000, v35
	v_mov_b32_e32 v75, v34
	v_xor_b32_e32 v82, 0x80000000, v31
	v_mov_b32_e32 v83, v30
	v_addc_co_u32_e32 v53, vcc, 0, v53, vcc
	v_add_co_u32_e32 v4, vcc, 0x100, v4
	v_xor_b32_e32 v76, 0x80000000, v27
	v_mov_b32_e32 v77, v26
	v_addc_co_u32_e32 v5, vcc, 0, v5, vcc
	s_waitcnt vmcnt(2)
	v_mov_b32_e32 v88, v39
	s_waitcnt vmcnt(1)
	v_pk_fma_f32 v[60:61], v[20:21], v[62:63], v[60:61] op_sel_hi:[1,0,1]
	v_pk_fma_f32 v[22:23], v[22:23], v[62:63], v[58:59] op_sel_hi:[1,0,1]
	;; [unrolled: 1-line block ×4, first 2 shown]
	v_pk_fma_f32 v[20:21], v[20:21], v[62:63], v[60:61] op_sel:[1,1,0] op_sel_hi:[0,1,1] neg_lo:[1,0,0]
	v_pk_fma_f32 v[22:23], v[70:71], v[62:63], v[22:23] op_sel:[0,1,0]
	v_pk_fma_f32 v[16:17], v[16:17], v[62:63], v[56:57] op_sel:[1,1,0] op_sel_hi:[0,1,1] neg_lo:[1,0,0]
	v_pk_fma_f32 v[18:19], v[78:79], v[62:63], v[18:19] op_sel:[0,1,0]
	v_mov_b32_e32 v86, v65
	v_pk_fma_f32 v[20:21], v[12:13], v[64:65], v[20:21] op_sel_hi:[1,0,1]
	v_pk_fma_f32 v[14:15], v[14:15], v[64:65], v[22:23] op_sel_hi:[1,0,1]
	;; [unrolled: 1-line block ×4, first 2 shown]
	v_pk_fma_f32 v[12:13], v[12:13], v[86:87], v[20:21] op_sel:[1,0,0] op_sel_hi:[0,0,1] neg_lo:[1,0,0]
	v_pk_fma_f32 v[14:15], v[72:73], v[86:87], v[14:15] op_sel_hi:[1,0,1]
	v_pk_fma_f32 v[8:9], v[8:9], v[86:87], v[16:17] op_sel:[1,0,0] op_sel_hi:[0,0,1] neg_lo:[1,0,0]
	v_pk_fma_f32 v[10:11], v[80:81], v[86:87], v[10:11] op_sel_hi:[1,0,1]
	v_pk_fma_f32 v[12:13], v[32:33], v[36:37], v[12:13] op_sel_hi:[1,0,1]
	;; [unrolled: 1-line block ×5, first 2 shown]
	v_pk_fma_f32 v[12:13], v[32:33], v[36:37], v[12:13] op_sel:[1,1,0] op_sel_hi:[0,1,1] neg_lo:[1,0,0]
	v_pk_fma_f32 v[14:15], v[74:75], v[36:37], v[14:15] op_sel:[0,1,0]
	v_pk_fma_f32 v[8:9], v[28:29], v[36:37], v[8:9] op_sel:[1,1,0] op_sel_hi:[0,1,1] neg_lo:[1,0,0]
	v_pk_fma_f32 v[10:11], v[82:83], v[36:37], v[10:11] op_sel:[0,1,0]
	s_waitcnt vmcnt(0)
	v_xor_b32_e32 v84, 0x80000000, v69
	v_mov_b32_e32 v85, v68
	v_pk_fma_f32 v[12:13], v[24:25], v[38:39], v[12:13] op_sel_hi:[1,0,1]
	v_pk_fma_f32 v[14:15], v[26:27], v[38:39], v[14:15] op_sel_hi:[1,0,1]
	;; [unrolled: 1-line block ×4, first 2 shown]
	v_pk_fma_f32 v[60:61], v[24:25], v[88:89], v[12:13] op_sel:[1,0,0] op_sel_hi:[0,0,1] neg_lo:[1,0,0]
	v_pk_fma_f32 v[58:59], v[76:77], v[88:89], v[14:15] op_sel_hi:[1,0,1]
	v_pk_fma_f32 v[56:57], v[66:67], v[88:89], v[8:9] op_sel:[1,0,0] op_sel_hi:[0,0,1] neg_lo:[1,0,0]
	v_pk_fma_f32 v[54:55], v[84:85], v[88:89], v[10:11] op_sel_hi:[1,0,1]
	s_andn2_b64 exec, exec, s[10:11]
	s_cbranch_execnz .LBB53_37
; %bb.38:
	s_or_b64 exec, exec, s[10:11]
.LBB53_39:
	s_or_b64 exec, exec, s[2:3]
	s_mov_b64 s[0:1], 0x5f
	v_cmp_lt_u64_e32 vcc, s[0:1], v[0:1]
	s_and_saveexec_b64 s[10:11], vcc
	s_cbranch_execz .LBB53_43
; %bb.40:
	v_lshlrev_b64 v[0:1], 3, v[48:49]
	v_mov_b32_e32 v2, s13
	v_add_co_u32_e32 v0, vcc, s12, v0
	v_addc_co_u32_e32 v1, vcc, v1, v2, vcc
	v_add_co_u32_e32 v62, vcc, 0x200, v0
	v_addc_co_u32_e32 v63, vcc, 0, v1, vcc
	s_mov_b64 s[12:13], 0
	v_mov_b32_e32 v47, s19
	v_mov_b32_e32 v76, s7
	s_movk_i32 s7, 0x1000
	s_movk_i32 s14, 0x2000
	;; [unrolled: 1-line block ×4, first 2 shown]
.LBB53_41:                              ; =>This Inner Loop Header: Depth=1
	global_load_dwordx4 v[24:27], v[52:53], off
	global_load_dwordx2 v[70:71], v[62:63], off offset:-512
	global_load_dwordx4 v[12:15], v[52:53], off offset:32
	global_load_dwordx4 v[20:23], v[52:53], off offset:16
	;; [unrolled: 1-line block ×7, first 2 shown]
	global_load_dwordx2 v[66:67], v[62:63], off offset:-256
	global_load_dwordx2 v[64:65], v[62:63], off
	global_load_dwordx2 v[68:69], v[62:63], off offset:256
	v_add_co_u32_e32 v48, vcc, s17, v48
	s_mov_b64 s[0:1], vcc
	v_add_co_u32_e32 v98, vcc, s7, v52
	v_addc_co_u32_e32 v99, vcc, 0, v53, vcc
	v_add_co_u32_e32 v74, vcc, s14, v52
	v_addc_co_u32_e32 v75, vcc, 0, v53, vcc
	;; [unrolled: 2-line block ×3, first 2 shown]
	v_add_co_u32_e32 v62, vcc, 0x400, v62
	s_mov_b64 s[2:3], vcc
	global_load_dwordx4 v[78:81], v[98:99], off offset:32
	global_load_dwordx4 v[82:85], v[98:99], off offset:16
	;; [unrolled: 1-line block ×4, first 2 shown]
	global_load_dwordx4 v[86:89], v[74:75], off offset:-4096
	s_waitcnt vmcnt(16)
	v_xor_b32_e32 v100, 0x80000000, v27
	s_waitcnt vmcnt(15)
	v_subrev_co_u32_e32 v70, vcc, s16, v70
	v_subb_co_u32_e32 v71, vcc, v71, v47, vcc
	v_lshlrev_b64 v[70:71], 5, v[70:71]
	v_add_co_u32_e32 v70, vcc, s6, v70
	v_addc_co_u32_e32 v71, vcc, v76, v71, vcc
	global_load_dwordx4 v[90:93], v[70:71], off
	global_load_dwordx4 v[94:97], v[70:71], off offset:16
	v_mov_b32_e32 v101, v26
	s_waitcnt vmcnt(6)
	v_xor_b32_e32 v102, 0x80000000, v81
	v_mov_b32_e32 v103, v80
	s_waitcnt vmcnt(1)
	v_pk_fma_f32 v[60:61], v[24:25], v[90:91], v[60:61] op_sel_hi:[1,0,1]
	v_pk_fma_f32 v[26:27], v[26:27], v[90:91], v[58:59] op_sel_hi:[1,0,1]
	v_pk_fma_f32 v[58:59], v[24:25], v[90:91], v[60:61] op_sel:[1,1,0] op_sel_hi:[0,1,1] neg_lo:[1,0,0]
	v_xor_b32_e32 v60, 0x80000000, v23
	v_mov_b32_e32 v61, v22
	v_pk_fma_f32 v[24:25], v[20:21], v[90:91], v[56:57] op_sel_hi:[1,0,1]
	v_pk_fma_f32 v[54:55], v[22:23], v[90:91], v[54:55] op_sel_hi:[1,0,1]
	v_pk_fma_f32 v[56:57], v[20:21], v[90:91], v[24:25] op_sel:[1,1,0] op_sel_hi:[0,1,1] neg_lo:[1,0,0]
	v_pk_fma_f32 v[70:71], v[100:101], v[90:91], v[26:27] op_sel:[0,1,0]
	v_pk_fma_f32 v[54:55], v[60:61], v[90:91], v[54:55] op_sel:[0,1,0]
	v_xor_b32_e32 v60, 0x80000000, v15
	v_mov_b32_e32 v61, v14
	v_pk_fma_f32 v[58:59], v[12:13], v[92:93], v[58:59] op_sel_hi:[1,0,1]
	v_pk_fma_f32 v[14:15], v[14:15], v[92:93], v[70:71] op_sel_hi:[1,0,1]
	;; [unrolled: 1-line block ×4, first 2 shown]
	v_mov_b32_e32 v92, v93
	v_xor_b32_e32 v100, 0x80000000, v31
	v_mov_b32_e32 v101, v30
	v_pk_fma_f32 v[12:13], v[12:13], v[92:93], v[58:59] op_sel:[1,0,0] op_sel_hi:[0,0,1] neg_lo:[1,0,0]
	v_pk_fma_f32 v[70:71], v[28:29], v[92:93], v[70:71] op_sel:[1,0,0] op_sel_hi:[0,0,1] neg_lo:[1,0,0]
	v_pk_fma_f32 v[14:15], v[60:61], v[92:93], v[14:15] op_sel_hi:[1,0,1]
	v_pk_fma_f32 v[90:91], v[100:101], v[92:93], v[90:91] op_sel_hi:[1,0,1]
	global_load_dwordx4 v[20:23], v[98:99], off offset:96
	global_load_dwordx4 v[24:27], v[98:99], off offset:80
	;; [unrolled: 1-line block ×4, first 2 shown]
	v_xor_b32_e32 v98, 0x80000000, v19
	v_mov_b32_e32 v99, v18
	s_waitcnt vmcnt(4)
	v_pk_fma_f32 v[12:13], v[16:17], v[94:95], v[12:13] op_sel_hi:[1,0,1]
	v_pk_fma_f32 v[18:19], v[18:19], v[94:95], v[14:15] op_sel_hi:[1,0,1]
	v_xor_b32_e32 v100, 0x80000000, v11
	v_mov_b32_e32 v101, v10
	v_pk_fma_f32 v[70:71], v[8:9], v[94:95], v[70:71] op_sel_hi:[1,0,1]
	v_pk_fma_f32 v[10:11], v[10:11], v[94:95], v[90:91] op_sel_hi:[1,0,1]
	v_pk_fma_f32 v[16:17], v[16:17], v[94:95], v[12:13] op_sel:[1,1,0] op_sel_hi:[0,1,1] neg_lo:[1,0,0]
	v_pk_fma_f32 v[70:71], v[8:9], v[94:95], v[70:71] op_sel:[1,1,0] op_sel_hi:[0,1,1] neg_lo:[1,0,0]
	v_pk_fma_f32 v[18:19], v[98:99], v[94:95], v[18:19] op_sel:[0,1,0]
	v_pk_fma_f32 v[94:95], v[100:101], v[94:95], v[10:11] op_sel:[0,1,0]
	v_pk_fma_f32 v[16:17], v[4:5], v[96:97], v[16:17] op_sel_hi:[1,0,1]
	v_pk_fma_f32 v[18:19], v[6:7], v[96:97], v[18:19] op_sel_hi:[1,0,1]
	;; [unrolled: 1-line block ×4, first 2 shown]
	v_mov_b32_e32 v96, v97
	v_pk_fma_f32 v[4:5], v[4:5], v[96:97], v[16:17] op_sel:[1,0,0] op_sel_hi:[0,0,1] neg_lo:[1,0,0]
	v_subrev_co_u32_e32 v16, vcc, s16, v66
	v_subb_co_u32_e32 v17, vcc, v67, v47, vcc
	v_lshlrev_b64 v[16:17], 5, v[16:17]
	v_add_co_u32_e32 v66, vcc, s6, v16
	v_xor_b32_e32 v98, 0x80000000, v7
	v_mov_b32_e32 v99, v6
	v_xor_b32_e32 v6, 0x80000000, v3
	v_mov_b32_e32 v7, v2
	v_addc_co_u32_e32 v67, vcc, v76, v17, vcc
	global_load_dwordx4 v[58:61], v[74:75], off
	global_load_dwordx4 v[90:93], v[74:75], off offset:16
	global_load_dwordx4 v[12:15], v[74:75], off offset:32
	global_load_dwordx4 v[8:11], v[74:75], off offset:96
	v_pk_fma_f32 v[70:71], v[0:1], v[96:97], v[70:71] op_sel:[1,0,0] op_sel_hi:[0,0,1] neg_lo:[1,0,0]
	global_load_dwordx4 v[0:3], v[74:75], off offset:80
	v_pk_fma_f32 v[98:99], v[98:99], v[96:97], v[18:19] op_sel_hi:[1,0,1]
	v_pk_fma_f32 v[6:7], v[6:7], v[96:97], v[94:95] op_sel_hi:[1,0,1]
	global_load_dwordx4 v[16:19], v[66:67], off
	global_load_dwordx4 v[94:97], v[66:67], off offset:16
	v_xor_b32_e32 v100, 0x80000000, v89
	v_mov_b32_e32 v101, v88
	s_waitcnt vmcnt(6)
	v_xor_b32_e32 v104, 0x80000000, v61
	v_mov_b32_e32 v105, v60
	s_waitcnt vmcnt(1)
	v_pk_fma_f32 v[4:5], v[86:87], v[16:17], v[4:5] op_sel_hi:[1,0,1]
	v_pk_fma_f32 v[66:67], v[88:89], v[16:17], v[98:99] op_sel_hi:[1,0,1]
	v_pk_fma_f32 v[98:99], v[86:87], v[16:17], v[4:5] op_sel:[1,1,0] op_sel_hi:[0,1,1] neg_lo:[1,0,0]
	v_xor_b32_e32 v4, 0x80000000, v85
	v_mov_b32_e32 v5, v84
	v_pk_fma_f32 v[70:71], v[82:83], v[16:17], v[70:71] op_sel_hi:[1,0,1]
	v_pk_fma_f32 v[6:7], v[84:85], v[16:17], v[6:7] op_sel_hi:[1,0,1]
	v_pk_fma_f32 v[70:71], v[82:83], v[16:17], v[70:71] op_sel:[1,1,0] op_sel_hi:[0,1,1] neg_lo:[1,0,0]
	global_load_dwordx4 v[82:85], v[74:75], off offset:48
	global_load_dwordx4 v[86:89], v[74:75], off offset:64
	v_pk_fma_f32 v[66:67], v[100:101], v[16:17], v[66:67] op_sel:[0,1,0]
	v_pk_fma_f32 v[16:17], v[4:5], v[16:17], v[6:7] op_sel:[0,1,0]
	v_pk_fma_f32 v[74:75], v[78:79], v[18:19], v[98:99] op_sel_hi:[1,0,1]
	v_mov_b32_e32 v100, v19
	v_pk_fma_f32 v[66:67], v[80:81], v[18:19], v[66:67] op_sel_hi:[1,0,1]
	v_pk_fma_f32 v[70:71], v[54:55], v[18:19], v[70:71] op_sel_hi:[1,0,1]
	;; [unrolled: 1-line block ×3, first 2 shown]
	v_pk_fma_f32 v[74:75], v[78:79], v[100:101], v[74:75] op_sel:[1,0,0] op_sel_hi:[0,0,1] neg_lo:[1,0,0]
	v_xor_b32_e32 v78, 0x80000000, v57
	v_mov_b32_e32 v79, v56
	v_pk_fma_f32 v[70:71], v[54:55], v[100:101], v[70:71] op_sel:[1,0,0] op_sel_hi:[0,0,1] neg_lo:[1,0,0]
	v_pk_fma_f32 v[66:67], v[102:103], v[100:101], v[66:67] op_sel_hi:[1,0,1]
	v_pk_fma_f32 v[78:79], v[78:79], v[100:101], v[98:99] op_sel_hi:[1,0,1]
	v_xor_b32_e32 v80, 0x80000000, v31
	v_mov_b32_e32 v81, v30
	s_waitcnt vmcnt(2)
	v_pk_fma_f32 v[74:75], v[28:29], v[94:95], v[74:75] op_sel_hi:[1,0,1]
	v_pk_fma_f32 v[66:67], v[30:31], v[94:95], v[66:67] op_sel_hi:[1,0,1]
	v_xor_b32_e32 v98, 0x80000000, v27
	v_mov_b32_e32 v99, v26
	v_pk_fma_f32 v[70:71], v[24:25], v[94:95], v[70:71] op_sel_hi:[1,0,1]
	v_pk_fma_f32 v[78:79], v[26:27], v[94:95], v[78:79] op_sel_hi:[1,0,1]
	v_pk_fma_f32 v[74:75], v[28:29], v[94:95], v[74:75] op_sel:[1,1,0] op_sel_hi:[0,1,1] neg_lo:[1,0,0]
	v_pk_fma_f32 v[70:71], v[24:25], v[94:95], v[70:71] op_sel:[1,1,0] op_sel_hi:[0,1,1] neg_lo:[1,0,0]
	v_pk_fma_f32 v[66:67], v[80:81], v[94:95], v[66:67] op_sel:[0,1,0]
	v_pk_fma_f32 v[94:95], v[98:99], v[94:95], v[78:79] op_sel:[0,1,0]
	v_pk_fma_f32 v[74:75], v[20:21], v[96:97], v[74:75] op_sel_hi:[1,0,1]
	v_pk_fma_f32 v[66:67], v[22:23], v[96:97], v[66:67] op_sel_hi:[1,0,1]
	;; [unrolled: 1-line block ×4, first 2 shown]
	v_mov_b32_e32 v96, v97
	v_pk_fma_f32 v[70:71], v[36:37], v[96:97], v[70:71] op_sel:[1,0,0] op_sel_hi:[0,0,1] neg_lo:[1,0,0]
	v_subrev_co_u32_e32 v36, vcc, s16, v64
	v_subb_co_u32_e32 v37, vcc, v65, v47, vcc
	v_lshlrev_b64 v[36:37], 5, v[36:37]
	v_add_co_u32_e32 v102, vcc, s6, v36
	v_xor_b32_e32 v98, 0x80000000, v23
	v_mov_b32_e32 v99, v22
	v_addc_co_u32_e32 v103, vcc, v76, v37, vcc
	global_load_dwordx4 v[4:7], v[72:73], off offset:48
	global_load_dwordx4 v[16:19], v[72:73], off offset:32
	global_load_dwordx4 v[54:57], v[72:73], off
	global_load_dwordx4 v[28:31], v[72:73], off offset:16
	global_load_dwordx4 v[24:27], v[72:73], off offset:112
	;; [unrolled: 1-line block ×3, first 2 shown]
	v_pk_fma_f32 v[74:75], v[20:21], v[96:97], v[74:75] op_sel:[1,0,0] op_sel_hi:[0,0,1] neg_lo:[1,0,0]
	global_load_dwordx4 v[20:23], v[72:73], off offset:80
	v_xor_b32_e32 v100, 0x80000000, v39
	v_mov_b32_e32 v101, v38
	v_pk_fma_f32 v[98:99], v[98:99], v[96:97], v[66:67] op_sel_hi:[1,0,1]
	global_load_dwordx4 v[36:39], v[102:103], off
	global_load_dwordx4 v[64:67], v[102:103], off offset:16
	v_addc_co_u32_e64 v49, vcc, 0, v49, s[0:1]
	v_add_co_u32_e32 v52, vcc, 0x4000, v52
	v_addc_co_u32_e32 v53, vcc, 0, v53, vcc
	v_subrev_co_u32_e32 v68, vcc, s16, v68
	v_subb_co_u32_e32 v69, vcc, v69, v47, vcc
	v_pk_fma_f32 v[94:95], v[100:101], v[96:97], v[94:95] op_sel_hi:[1,0,1]
	v_lshlrev_b64 v[68:69], 5, v[68:69]
	v_addc_co_u32_e64 v63, s[0:1], 0, v63, s[2:3]
	v_cmp_ge_i64_e64 s[0:1], v[48:49], v[50:51]
	s_or_b64 s[12:13], s[0:1], s[12:13]
	s_waitcnt vmcnt(1)
	v_pk_fma_f32 v[74:75], v[58:59], v[36:37], v[74:75] op_sel_hi:[1,0,1]
	v_pk_fma_f32 v[96:97], v[60:61], v[36:37], v[98:99] op_sel_hi:[1,0,1]
	v_pk_fma_f32 v[98:99], v[58:59], v[36:37], v[74:75] op_sel:[1,1,0] op_sel_hi:[0,1,1] neg_lo:[1,0,0]
	v_pk_fma_f32 v[74:75], v[92:93], v[36:37], v[94:95] op_sel_hi:[1,0,1]
	v_add_co_u32_e32 v94, vcc, s6, v68
	v_pk_fma_f32 v[70:71], v[90:91], v[36:37], v[70:71] op_sel_hi:[1,0,1]
	v_addc_co_u32_e32 v95, vcc, v76, v69, vcc
	v_pk_fma_f32 v[90:91], v[90:91], v[36:37], v[70:71] op_sel:[1,1,0] op_sel_hi:[0,1,1] neg_lo:[1,0,0]
	global_load_dwordx4 v[68:71], v[94:95], off
	global_load_dwordx4 v[58:61], v[72:73], off offset:64
	v_xor_b32_e32 v72, 0x80000000, v93
	v_mov_b32_e32 v73, v92
	v_pk_fma_f32 v[96:97], v[104:105], v[36:37], v[96:97] op_sel:[0,1,0]
	v_pk_fma_f32 v[36:37], v[72:73], v[36:37], v[74:75] op_sel:[0,1,0]
	global_load_dwordx4 v[72:75], v[94:95], off offset:16
	v_xor_b32_e32 v92, 0x80000000, v15
	v_mov_b32_e32 v93, v14
	v_pk_fma_f32 v[94:95], v[12:13], v[38:39], v[98:99] op_sel_hi:[1,0,1]
	v_pk_fma_f32 v[14:15], v[14:15], v[38:39], v[96:97] op_sel_hi:[1,0,1]
	v_pk_fma_f32 v[90:91], v[82:83], v[38:39], v[90:91] op_sel_hi:[1,0,1]
	v_pk_fma_f32 v[36:37], v[84:85], v[38:39], v[36:37] op_sel_hi:[1,0,1]
	v_mov_b32_e32 v38, v39
	v_xor_b32_e32 v96, 0x80000000, v85
	v_mov_b32_e32 v97, v84
	v_pk_fma_f32 v[12:13], v[12:13], v[38:39], v[94:95] op_sel:[1,0,0] op_sel_hi:[0,0,1] neg_lo:[1,0,0]
	v_pk_fma_f32 v[82:83], v[82:83], v[38:39], v[90:91] op_sel:[1,0,0] op_sel_hi:[0,0,1] neg_lo:[1,0,0]
	v_pk_fma_f32 v[14:15], v[92:93], v[38:39], v[14:15] op_sel_hi:[1,0,1]
	v_pk_fma_f32 v[36:37], v[96:97], v[38:39], v[36:37] op_sel_hi:[1,0,1]
	v_xor_b32_e32 v84, 0x80000000, v89
	v_xor_b32_e32 v94, 0x80000000, v3
	v_mov_b32_e32 v85, v88
	v_mov_b32_e32 v95, v2
	s_waitcnt vmcnt(3)
	v_pk_fma_f32 v[12:13], v[86:87], v[64:65], v[12:13] op_sel_hi:[1,0,1]
	v_pk_fma_f32 v[14:15], v[88:89], v[64:65], v[14:15] op_sel_hi:[1,0,1]
	;; [unrolled: 1-line block ×4, first 2 shown]
	v_pk_fma_f32 v[12:13], v[86:87], v[64:65], v[12:13] op_sel:[1,1,0] op_sel_hi:[0,1,1] neg_lo:[1,0,0]
	v_pk_fma_f32 v[0:1], v[0:1], v[64:65], v[82:83] op_sel:[1,1,0] op_sel_hi:[0,1,1] neg_lo:[1,0,0]
	v_pk_fma_f32 v[14:15], v[84:85], v[64:65], v[14:15] op_sel:[0,1,0]
	v_pk_fma_f32 v[2:3], v[94:95], v[64:65], v[2:3] op_sel:[0,1,0]
	v_xor_b32_e32 v90, 0x80000000, v11
	v_mov_b32_e32 v91, v10
	v_xor_b32_e32 v86, 0x80000000, v35
	v_mov_b32_e32 v87, v34
	v_mov_b32_e32 v64, v67
	v_pk_fma_f32 v[12:13], v[8:9], v[66:67], v[12:13] op_sel_hi:[1,0,1]
	v_pk_fma_f32 v[10:11], v[10:11], v[66:67], v[14:15] op_sel_hi:[1,0,1]
	;; [unrolled: 1-line block ×4, first 2 shown]
	v_pk_fma_f32 v[8:9], v[8:9], v[64:65], v[12:13] op_sel:[1,0,0] op_sel_hi:[0,0,1] neg_lo:[1,0,0]
	v_pk_fma_f32 v[0:1], v[32:33], v[64:65], v[0:1] op_sel:[1,0,0] op_sel_hi:[0,0,1] neg_lo:[1,0,0]
	v_pk_fma_f32 v[10:11], v[90:91], v[64:65], v[10:11] op_sel_hi:[1,0,1]
	v_pk_fma_f32 v[2:3], v[86:87], v[64:65], v[2:3] op_sel_hi:[1,0,1]
	v_xor_b32_e32 v98, 0x80000000, v57
	v_mov_b32_e32 v99, v56
	v_xor_b32_e32 v88, 0x80000000, v31
	v_mov_b32_e32 v89, v30
	;; [unrolled: 2-line block ×7, first 2 shown]
	s_waitcnt vmcnt(2)
	v_pk_fma_f32 v[8:9], v[54:55], v[68:69], v[8:9] op_sel_hi:[1,0,1]
	v_pk_fma_f32 v[10:11], v[56:57], v[68:69], v[10:11] op_sel_hi:[1,0,1]
	;; [unrolled: 1-line block ×4, first 2 shown]
	v_pk_fma_f32 v[8:9], v[54:55], v[68:69], v[8:9] op_sel:[1,1,0] op_sel_hi:[0,1,1] neg_lo:[1,0,0]
	v_pk_fma_f32 v[10:11], v[98:99], v[68:69], v[10:11] op_sel:[0,1,0]
	v_pk_fma_f32 v[0:1], v[28:29], v[68:69], v[0:1] op_sel:[1,1,0] op_sel_hi:[0,1,1] neg_lo:[1,0,0]
	v_pk_fma_f32 v[2:3], v[88:89], v[68:69], v[2:3] op_sel:[0,1,0]
	v_mov_b32_e32 v14, v71
	v_pk_fma_f32 v[8:9], v[16:17], v[70:71], v[8:9] op_sel_hi:[1,0,1]
	v_pk_fma_f32 v[10:11], v[18:19], v[70:71], v[10:11] op_sel_hi:[1,0,1]
	;; [unrolled: 1-line block ×4, first 2 shown]
	v_pk_fma_f32 v[6:7], v[16:17], v[14:15], v[8:9] op_sel:[1,0,0] op_sel_hi:[0,0,1] neg_lo:[1,0,0]
	v_pk_fma_f32 v[8:9], v[92:93], v[14:15], v[10:11] op_sel_hi:[1,0,1]
	v_pk_fma_f32 v[0:1], v[4:5], v[14:15], v[0:1] op_sel:[1,0,0] op_sel_hi:[0,0,1] neg_lo:[1,0,0]
	v_pk_fma_f32 v[2:3], v[36:37], v[14:15], v[2:3] op_sel_hi:[1,0,1]
	s_waitcnt vmcnt(1)
	v_xor_b32_e32 v38, 0x80000000, v61
	v_mov_b32_e32 v39, v60
	s_waitcnt vmcnt(0)
	v_pk_fma_f32 v[4:5], v[58:59], v[72:73], v[6:7] op_sel_hi:[1,0,1]
	v_pk_fma_f32 v[6:7], v[60:61], v[72:73], v[8:9] op_sel_hi:[1,0,1]
	;; [unrolled: 1-line block ×4, first 2 shown]
	v_pk_fma_f32 v[4:5], v[58:59], v[72:73], v[4:5] op_sel:[1,1,0] op_sel_hi:[0,1,1] neg_lo:[1,0,0]
	v_pk_fma_f32 v[6:7], v[38:39], v[72:73], v[6:7] op_sel:[0,1,0]
	v_pk_fma_f32 v[0:1], v[20:21], v[72:73], v[0:1] op_sel:[1,1,0] op_sel_hi:[0,1,1] neg_lo:[1,0,0]
	v_pk_fma_f32 v[2:3], v[82:83], v[72:73], v[2:3] op_sel:[0,1,0]
	v_mov_b32_e32 v34, v75
	v_pk_fma_f32 v[4:5], v[78:79], v[74:75], v[4:5] op_sel_hi:[1,0,1]
	v_pk_fma_f32 v[6:7], v[80:81], v[74:75], v[6:7] op_sel_hi:[1,0,1]
	;; [unrolled: 1-line block ×4, first 2 shown]
	v_pk_fma_f32 v[60:61], v[78:79], v[34:35], v[4:5] op_sel:[1,0,0] op_sel_hi:[0,0,1] neg_lo:[1,0,0]
	v_pk_fma_f32 v[58:59], v[96:97], v[34:35], v[6:7] op_sel_hi:[1,0,1]
	v_pk_fma_f32 v[56:57], v[24:25], v[34:35], v[0:1] op_sel:[1,0,0] op_sel_hi:[0,0,1] neg_lo:[1,0,0]
	v_pk_fma_f32 v[54:55], v[84:85], v[34:35], v[2:3] op_sel_hi:[1,0,1]
	s_andn2_b64 exec, exec, s[12:13]
	s_cbranch_execnz .LBB53_41
; %bb.42:
	s_or_b64 exec, exec, s[12:13]
.LBB53_43:
	s_or_b64 exec, exec, s[10:11]
.LBB53_44:
	s_or_b64 exec, exec, s[8:9]
.LBB53_45:
	v_mov_b32_dpp v6, v59 row_shr:1 row_mask:0xf bank_mask:0xf
	v_add_f32_e32 v6, v59, v6
	v_mov_b32_dpp v0, v60 row_shr:1 row_mask:0xf bank_mask:0xf
	v_mov_b32_dpp v2, v61 row_shr:1 row_mask:0xf bank_mask:0xf
	v_mov_b32_dpp v7, v6 row_shr:2 row_mask:0xf bank_mask:0xf
	v_add_f32_e32 v6, v6, v7
	v_mov_b32_dpp v4, v58 row_shr:1 row_mask:0xf bank_mask:0xf
	v_add_f32_e32 v0, v60, v0
	v_mov_b32_dpp v7, v6 row_shr:4 row_mask:0xf bank_mask:0xe
	v_add_f32_e32 v6, v6, v7
	v_add_f32_e32 v2, v61, v2
	v_add_f32_e32 v4, v58, v4
	v_mov_b32_dpp v7, v6 row_shr:8 row_mask:0xf bank_mask:0xc
	v_add_f32_e32 v7, v6, v7
	v_mov_b32_dpp v6, v56 row_shr:1 row_mask:0xf bank_mask:0xf
	v_add_f32_e32 v6, v56, v6
	v_mov_b32_dpp v1, v0 row_shr:2 row_mask:0xf bank_mask:0xf
	v_mov_b32_dpp v3, v2 row_shr:2 row_mask:0xf bank_mask:0xf
	v_mov_b32_dpp v8, v6 row_shr:2 row_mask:0xf bank_mask:0xf
	v_add_f32_e32 v6, v6, v8
	v_mov_b32_dpp v5, v4 row_shr:2 row_mask:0xf bank_mask:0xf
	v_add_f32_e32 v0, v0, v1
	v_mov_b32_dpp v8, v6 row_shr:4 row_mask:0xf bank_mask:0xe
	v_add_f32_e32 v6, v6, v8
	v_add_f32_e32 v2, v2, v3
	v_add_f32_e32 v4, v4, v5
	v_mov_b32_dpp v8, v6 row_shr:8 row_mask:0xf bank_mask:0xc
	v_add_f32_e32 v10, v6, v8
	;; [unrolled: 14-line block ×4, first 2 shown]
	v_mov_b32_dpp v6, v55 row_shr:1 row_mask:0xf bank_mask:0xf
	v_add_f32_e32 v6, v55, v6
	v_mov_b32_dpp v1, v0 row_bcast:15 row_mask:0xa bank_mask:0xf
	v_mov_b32_dpp v3, v2 row_bcast:15 row_mask:0xa bank_mask:0xf
	v_mov_b32_dpp v8, v6 row_shr:2 row_mask:0xf bank_mask:0xf
	v_add_f32_e32 v6, v6, v8
	v_mov_b32_dpp v5, v4 row_bcast:15 row_mask:0xa bank_mask:0xf
	v_mov_b32_dpp v9, v7 row_bcast:15 row_mask:0xa bank_mask:0xf
	v_mov_b32_dpp v8, v6 row_shr:4 row_mask:0xf bank_mask:0xe
	v_add_f32_e32 v6, v6, v8
	v_mov_b32_dpp v11, v10 row_bcast:15 row_mask:0xa bank_mask:0xf
	v_mov_b32_dpp v15, v13 row_bcast:15 row_mask:0xa bank_mask:0xf
	v_mov_b32_dpp v8, v6 row_shr:8 row_mask:0xf bank_mask:0xc
	v_add_f32_e32 v18, v6, v8
	v_mov_b32_dpp v17, v16 row_bcast:15 row_mask:0xa bank_mask:0xf
	v_cmp_eq_u32_e32 vcc, 31, v46
	v_mov_b32_dpp v19, v18 row_bcast:15 row_mask:0xa bank_mask:0xf
	s_and_b64 exec, exec, vcc
	s_cbranch_execz .LBB53_14
; %bb.46:
	s_load_dwordx2 s[2:3], s[4:5], 0x58
	v_add_f32_e32 v8, v0, v1
	v_and_b32_e32 v1, 0x7fffffff, v42
	v_cmp_eq_u32_e32 vcc, 0, v1
	v_cmp_eq_f32_e64 s[0:1], 0, v43
	v_add_f32_e32 v14, v2, v3
	v_add_f32_e32 v6, v4, v5
	;; [unrolled: 1-line block ×7, first 2 shown]
	s_and_b64 s[0:1], vcc, s[0:1]
	v_lshlrev_b64 v[16:17], 5, v[44:45]
	s_and_saveexec_b64 s[4:5], s[0:1]
	s_xor_b64 s[0:1], exec, s[4:5]
	s_cbranch_execz .LBB53_48
; %bb.47:
	v_xor_b32_e32 v18, 0x80000000, v41
	v_mov_b32_e32 v19, v40
	v_pk_mul_f32 v[14:15], v[14:15], v[18:19] op_sel_hi:[0,1]
	s_waitcnt lgkmcnt(0)
	v_mov_b32_e32 v1, s3
	v_add_co_u32_e32 v20, vcc, s2, v16
	v_pk_fma_f32 v[14:15], v[40:41], v[8:9], v[14:15] op_sel_hi:[1,0,1]
	v_pk_mul_f32 v[8:9], v[12:13], v[18:19] op_sel_hi:[0,1]
	v_addc_co_u32_e32 v21, vcc, v1, v17, vcc
	v_pk_fma_f32 v[16:17], v[40:41], v[6:7], v[8:9] op_sel_hi:[1,0,1]
	v_pk_mul_f32 v[6:7], v[10:11], v[18:19] op_sel_hi:[0,1]
	v_pk_mul_f32 v[4:5], v[4:5], v[18:19] op_sel_hi:[0,1]
	v_pk_fma_f32 v[2:3], v[40:41], v[2:3], v[6:7] op_sel_hi:[1,0,1]
	v_pk_fma_f32 v[4:5], v[40:41], v[0:1], v[4:5] op_sel_hi:[1,0,1]
	global_store_dwordx4 v[20:21], v[14:17], off
	global_store_dwordx4 v[20:21], v[2:5], off offset:16
                                        ; implicit-def: $vgpr41
                                        ; implicit-def: $vgpr42
                                        ; implicit-def: $vgpr8
                                        ; implicit-def: $vgpr14
                                        ; implicit-def: $vgpr6
                                        ; implicit-def: $vgpr12
                                        ; implicit-def: $vgpr2
                                        ; implicit-def: $vgpr10
                                        ; implicit-def: $vgpr0
                                        ; implicit-def: $vgpr4
                                        ; implicit-def: $vgpr16_vgpr17
.LBB53_48:
	s_andn2_saveexec_b64 s[0:1], s[0:1]
	s_cbranch_execz .LBB53_14
; %bb.49:
	s_waitcnt lgkmcnt(0)
	v_mov_b32_e32 v1, s3
	v_add_co_u32_e32 v24, vcc, s2, v16
	v_addc_co_u32_e32 v25, vcc, v1, v17, vcc
	global_load_dwordx4 v[16:19], v[24:25], off
	global_load_dwordx4 v[20:23], v[24:25], off offset:16
	v_xor_b32_e32 v26, 0x80000000, v41
	v_mov_b32_e32 v27, v40
	v_pk_mul_f32 v[14:15], v[14:15], v[26:27] op_sel_hi:[0,1]
	v_pk_mul_f32 v[12:13], v[12:13], v[26:27] op_sel_hi:[0,1]
	;; [unrolled: 1-line block ×4, first 2 shown]
	v_pk_fma_f32 v[8:9], v[40:41], v[8:9], v[14:15] op_sel_hi:[1,0,1]
	v_pk_fma_f32 v[6:7], v[40:41], v[6:7], v[12:13] op_sel_hi:[1,0,1]
	v_xor_b32_e32 v28, 0x80000000, v43
	v_mov_b32_e32 v29, v42
	v_pk_fma_f32 v[2:3], v[40:41], v[2:3], v[10:11] op_sel_hi:[1,0,1]
	v_pk_fma_f32 v[0:1], v[40:41], v[0:1], v[4:5] op_sel_hi:[1,0,1]
	s_waitcnt vmcnt(1)
	v_pk_fma_f32 v[4:5], v[42:43], v[16:17], v[8:9] op_sel_hi:[1,0,1]
	v_pk_fma_f32 v[6:7], v[42:43], v[18:19], v[6:7] op_sel_hi:[1,0,1]
	v_mov_b32_e32 v8, v19
	s_waitcnt vmcnt(0)
	v_pk_fma_f32 v[10:11], v[42:43], v[20:21], v[2:3] op_sel_hi:[1,0,1]
	v_pk_fma_f32 v[12:13], v[42:43], v[22:23], v[0:1] op_sel_hi:[1,0,1]
	v_mov_b32_e32 v14, v23
	v_pk_fma_f32 v[0:1], v[28:29], v[16:17], v[4:5] op_sel:[0,1,0]
	v_pk_fma_f32 v[2:3], v[28:29], v[8:9], v[6:7] op_sel_hi:[1,0,1]
	v_pk_fma_f32 v[4:5], v[28:29], v[20:21], v[10:11] op_sel:[0,1,0]
	v_pk_fma_f32 v[6:7], v[28:29], v[14:15], v[12:13] op_sel_hi:[1,0,1]
	global_store_dwordx4 v[24:25], v[0:3], off
	global_store_dwordx4 v[24:25], v[4:7], off offset:16
	s_endpgm
	.section	.rodata,"a",@progbits
	.p2align	6, 0x0
	.amdhsa_kernel _ZN9rocsparseL18bsrxmvn_4x4_kernelILj128ELj32E21rocsparse_complex_numIfEllS2_S2_S2_EEvT3_20rocsparse_direction_NS_24const_host_device_scalarIT1_EES3_PKS3_PKT2_SC_S9_PKT4_PKT5_S7_PT6_21rocsparse_index_base_b
		.amdhsa_group_segment_fixed_size 0
		.amdhsa_private_segment_fixed_size 0
		.amdhsa_kernarg_size 104
		.amdhsa_user_sgpr_count 6
		.amdhsa_user_sgpr_private_segment_buffer 1
		.amdhsa_user_sgpr_dispatch_ptr 0
		.amdhsa_user_sgpr_queue_ptr 0
		.amdhsa_user_sgpr_kernarg_segment_ptr 1
		.amdhsa_user_sgpr_dispatch_id 0
		.amdhsa_user_sgpr_flat_scratch_init 0
		.amdhsa_user_sgpr_kernarg_preload_length 0
		.amdhsa_user_sgpr_kernarg_preload_offset 0
		.amdhsa_user_sgpr_private_segment_size 0
		.amdhsa_uses_dynamic_stack 0
		.amdhsa_system_sgpr_private_segment_wavefront_offset 0
		.amdhsa_system_sgpr_workgroup_id_x 1
		.amdhsa_system_sgpr_workgroup_id_y 0
		.amdhsa_system_sgpr_workgroup_id_z 0
		.amdhsa_system_sgpr_workgroup_info 0
		.amdhsa_system_vgpr_workitem_id 0
		.amdhsa_next_free_vgpr 106
		.amdhsa_next_free_sgpr 22
		.amdhsa_accum_offset 108
		.amdhsa_reserve_vcc 1
		.amdhsa_reserve_flat_scratch 0
		.amdhsa_float_round_mode_32 0
		.amdhsa_float_round_mode_16_64 0
		.amdhsa_float_denorm_mode_32 3
		.amdhsa_float_denorm_mode_16_64 3
		.amdhsa_dx10_clamp 1
		.amdhsa_ieee_mode 1
		.amdhsa_fp16_overflow 0
		.amdhsa_tg_split 0
		.amdhsa_exception_fp_ieee_invalid_op 0
		.amdhsa_exception_fp_denorm_src 0
		.amdhsa_exception_fp_ieee_div_zero 0
		.amdhsa_exception_fp_ieee_overflow 0
		.amdhsa_exception_fp_ieee_underflow 0
		.amdhsa_exception_fp_ieee_inexact 0
		.amdhsa_exception_int_div_zero 0
	.end_amdhsa_kernel
	.section	.text._ZN9rocsparseL18bsrxmvn_4x4_kernelILj128ELj32E21rocsparse_complex_numIfEllS2_S2_S2_EEvT3_20rocsparse_direction_NS_24const_host_device_scalarIT1_EES3_PKS3_PKT2_SC_S9_PKT4_PKT5_S7_PT6_21rocsparse_index_base_b,"axG",@progbits,_ZN9rocsparseL18bsrxmvn_4x4_kernelILj128ELj32E21rocsparse_complex_numIfEllS2_S2_S2_EEvT3_20rocsparse_direction_NS_24const_host_device_scalarIT1_EES3_PKS3_PKT2_SC_S9_PKT4_PKT5_S7_PT6_21rocsparse_index_base_b,comdat
.Lfunc_end53:
	.size	_ZN9rocsparseL18bsrxmvn_4x4_kernelILj128ELj32E21rocsparse_complex_numIfEllS2_S2_S2_EEvT3_20rocsparse_direction_NS_24const_host_device_scalarIT1_EES3_PKS3_PKT2_SC_S9_PKT4_PKT5_S7_PT6_21rocsparse_index_base_b, .Lfunc_end53-_ZN9rocsparseL18bsrxmvn_4x4_kernelILj128ELj32E21rocsparse_complex_numIfEllS2_S2_S2_EEvT3_20rocsparse_direction_NS_24const_host_device_scalarIT1_EES3_PKS3_PKT2_SC_S9_PKT4_PKT5_S7_PT6_21rocsparse_index_base_b
                                        ; -- End function
	.section	.AMDGPU.csdata,"",@progbits
; Kernel info:
; codeLenInByte = 7460
; NumSgprs: 26
; NumVgprs: 106
; NumAgprs: 0
; TotalNumVgprs: 106
; ScratchSize: 0
; MemoryBound: 0
; FloatMode: 240
; IeeeMode: 1
; LDSByteSize: 0 bytes/workgroup (compile time only)
; SGPRBlocks: 3
; VGPRBlocks: 13
; NumSGPRsForWavesPerEU: 26
; NumVGPRsForWavesPerEU: 106
; AccumOffset: 108
; Occupancy: 4
; WaveLimiterHint : 1
; COMPUTE_PGM_RSRC2:SCRATCH_EN: 0
; COMPUTE_PGM_RSRC2:USER_SGPR: 6
; COMPUTE_PGM_RSRC2:TRAP_HANDLER: 0
; COMPUTE_PGM_RSRC2:TGID_X_EN: 1
; COMPUTE_PGM_RSRC2:TGID_Y_EN: 0
; COMPUTE_PGM_RSRC2:TGID_Z_EN: 0
; COMPUTE_PGM_RSRC2:TIDIG_COMP_CNT: 0
; COMPUTE_PGM_RSRC3_GFX90A:ACCUM_OFFSET: 26
; COMPUTE_PGM_RSRC3_GFX90A:TG_SPLIT: 0
	.section	.text._ZN9rocsparseL18bsrxmvn_4x4_kernelILj128ELj64E21rocsparse_complex_numIfEllS2_S2_S2_EEvT3_20rocsparse_direction_NS_24const_host_device_scalarIT1_EES3_PKS3_PKT2_SC_S9_PKT4_PKT5_S7_PT6_21rocsparse_index_base_b,"axG",@progbits,_ZN9rocsparseL18bsrxmvn_4x4_kernelILj128ELj64E21rocsparse_complex_numIfEllS2_S2_S2_EEvT3_20rocsparse_direction_NS_24const_host_device_scalarIT1_EES3_PKS3_PKT2_SC_S9_PKT4_PKT5_S7_PT6_21rocsparse_index_base_b,comdat
	.globl	_ZN9rocsparseL18bsrxmvn_4x4_kernelILj128ELj64E21rocsparse_complex_numIfEllS2_S2_S2_EEvT3_20rocsparse_direction_NS_24const_host_device_scalarIT1_EES3_PKS3_PKT2_SC_S9_PKT4_PKT5_S7_PT6_21rocsparse_index_base_b ; -- Begin function _ZN9rocsparseL18bsrxmvn_4x4_kernelILj128ELj64E21rocsparse_complex_numIfEllS2_S2_S2_EEvT3_20rocsparse_direction_NS_24const_host_device_scalarIT1_EES3_PKS3_PKT2_SC_S9_PKT4_PKT5_S7_PT6_21rocsparse_index_base_b
	.p2align	8
	.type	_ZN9rocsparseL18bsrxmvn_4x4_kernelILj128ELj64E21rocsparse_complex_numIfEllS2_S2_S2_EEvT3_20rocsparse_direction_NS_24const_host_device_scalarIT1_EES3_PKS3_PKT2_SC_S9_PKT4_PKT5_S7_PT6_21rocsparse_index_base_b,@function
_ZN9rocsparseL18bsrxmvn_4x4_kernelILj128ELj64E21rocsparse_complex_numIfEllS2_S2_S2_EEvT3_20rocsparse_direction_NS_24const_host_device_scalarIT1_EES3_PKS3_PKT2_SC_S9_PKT4_PKT5_S7_PT6_21rocsparse_index_base_b: ; @_ZN9rocsparseL18bsrxmvn_4x4_kernelILj128ELj64E21rocsparse_complex_numIfEllS2_S2_S2_EEvT3_20rocsparse_direction_NS_24const_host_device_scalarIT1_EES3_PKS3_PKT2_SC_S9_PKT4_PKT5_S7_PT6_21rocsparse_index_base_b
; %bb.0:
	s_load_dwordx2 s[16:17], s[4:5], 0x60
	s_load_dwordx4 s[8:11], s[4:5], 0x10
	s_load_dwordx2 s[2:3], s[4:5], 0x50
	s_waitcnt lgkmcnt(0)
	s_bitcmp1_b32 s17, 0
	s_cselect_b64 s[0:1], -1, 0
	s_xor_b64 s[12:13], s[0:1], -1
	s_and_b64 vcc, exec, s[0:1]
	v_mov_b32_e32 v36, s8
	s_cbranch_vccnz .LBB54_2
; %bb.1:
	v_pk_mov_b32 v[2:3], s[8:9], s[8:9] op_sel:[0,1]
	flat_load_dword v36, v[2:3]
.LBB54_2:
	v_cndmask_b32_e64 v1, 0, 1, s[12:13]
	v_cmp_ne_u32_e64 s[0:1], 1, v1
	s_andn2_b64 vcc, exec, s[12:13]
	v_mov_b32_e32 v37, s9
	s_cbranch_vccz .LBB54_15
; %bb.3:
	s_and_b64 vcc, exec, s[0:1]
	v_mov_b32_e32 v38, s2
	s_cbranch_vccz .LBB54_16
.LBB54_4:
	s_and_b64 vcc, exec, s[0:1]
	v_mov_b32_e32 v39, s3
	s_cbranch_vccnz .LBB54_6
.LBB54_5:
	v_pk_mov_b32 v[2:3], s[2:3], s[2:3] op_sel:[0,1]
	flat_load_dword v39, v[2:3] offset:4
.LBB54_6:
	s_waitcnt vmcnt(0) lgkmcnt(0)
	v_and_b32_e32 v1, 0x7fffffff, v36
	v_cmp_eq_u32_e32 vcc, 0, v1
	v_cmp_eq_f32_e64 s[0:1], 0, v37
	s_and_b64 s[8:9], vcc, s[0:1]
	s_mov_b64 s[0:1], -1
	s_and_saveexec_b64 s[2:3], s[8:9]
; %bb.7:
	v_and_b32_e32 v1, 0x7fffffff, v39
	v_cmp_neq_f32_e32 vcc, 1.0, v38
	v_cmp_ne_u32_e64 s[0:1], 0, v1
	s_or_b64 s[0:1], vcc, s[0:1]
	s_orn2_b64 s[0:1], s[0:1], exec
; %bb.8:
	s_or_b64 exec, exec, s[2:3]
	s_and_saveexec_b64 s[2:3], s[0:1]
	s_cbranch_execz .LBB54_14
; %bb.9:
	s_load_dwordx2 s[2:3], s[4:5], 0x20
	v_lshrrev_b32_e32 v1, 6, v0
	v_lshl_or_b32 v2, s6, 1, v1
	v_mov_b32_e32 v3, 0
	s_mov_b64 s[0:1], 0
	s_waitcnt lgkmcnt(0)
	s_cmp_lg_u64 s[2:3], 0
	s_cbranch_scc0 .LBB54_17
; %bb.10:
	v_cmp_gt_i64_e32 vcc, s[10:11], v[2:3]
                                        ; implicit-def: $vgpr40_vgpr41
	s_and_saveexec_b64 s[6:7], vcc
	s_xor_b64 s[6:7], exec, s[6:7]
                                        ; implicit-def: $sgpr18_sgpr19
	s_cbranch_execz .LBB54_12
; %bb.11:
	v_lshlrev_b64 v[4:5], 3, v[2:3]
	v_mov_b32_e32 v1, s3
	v_add_co_u32_e32 v4, vcc, s2, v4
	v_addc_co_u32_e32 v5, vcc, v1, v5, vcc
	global_load_dwordx2 v[4:5], v[4:5], off
	s_mov_b64 s[0:1], exec
	s_mov_b32 s19, 0
	s_waitcnt vmcnt(0)
	v_subrev_co_u32_e32 v40, vcc, s16, v4
	v_subbrev_co_u32_e32 v41, vcc, 0, v5, vcc
.LBB54_12:
	s_or_b64 exec, exec, s[6:7]
.LBB54_13:
	s_and_b64 exec, exec, s[0:1]
	s_cbranch_execnz .LBB54_21
.LBB54_14:
	s_endpgm
.LBB54_15:
	v_pk_mov_b32 v[2:3], s[8:9], s[8:9] op_sel:[0,1]
	flat_load_dword v37, v[2:3] offset:4
	s_and_b64 vcc, exec, s[0:1]
	v_mov_b32_e32 v38, s2
	s_cbranch_vccnz .LBB54_4
.LBB54_16:
	v_pk_mov_b32 v[2:3], s[2:3], s[2:3] op_sel:[0,1]
	flat_load_dword v38, v[2:3]
	s_and_b64 vcc, exec, s[0:1]
	v_mov_b32_e32 v39, s3
	s_cbranch_vccz .LBB54_5
	s_branch .LBB54_6
.LBB54_17:
                                        ; implicit-def: $vgpr40_vgpr41
                                        ; implicit-def: $sgpr18_sgpr19
	s_cbranch_execz .LBB54_13
; %bb.18:
	s_load_dwordx2 s[2:3], s[4:5], 0x0
                                        ; implicit-def: $vgpr40_vgpr41
	s_waitcnt lgkmcnt(0)
	v_cmp_gt_i64_e32 vcc, s[2:3], v[2:3]
	s_and_saveexec_b64 s[2:3], vcc
                                        ; implicit-def: $sgpr18_sgpr19
; %bb.19:
	s_mov_b32 s19, 0
	s_or_b64 s[0:1], s[0:1], exec
	v_pk_mov_b32 v[40:41], v[2:3], v[2:3] op_sel:[0,1]
; %bb.20:
	s_or_b64 exec, exec, s[2:3]
	s_and_b64 exec, exec, s[0:1]
	s_cbranch_execz .LBB54_14
.LBB54_21:
	s_load_dwordx8 s[8:15], s[4:5], 0x28
	v_lshlrev_b64 v[2:3], 3, v[40:41]
	v_and_b32_e32 v42, 63, v0
	v_mov_b32_e32 v0, s19
	v_mov_b32_e32 v57, 0
	s_waitcnt lgkmcnt(0)
	v_mov_b32_e32 v1, s9
	v_add_co_u32_e32 v4, vcc, s8, v2
	v_addc_co_u32_e32 v5, vcc, v1, v3, vcc
	v_add_co_u32_e32 v1, vcc, 8, v4
	global_load_dwordx2 v[26:27], v[4:5], off
	v_addc_co_u32_e32 v4, vcc, 0, v5, vcc
	v_mov_b32_e32 v5, s11
	v_add_co_u32_e32 v2, vcc, s10, v2
	s_cmp_eq_u64 s[10:11], 0
	v_addc_co_u32_e32 v3, vcc, v5, v3, vcc
	s_cselect_b64 vcc, -1, 0
	v_cndmask_b32_e32 v3, v3, v4, vcc
	v_cndmask_b32_e32 v2, v2, v1, vcc
	global_load_dwordx2 v[2:3], v[2:3], off
	s_load_dwordx2 s[6:7], s[4:5], 0x48
	s_load_dword s0, s[4:5], 0x8
	v_mov_b32_e32 v4, s15
	s_waitcnt lgkmcnt(0)
	s_cmp_eq_u32 s0, 1
	s_waitcnt vmcnt(1)
	v_subrev_co_u32_e32 v1, vcc, s16, v26
	v_subb_co_u32_e32 v5, vcc, v27, v0, vcc
	v_add_co_u32_e32 v44, vcc, v1, v42
	v_addc_co_u32_e32 v45, vcc, 0, v5, vcc
	s_waitcnt vmcnt(0)
	v_subrev_co_u32_e32 v46, vcc, s16, v2
	v_subb_co_u32_e32 v47, vcc, v3, v0, vcc
	v_lshlrev_b64 v[0:1], 7, v[44:45]
	v_add_co_u32_e32 v48, vcc, s14, v0
	v_addc_co_u32_e32 v49, vcc, v4, v1, vcc
	v_cmp_lt_i64_e64 s[0:1], v[44:45], v[46:47]
	s_cbranch_scc1 .LBB54_33
; %bb.22:
	v_mov_b32_e32 v56, 0
	v_mov_b32_e32 v51, 0
	;; [unrolled: 1-line block ×7, first 2 shown]
	s_and_saveexec_b64 s[8:9], s[0:1]
	s_cbranch_execz .LBB54_32
; %bb.23:
	v_or_b32_e32 v0, 64, v42
	v_mov_b32_e32 v1, s19
	v_subrev_co_u32_e32 v0, vcc, s16, v0
	v_subb_co_u32_e32 v1, vcc, 0, v1, vcc
	v_add_co_u32_e32 v0, vcc, v0, v26
	v_addc_co_u32_e32 v1, vcc, v1, v27, vcc
	v_cmp_gt_i64_e32 vcc, v[0:1], v[46:47]
	v_cndmask_b32_e32 v1, v47, v1, vcc
	v_cndmask_b32_e32 v0, v46, v0, vcc
	v_mov_b32_e32 v4, s19
	v_sub_co_u32_e32 v5, vcc, s16, v42
	v_not_b32_e32 v3, v26
	v_subbrev_co_u32_e32 v4, vcc, 0, v4, vcc
	v_not_b32_e32 v2, v27
	v_add_co_u32_e32 v3, vcc, v5, v3
	v_addc_co_u32_e32 v2, vcc, v4, v2, vcc
	v_add_co_u32_e32 v0, vcc, v3, v0
	v_addc_co_u32_e32 v1, vcc, v2, v1, vcc
	v_lshrrev_b32_e32 v2, 6, v0
	v_add_u32_e32 v2, 1, v2
	v_and_b32_e32 v2, 3, v2
	v_mov_b32_e32 v55, 0
	v_cmp_ne_u32_e32 vcc, 0, v2
	v_mov_b32_e32 v54, v55
	v_mov_b32_e32 v53, v55
	;; [unrolled: 1-line block ×7, first 2 shown]
	v_pk_mov_b32 v[28:29], v[48:49], v[48:49] op_sel:[0,1]
	v_pk_mov_b32 v[30:31], v[44:45], v[44:45] op_sel:[0,1]
	s_and_saveexec_b64 s[10:11], vcc
	s_cbranch_execz .LBB54_27
; %bb.24:
	v_lshlrev_b64 v[4:5], 3, v[44:45]
	v_mov_b32_e32 v3, 0
	v_mov_b32_e32 v6, s13
	v_add_co_u32_e32 v4, vcc, s12, v4
	v_addc_co_u32_e32 v5, vcc, v6, v5, vcc
	v_lshlrev_b32_e32 v2, 3, v2
	s_mov_b64 s[14:15], 0
	s_movk_i32 s17, 0x2000
	v_mov_b32_e32 v6, s19
	v_mov_b32_e32 v7, s7
	v_pk_mov_b32 v[30:31], v[44:45], v[44:45] op_sel:[0,1]
	v_pk_mov_b32 v[28:29], v[48:49], v[48:49] op_sel:[0,1]
	v_mov_b32_e32 v54, v3
	v_mov_b32_e32 v55, v3
	;; [unrolled: 1-line block ×8, first 2 shown]
.LBB54_25:                              ; =>This Inner Loop Header: Depth=1
	global_load_dwordx2 v[24:25], v[4:5], off
	global_load_dwordx4 v[8:11], v[28:29], off offset:16
	global_load_dwordx4 v[12:15], v[28:29], off
	global_load_dwordx4 v[16:19], v[28:29], off offset:48
	global_load_dwordx4 v[20:23], v[28:29], off offset:32
	;; [unrolled: 1-line block ×6, first 2 shown]
	v_add_co_u32_e64 v30, s[2:3], 64, v30
	v_addc_co_u32_e64 v31, s[2:3], 0, v31, s[2:3]
	v_add_co_u32_e64 v2, s[2:3], -8, v2
	v_addc_co_u32_e64 v3, s[2:3], -1, v3, s[2:3]
	v_cmp_eq_u64_e64 s[2:3], 0, v[2:3]
	s_or_b64 s[14:15], s[2:3], s[14:15]
	s_waitcnt vmcnt(8)
	v_subrev_co_u32_e32 v24, vcc, s16, v24
	v_subb_co_u32_e32 v25, vcc, v25, v6, vcc
	v_lshlrev_b64 v[24:25], 5, v[24:25]
	v_add_co_u32_e32 v24, vcc, s6, v24
	v_addc_co_u32_e32 v25, vcc, v7, v25, vcc
	global_load_dwordx4 v[70:73], v[24:25], off
	global_load_dwordx4 v[74:77], v[24:25], off offset:16
	s_waitcnt vmcnt(8)
	v_xor_b32_e32 v24, 0x80000000, v15
	v_mov_b32_e32 v25, v14
	s_waitcnt vmcnt(6)
	v_xor_b32_e32 v80, 0x80000000, v23
	v_mov_b32_e32 v81, v22
	;; [unrolled: 3-line block ×3, first 2 shown]
	v_xor_b32_e32 v88, 0x80000000, v61
	v_mov_b32_e32 v89, v60
	v_add_co_u32_e32 v28, vcc, s17, v28
	v_addc_co_u32_e32 v29, vcc, 0, v29, vcc
	v_add_co_u32_e32 v4, vcc, 0x200, v4
	v_xor_b32_e32 v78, 0x80000000, v11
	v_mov_b32_e32 v79, v10
	v_xor_b32_e32 v82, 0x80000000, v19
	v_mov_b32_e32 v83, v18
	;; [unrolled: 2-line block ×4, first 2 shown]
	v_addc_co_u32_e32 v5, vcc, 0, v5, vcc
	s_waitcnt vmcnt(1)
	v_pk_fma_f32 v[56:57], v[12:13], v[70:71], v[56:57] op_sel_hi:[1,0,1]
	v_pk_fma_f32 v[54:55], v[20:21], v[70:71], v[54:55] op_sel_hi:[1,0,1]
	;; [unrolled: 1-line block ×4, first 2 shown]
	v_pk_fma_f32 v[12:13], v[12:13], v[70:71], v[56:57] op_sel:[1,1,0] op_sel_hi:[0,1,1] neg_lo:[1,0,0]
	v_pk_fma_f32 v[20:21], v[20:21], v[70:71], v[54:55] op_sel:[1,1,0] op_sel_hi:[0,1,1] neg_lo:[1,0,0]
	v_pk_fma_f32 v[52:53], v[66:67], v[70:71], v[52:53] op_sel:[1,1,0] op_sel_hi:[0,1,1] neg_lo:[1,0,0]
	v_pk_fma_f32 v[50:51], v[58:59], v[70:71], v[50:51] op_sel:[1,1,0] op_sel_hi:[0,1,1] neg_lo:[1,0,0]
	v_mov_b32_e32 v92, v73
	v_pk_fma_f32 v[12:13], v[14:15], v[72:73], v[12:13] op_sel_hi:[1,0,1]
	v_pk_fma_f32 v[14:15], v[22:23], v[72:73], v[20:21] op_sel_hi:[1,0,1]
	;; [unrolled: 1-line block ×8, first 2 shown]
	s_waitcnt vmcnt(0)
	v_pk_fma_f32 v[12:13], v[8:9], v[74:75], v[12:13] op_sel_hi:[1,0,1]
	v_pk_fma_f32 v[14:15], v[16:17], v[74:75], v[14:15] op_sel_hi:[1,0,1]
	;; [unrolled: 1-line block ×4, first 2 shown]
	v_pk_fma_f32 v[8:9], v[8:9], v[74:75], v[12:13] op_sel:[1,1,0] op_sel_hi:[0,1,1] neg_lo:[1,0,0]
	v_pk_fma_f32 v[12:13], v[16:17], v[74:75], v[14:15] op_sel:[1,1,0] op_sel_hi:[0,1,1] neg_lo:[1,0,0]
	;; [unrolled: 1-line block ×4, first 2 shown]
	v_mov_b32_e32 v94, v77
	v_pk_fma_f32 v[8:9], v[10:11], v[76:77], v[8:9] op_sel_hi:[1,0,1]
	v_pk_fma_f32 v[10:11], v[18:19], v[76:77], v[12:13] op_sel_hi:[1,0,1]
	;; [unrolled: 1-line block ×8, first 2 shown]
	s_andn2_b64 exec, exec, s[14:15]
	s_cbranch_execnz .LBB54_25
; %bb.26:
	s_or_b64 exec, exec, s[14:15]
.LBB54_27:
	s_or_b64 exec, exec, s[10:11]
	s_mov_b64 s[2:3], 0xbf
	v_cmp_lt_u64_e32 vcc, s[2:3], v[0:1]
	s_and_saveexec_b64 s[10:11], vcc
	s_cbranch_execz .LBB54_31
; %bb.28:
	v_lshlrev_b64 v[0:1], 3, v[30:31]
	v_mov_b32_e32 v2, s13
	v_add_co_u32_e32 v0, vcc, s12, v0
	v_addc_co_u32_e32 v1, vcc, v1, v2, vcc
	v_add_co_u32_e32 v32, vcc, 0x400, v0
	v_addc_co_u32_e32 v33, vcc, 0, v1, vcc
	s_mov_b64 s[14:15], 0
	v_mov_b32_e32 v43, s19
	v_mov_b32_e32 v58, s7
	s_movk_i32 s17, 0x2000
	s_movk_i32 s18, 0x4000
	;; [unrolled: 1-line block ×4, first 2 shown]
.LBB54_29:                              ; =>This Inner Loop Header: Depth=1
	global_load_dwordx2 v[0:1], v[32:33], off offset:-1024
	s_waitcnt vmcnt(0)
	v_subrev_co_u32_e32 v0, vcc, s16, v0
	v_subb_co_u32_e32 v1, vcc, v1, v43, vcc
	v_lshlrev_b64 v[0:1], 5, v[0:1]
	v_add_co_u32_e32 v4, vcc, s6, v0
	v_addc_co_u32_e32 v5, vcc, v58, v1, vcc
	global_load_dwordx4 v[0:3], v[4:5], off offset:16
	global_load_dwordx4 v[22:25], v[4:5], off
	global_load_dwordx2 v[6:7], v[32:33], off offset:-512
	s_waitcnt vmcnt(2)
	v_mov_b32_e32 v88, v3
	s_waitcnt vmcnt(0)
	v_subrev_co_u32_e32 v4, vcc, s16, v6
	v_subb_co_u32_e32 v5, vcc, v7, v43, vcc
	v_lshlrev_b64 v[4:5], 5, v[4:5]
	v_add_co_u32_e32 v20, vcc, s6, v4
	v_addc_co_u32_e32 v21, vcc, v58, v5, vcc
	global_load_dwordx4 v[4:7], v[20:21], off offset:16
	global_load_dwordx4 v[8:11], v[20:21], off
	global_load_dwordx4 v[60:63], v[28:29], off offset:48
	global_load_dwordx4 v[64:67], v[28:29], off offset:32
	;; [unrolled: 1-line block ×3, first 2 shown]
	global_load_dwordx4 v[16:19], v[28:29], off
	v_add_co_u32_e32 v90, vcc, s17, v28
	v_addc_co_u32_e32 v91, vcc, 0, v29, vcc
	s_waitcnt vmcnt(4)
	v_mov_b32_e32 v94, v11
	s_waitcnt vmcnt(2)
	v_xor_b32_e32 v34, 0x80000000, v67
	v_mov_b32_e32 v35, v66
	s_waitcnt vmcnt(0)
	v_pk_fma_f32 v[20:21], v[16:17], v[22:23], v[56:57] op_sel_hi:[1,0,1]
	v_pk_fma_f32 v[16:17], v[16:17], v[22:23], v[20:21] op_sel:[1,1,0] op_sel_hi:[0,1,1] neg_lo:[1,0,0]
	v_xor_b32_e32 v20, 0x80000000, v19
	v_pk_fma_f32 v[16:17], v[18:19], v[24:25], v[16:17] op_sel_hi:[1,0,1]
	v_mov_b32_e32 v21, v18
	v_mov_b32_e32 v56, v25
	v_pk_fma_f32 v[16:17], v[20:21], v[56:57], v[16:17] op_sel_hi:[1,0,1]
	v_pk_fma_f32 v[16:17], v[12:13], v[0:1], v[16:17] op_sel_hi:[1,0,1]
	v_pk_fma_f32 v[12:13], v[12:13], v[0:1], v[16:17] op_sel:[1,1,0] op_sel_hi:[0,1,1] neg_lo:[1,0,0]
	v_xor_b32_e32 v16, 0x80000000, v15
	v_pk_fma_f32 v[12:13], v[14:15], v[2:3], v[12:13] op_sel_hi:[1,0,1]
	v_mov_b32_e32 v17, v14
	v_pk_fma_f32 v[16:17], v[16:17], v[88:89], v[12:13] op_sel_hi:[1,0,1]
	global_load_dwordx4 v[68:71], v[90:91], off
	global_load_dwordx4 v[12:15], v[90:91], off offset:48
	global_load_dwordx4 v[18:21], v[90:91], off offset:32
	;; [unrolled: 1-line block ×3, first 2 shown]
	s_waitcnt vmcnt(3)
	v_pk_fma_f32 v[16:17], v[68:69], v[8:9], v[16:17] op_sel_hi:[1,0,1]
	v_pk_fma_f32 v[68:69], v[68:69], v[8:9], v[16:17] op_sel:[1,1,0] op_sel_hi:[0,1,1] neg_lo:[1,0,0]
	v_pk_fma_f32 v[16:17], v[64:65], v[22:23], v[54:55] op_sel_hi:[1,0,1]
	v_pk_fma_f32 v[16:17], v[64:65], v[22:23], v[16:17] op_sel:[1,1,0] op_sel_hi:[0,1,1] neg_lo:[1,0,0]
	v_pk_fma_f32 v[16:17], v[66:67], v[24:25], v[16:17] op_sel_hi:[1,0,1]
	v_pk_fma_f32 v[16:17], v[34:35], v[56:57], v[16:17] op_sel_hi:[1,0,1]
	;; [unrolled: 1-line block ×3, first 2 shown]
	v_pk_fma_f32 v[16:17], v[60:61], v[0:1], v[16:17] op_sel:[1,1,0] op_sel_hi:[0,1,1] neg_lo:[1,0,0]
	v_xor_b32_e32 v34, 0x80000000, v63
	v_pk_fma_f32 v[16:17], v[62:63], v[2:3], v[16:17] op_sel_hi:[1,0,1]
	v_mov_b32_e32 v35, v62
	v_pk_fma_f32 v[16:17], v[34:35], v[88:89], v[16:17] op_sel_hi:[1,0,1]
	s_waitcnt vmcnt(1)
	v_pk_fma_f32 v[16:17], v[18:19], v[8:9], v[16:17] op_sel_hi:[1,0,1]
	v_pk_fma_f32 v[54:55], v[18:19], v[8:9], v[16:17] op_sel:[1,1,0] op_sel_hi:[0,1,1] neg_lo:[1,0,0]
	global_load_dwordx4 v[16:19], v[28:29], off offset:112
	global_load_dwordx4 v[60:63], v[28:29], off offset:96
	;; [unrolled: 1-line block ×4, first 2 shown]
	v_xor_b32_e32 v92, 0x80000000, v71
	v_mov_b32_e32 v93, v70
	v_xor_b32_e32 v34, 0x80000000, v21
	v_mov_b32_e32 v35, v20
	s_waitcnt vmcnt(2)
	v_pk_fma_f32 v[50:51], v[60:61], v[22:23], v[50:51] op_sel_hi:[1,0,1]
	s_waitcnt vmcnt(0)
	v_pk_fma_f32 v[52:53], v[76:77], v[22:23], v[52:53] op_sel_hi:[1,0,1]
	v_pk_fma_f32 v[52:53], v[76:77], v[22:23], v[52:53] op_sel:[1,1,0] op_sel_hi:[0,1,1] neg_lo:[1,0,0]
	v_xor_b32_e32 v76, 0x80000000, v79
	v_pk_fma_f32 v[52:53], v[78:79], v[24:25], v[52:53] op_sel_hi:[1,0,1]
	v_mov_b32_e32 v77, v78
	v_pk_fma_f32 v[52:53], v[76:77], v[56:57], v[52:53] op_sel_hi:[1,0,1]
	v_pk_fma_f32 v[52:53], v[64:65], v[0:1], v[52:53] op_sel_hi:[1,0,1]
	v_pk_fma_f32 v[52:53], v[64:65], v[0:1], v[52:53] op_sel:[1,1,0] op_sel_hi:[0,1,1] neg_lo:[1,0,0]
	v_xor_b32_e32 v64, 0x80000000, v67
	v_pk_fma_f32 v[52:53], v[66:67], v[2:3], v[52:53] op_sel_hi:[1,0,1]
	v_mov_b32_e32 v65, v66
	v_pk_fma_f32 v[52:53], v[64:65], v[88:89], v[52:53] op_sel_hi:[1,0,1]
	global_load_dwordx4 v[64:67], v[90:91], off offset:112
	global_load_dwordx4 v[76:79], v[90:91], off offset:96
	;; [unrolled: 1-line block ×4, first 2 shown]
	v_pk_fma_f32 v[22:23], v[60:61], v[22:23], v[50:51] op_sel:[1,1,0] op_sel_hi:[0,1,1] neg_lo:[1,0,0]
	v_xor_b32_e32 v50, 0x80000000, v63
	v_pk_fma_f32 v[22:23], v[62:63], v[24:25], v[22:23] op_sel_hi:[1,0,1]
	v_mov_b32_e32 v51, v62
	v_pk_fma_f32 v[22:23], v[50:51], v[56:57], v[22:23] op_sel_hi:[1,0,1]
	v_pk_fma_f32 v[22:23], v[16:17], v[0:1], v[22:23] op_sel_hi:[1,0,1]
	v_pk_fma_f32 v[0:1], v[16:17], v[0:1], v[22:23] op_sel:[1,1,0] op_sel_hi:[0,1,1] neg_lo:[1,0,0]
	v_xor_b32_e32 v16, 0x80000000, v19
	v_pk_fma_f32 v[0:1], v[18:19], v[2:3], v[0:1] op_sel_hi:[1,0,1]
	v_mov_b32_e32 v17, v18
	v_pk_fma_f32 v[0:1], v[16:17], v[88:89], v[0:1] op_sel_hi:[1,0,1]
	v_mov_b32_e32 v17, v74
	v_xor_b32_e32 v16, 0x80000000, v75
	s_waitcnt vmcnt(2)
	v_pk_fma_f32 v[0:1], v[76:77], v[8:9], v[0:1] op_sel_hi:[1,0,1]
	v_pk_fma_f32 v[76:77], v[76:77], v[8:9], v[0:1] op_sel:[1,1,0] op_sel_hi:[0,1,1] neg_lo:[1,0,0]
	global_load_dwordx2 v[0:1], v[32:33], off
	s_waitcnt vmcnt(1)
	v_pk_fma_f32 v[52:53], v[84:85], v[8:9], v[52:53] op_sel_hi:[1,0,1]
	v_pk_fma_f32 v[84:85], v[84:85], v[8:9], v[52:53] op_sel:[1,1,0] op_sel_hi:[0,1,1] neg_lo:[1,0,0]
	v_xor_b32_e32 v90, 0x80000000, v87
	v_mov_b32_e32 v91, v86
	v_xor_b32_e32 v88, 0x80000000, v79
	v_mov_b32_e32 v89, v78
	s_waitcnt vmcnt(0)
	v_subrev_co_u32_e32 v0, vcc, s16, v0
	v_subb_co_u32_e32 v1, vcc, v1, v43, vcc
	v_lshlrev_b64 v[0:1], 5, v[0:1]
	v_add_co_u32_e32 v8, vcc, s6, v0
	v_addc_co_u32_e32 v9, vcc, v58, v1, vcc
	global_load_dwordx4 v[0:3], v[8:9], off offset:16
	global_load_dwordx4 v[50:53], v[8:9], off
	v_pk_fma_f32 v[8:9], v[70:71], v[10:11], v[68:69] op_sel_hi:[1,0,1]
	v_pk_fma_f32 v[8:9], v[92:93], v[94:95], v[8:9] op_sel_hi:[1,0,1]
	v_pk_fma_f32 v[8:9], v[72:73], v[4:5], v[8:9] op_sel_hi:[1,0,1]
	v_pk_fma_f32 v[8:9], v[72:73], v[4:5], v[8:9] op_sel:[1,1,0] op_sel_hi:[0,1,1] neg_lo:[1,0,0]
	v_pk_fma_f32 v[8:9], v[74:75], v[6:7], v[8:9] op_sel_hi:[1,0,1]
	v_add_co_u32_e32 v74, vcc, s18, v28
	v_mov_b32_e32 v72, v7
	v_addc_co_u32_e32 v75, vcc, 0, v29, vcc
	v_pk_fma_f32 v[8:9], v[16:17], v[72:73], v[8:9] op_sel_hi:[1,0,1]
	global_load_dwordx4 v[22:25], v[74:75], off
	global_load_dwordx4 v[16:19], v[74:75], off offset:48
	global_load_dwordx4 v[60:63], v[74:75], off offset:32
	;; [unrolled: 1-line block ×3, first 2 shown]
	s_waitcnt vmcnt(4)
	v_mov_b32_e32 v92, v53
	s_waitcnt vmcnt(3)
	v_pk_fma_f32 v[8:9], v[22:23], v[50:51], v[8:9] op_sel_hi:[1,0,1]
	v_pk_fma_f32 v[8:9], v[22:23], v[50:51], v[8:9] op_sel:[1,1,0] op_sel_hi:[0,1,1] neg_lo:[1,0,0]
	v_xor_b32_e32 v22, 0x80000000, v25
	v_pk_fma_f32 v[8:9], v[24:25], v[52:53], v[8:9] op_sel_hi:[1,0,1]
	v_mov_b32_e32 v23, v24
	v_pk_fma_f32 v[8:9], v[22:23], v[92:93], v[8:9] op_sel_hi:[1,0,1]
	s_waitcnt vmcnt(0)
	v_pk_fma_f32 v[96:97], v[68:69], v[0:1], v[8:9] op_sel_hi:[1,0,1]
	v_pk_fma_f32 v[8:9], v[20:21], v[10:11], v[54:55] op_sel_hi:[1,0,1]
	;; [unrolled: 1-line block ×4, first 2 shown]
	v_pk_fma_f32 v[8:9], v[12:13], v[4:5], v[8:9] op_sel:[1,1,0] op_sel_hi:[0,1,1] neg_lo:[1,0,0]
	v_xor_b32_e32 v12, 0x80000000, v15
	v_pk_fma_f32 v[8:9], v[14:15], v[6:7], v[8:9] op_sel_hi:[1,0,1]
	v_mov_b32_e32 v13, v14
	v_pk_fma_f32 v[8:9], v[12:13], v[72:73], v[8:9] op_sel_hi:[1,0,1]
	v_pk_fma_f32 v[8:9], v[60:61], v[50:51], v[8:9] op_sel_hi:[1,0,1]
	v_pk_fma_f32 v[8:9], v[60:61], v[50:51], v[8:9] op_sel:[1,1,0] op_sel_hi:[0,1,1] neg_lo:[1,0,0]
	v_xor_b32_e32 v12, 0x80000000, v63
	v_pk_fma_f32 v[8:9], v[62:63], v[52:53], v[8:9] op_sel_hi:[1,0,1]
	v_mov_b32_e32 v13, v62
	v_pk_fma_f32 v[8:9], v[12:13], v[92:93], v[8:9] op_sel_hi:[1,0,1]
	v_pk_fma_f32 v[12:13], v[86:87], v[10:11], v[84:85] op_sel_hi:[1,0,1]
	;; [unrolled: 1-line block ×4, first 2 shown]
	v_pk_fma_f32 v[12:13], v[80:81], v[4:5], v[12:13] op_sel:[1,1,0] op_sel_hi:[0,1,1] neg_lo:[1,0,0]
	v_xor_b32_e32 v14, 0x80000000, v83
	v_pk_fma_f32 v[12:13], v[82:83], v[6:7], v[12:13] op_sel_hi:[1,0,1]
	v_mov_b32_e32 v15, v82
	v_pk_fma_f32 v[24:25], v[14:15], v[72:73], v[12:13] op_sel_hi:[1,0,1]
	global_load_dwordx4 v[12:15], v[74:75], off offset:112
	global_load_dwordx4 v[54:57], v[74:75], off offset:96
	;; [unrolled: 1-line block ×4, first 2 shown]
	v_pk_fma_f32 v[10:11], v[78:79], v[10:11], v[76:77] op_sel_hi:[1,0,1]
	v_pk_fma_f32 v[10:11], v[88:89], v[94:95], v[10:11] op_sel_hi:[1,0,1]
	;; [unrolled: 1-line block ×3, first 2 shown]
	v_pk_fma_f32 v[4:5], v[64:65], v[4:5], v[10:11] op_sel:[1,1,0] op_sel_hi:[0,1,1] neg_lo:[1,0,0]
	v_xor_b32_e32 v10, 0x80000000, v67
	v_pk_fma_f32 v[4:5], v[66:67], v[6:7], v[4:5] op_sel_hi:[1,0,1]
	v_mov_b32_e32 v11, v66
	v_pk_fma_f32 v[4:5], v[10:11], v[72:73], v[4:5] op_sel_hi:[1,0,1]
	v_xor_b32_e32 v10, 0x80000000, v71
	v_mov_b32_e32 v11, v70
	v_pk_fma_f32 v[8:9], v[16:17], v[0:1], v[8:9] op_sel_hi:[1,0,1]
	s_waitcnt vmcnt(2)
	v_pk_fma_f32 v[4:5], v[54:55], v[50:51], v[4:5] op_sel_hi:[1,0,1]
	v_pk_fma_f32 v[4:5], v[54:55], v[50:51], v[4:5] op_sel:[1,1,0] op_sel_hi:[0,1,1] neg_lo:[1,0,0]
	v_xor_b32_e32 v6, 0x80000000, v57
	v_pk_fma_f32 v[4:5], v[56:57], v[52:53], v[4:5] op_sel_hi:[1,0,1]
	v_mov_b32_e32 v7, v56
	v_pk_fma_f32 v[4:5], v[6:7], v[92:93], v[4:5] op_sel_hi:[1,0,1]
	global_load_dwordx2 v[6:7], v[32:33], off offset:512
	s_waitcnt vmcnt(1)
	v_pk_fma_f32 v[24:25], v[60:61], v[50:51], v[24:25] op_sel_hi:[1,0,1]
	v_pk_fma_f32 v[24:25], v[60:61], v[50:51], v[24:25] op_sel:[1,1,0] op_sel_hi:[0,1,1] neg_lo:[1,0,0]
	v_xor_b32_e32 v34, 0x80000000, v63
	v_pk_fma_f32 v[24:25], v[62:63], v[52:53], v[24:25] op_sel_hi:[1,0,1]
	v_mov_b32_e32 v35, v62
	v_pk_fma_f32 v[24:25], v[34:35], v[92:93], v[24:25] op_sel_hi:[1,0,1]
	v_mov_b32_e32 v34, v3
	v_pk_fma_f32 v[24:25], v[20:21], v[0:1], v[24:25] op_sel_hi:[1,0,1]
	v_pk_fma_f32 v[4:5], v[12:13], v[0:1], v[4:5] op_sel_hi:[1,0,1]
	s_waitcnt vmcnt(0)
	v_subrev_co_u32_e32 v6, vcc, s16, v6
	v_subb_co_u32_e32 v7, vcc, v7, v43, vcc
	v_lshlrev_b64 v[6:7], 5, v[6:7]
	v_add_co_u32_e32 v6, vcc, s6, v6
	v_addc_co_u32_e32 v7, vcc, v58, v7, vcc
	global_load_dwordx4 v[60:63], v[6:7], off offset:16
	global_load_dwordx4 v[64:67], v[6:7], off
	v_pk_fma_f32 v[6:7], v[68:69], v[0:1], v[96:97] op_sel:[1,1,0] op_sel_hi:[0,1,1] neg_lo:[1,0,0]
	v_pk_fma_f32 v[6:7], v[70:71], v[2:3], v[6:7] op_sel_hi:[1,0,1]
	v_pk_fma_f32 v[6:7], v[10:11], v[34:35], v[6:7] op_sel_hi:[1,0,1]
	v_add_co_u32_e32 v10, vcc, s20, v28
	v_addc_co_u32_e32 v11, vcc, 0, v29, vcc
	global_load_dwordx4 v[50:53], v[10:11], off
	global_load_dwordx4 v[68:71], v[10:11], off offset:48
	global_load_dwordx4 v[72:75], v[10:11], off offset:32
	;; [unrolled: 1-line block ×3, first 2 shown]
	v_add_co_u32_e32 v30, vcc, s21, v30
	v_addc_co_u32_e32 v31, vcc, 0, v31, vcc
	v_add_co_u32_e32 v32, vcc, 0x800, v32
	v_addc_co_u32_e32 v33, vcc, 0, v33, vcc
	v_cmp_ge_i64_e64 s[2:3], v[30:31], v[46:47]
	v_add_co_u32_e32 v28, vcc, 0x8000, v28
	v_addc_co_u32_e32 v29, vcc, 0, v29, vcc
	s_or_b64 s[14:15], s[2:3], s[14:15]
	s_waitcnt vmcnt(5)
	v_mov_b32_e32 v78, v63
	s_waitcnt vmcnt(4)
	v_mov_b32_e32 v76, v67
	s_waitcnt vmcnt(3)
	v_pk_fma_f32 v[6:7], v[50:51], v[64:65], v[6:7] op_sel_hi:[1,0,1]
	v_pk_fma_f32 v[6:7], v[50:51], v[64:65], v[6:7] op_sel:[1,1,0] op_sel_hi:[0,1,1] neg_lo:[1,0,0]
	v_xor_b32_e32 v50, 0x80000000, v53
	v_pk_fma_f32 v[6:7], v[52:53], v[66:67], v[6:7] op_sel_hi:[1,0,1]
	v_mov_b32_e32 v51, v52
	v_pk_fma_f32 v[6:7], v[50:51], v[76:77], v[6:7] op_sel_hi:[1,0,1]
	s_waitcnt vmcnt(0)
	v_pk_fma_f32 v[6:7], v[54:55], v[60:61], v[6:7] op_sel_hi:[1,0,1]
	v_pk_fma_f32 v[6:7], v[54:55], v[60:61], v[6:7] op_sel:[1,1,0] op_sel_hi:[0,1,1] neg_lo:[1,0,0]
	v_xor_b32_e32 v50, 0x80000000, v57
	v_pk_fma_f32 v[6:7], v[56:57], v[62:63], v[6:7] op_sel_hi:[1,0,1]
	v_mov_b32_e32 v51, v56
	v_pk_fma_f32 v[56:57], v[50:51], v[78:79], v[6:7] op_sel_hi:[1,0,1]
	v_pk_fma_f32 v[6:7], v[16:17], v[0:1], v[8:9] op_sel:[1,1,0] op_sel_hi:[0,1,1] neg_lo:[1,0,0]
	v_xor_b32_e32 v8, 0x80000000, v19
	v_pk_fma_f32 v[6:7], v[18:19], v[2:3], v[6:7] op_sel_hi:[1,0,1]
	v_mov_b32_e32 v9, v18
	v_pk_fma_f32 v[6:7], v[8:9], v[34:35], v[6:7] op_sel_hi:[1,0,1]
	v_pk_fma_f32 v[6:7], v[72:73], v[64:65], v[6:7] op_sel_hi:[1,0,1]
	v_pk_fma_f32 v[6:7], v[72:73], v[64:65], v[6:7] op_sel:[1,1,0] op_sel_hi:[0,1,1] neg_lo:[1,0,0]
	v_xor_b32_e32 v8, 0x80000000, v75
	v_pk_fma_f32 v[6:7], v[74:75], v[66:67], v[6:7] op_sel_hi:[1,0,1]
	v_mov_b32_e32 v9, v74
	v_pk_fma_f32 v[6:7], v[8:9], v[76:77], v[6:7] op_sel_hi:[1,0,1]
	;; [unrolled: 6-line block ×3, first 2 shown]
	v_pk_fma_f32 v[6:7], v[20:21], v[0:1], v[24:25] op_sel:[1,1,0] op_sel_hi:[0,1,1] neg_lo:[1,0,0]
	v_xor_b32_e32 v8, 0x80000000, v23
	v_pk_fma_f32 v[6:7], v[22:23], v[2:3], v[6:7] op_sel_hi:[1,0,1]
	v_mov_b32_e32 v9, v22
	v_pk_fma_f32 v[24:25], v[8:9], v[34:35], v[6:7] op_sel_hi:[1,0,1]
	global_load_dwordx4 v[6:9], v[10:11], off offset:112
	global_load_dwordx4 v[16:19], v[10:11], off offset:96
	;; [unrolled: 1-line block ×4, first 2 shown]
	v_pk_fma_f32 v[0:1], v[12:13], v[0:1], v[4:5] op_sel:[1,1,0] op_sel_hi:[0,1,1] neg_lo:[1,0,0]
	v_xor_b32_e32 v4, 0x80000000, v15
	v_pk_fma_f32 v[0:1], v[14:15], v[2:3], v[0:1] op_sel_hi:[1,0,1]
	v_mov_b32_e32 v5, v14
	v_pk_fma_f32 v[0:1], v[4:5], v[34:35], v[0:1] op_sel_hi:[1,0,1]
	s_waitcnt vmcnt(2)
	v_pk_fma_f32 v[0:1], v[16:17], v[64:65], v[0:1] op_sel_hi:[1,0,1]
	v_pk_fma_f32 v[0:1], v[16:17], v[64:65], v[0:1] op_sel:[1,1,0] op_sel_hi:[0,1,1] neg_lo:[1,0,0]
	s_waitcnt vmcnt(0)
	v_pk_fma_f32 v[10:11], v[50:51], v[64:65], v[24:25] op_sel_hi:[1,0,1]
	v_pk_fma_f32 v[10:11], v[50:51], v[64:65], v[10:11] op_sel:[1,1,0] op_sel_hi:[0,1,1] neg_lo:[1,0,0]
	v_xor_b32_e32 v24, 0x80000000, v53
	v_pk_fma_f32 v[10:11], v[52:53], v[66:67], v[10:11] op_sel_hi:[1,0,1]
	v_mov_b32_e32 v25, v52
	v_xor_b32_e32 v2, 0x80000000, v19
	v_pk_fma_f32 v[0:1], v[18:19], v[66:67], v[0:1] op_sel_hi:[1,0,1]
	v_mov_b32_e32 v3, v18
	v_pk_fma_f32 v[10:11], v[24:25], v[76:77], v[10:11] op_sel_hi:[1,0,1]
	v_pk_fma_f32 v[0:1], v[2:3], v[76:77], v[0:1] op_sel_hi:[1,0,1]
	v_pk_fma_f32 v[10:11], v[20:21], v[60:61], v[10:11] op_sel_hi:[1,0,1]
	v_pk_fma_f32 v[0:1], v[6:7], v[60:61], v[0:1] op_sel_hi:[1,0,1]
	v_pk_fma_f32 v[10:11], v[20:21], v[60:61], v[10:11] op_sel:[1,1,0] op_sel_hi:[0,1,1] neg_lo:[1,0,0]
	v_pk_fma_f32 v[0:1], v[6:7], v[60:61], v[0:1] op_sel:[1,1,0] op_sel_hi:[0,1,1] neg_lo:[1,0,0]
	v_xor_b32_e32 v20, 0x80000000, v23
	v_pk_fma_f32 v[10:11], v[22:23], v[62:63], v[10:11] op_sel_hi:[1,0,1]
	v_mov_b32_e32 v21, v22
	v_xor_b32_e32 v2, 0x80000000, v9
	v_pk_fma_f32 v[0:1], v[8:9], v[62:63], v[0:1] op_sel_hi:[1,0,1]
	v_mov_b32_e32 v3, v8
	v_pk_fma_f32 v[52:53], v[20:21], v[78:79], v[10:11] op_sel_hi:[1,0,1]
	v_pk_fma_f32 v[50:51], v[2:3], v[78:79], v[0:1] op_sel_hi:[1,0,1]
	s_andn2_b64 exec, exec, s[14:15]
	s_cbranch_execnz .LBB54_29
; %bb.30:
	s_or_b64 exec, exec, s[14:15]
.LBB54_31:
	s_or_b64 exec, exec, s[10:11]
.LBB54_32:
	s_or_b64 exec, exec, s[8:9]
	s_cbranch_execz .LBB54_34
	s_branch .LBB54_45
.LBB54_33:
                                        ; implicit-def: $vgpr57
                                        ; implicit-def: $vgpr51
                                        ; implicit-def: $vgpr53
                                        ; implicit-def: $vgpr55
.LBB54_34:
	v_mov_b32_e32 v57, 0
	v_mov_b32_e32 v56, 0
	;; [unrolled: 1-line block ×8, first 2 shown]
	s_and_saveexec_b64 s[8:9], s[0:1]
	s_cbranch_execz .LBB54_44
; %bb.35:
	v_or_b32_e32 v0, 64, v42
	v_mov_b32_e32 v1, s19
	v_subrev_co_u32_e32 v0, vcc, s16, v0
	v_subb_co_u32_e32 v1, vcc, 0, v1, vcc
	v_add_co_u32_e32 v0, vcc, v0, v26
	v_addc_co_u32_e32 v1, vcc, v1, v27, vcc
	v_cmp_gt_i64_e32 vcc, v[0:1], v[46:47]
	v_cndmask_b32_e32 v1, v47, v1, vcc
	v_cndmask_b32_e32 v0, v46, v0, vcc
	v_mov_b32_e32 v4, s19
	v_sub_co_u32_e32 v5, vcc, s16, v42
	v_not_b32_e32 v3, v26
	v_subbrev_co_u32_e32 v4, vcc, 0, v4, vcc
	v_not_b32_e32 v2, v27
	v_add_co_u32_e32 v3, vcc, v5, v3
	v_addc_co_u32_e32 v2, vcc, v4, v2, vcc
	v_add_co_u32_e32 v0, vcc, v3, v0
	v_addc_co_u32_e32 v1, vcc, v2, v1, vcc
	v_lshrrev_b32_e32 v2, 6, v0
	v_add_u32_e32 v2, 1, v2
	v_and_b32_e32 v2, 3, v2
	v_mov_b32_e32 v55, 0
	v_cmp_ne_u32_e32 vcc, 0, v2
	v_mov_b32_e32 v54, v55
	v_mov_b32_e32 v53, v55
	v_mov_b32_e32 v52, v55
	v_mov_b32_e32 v51, v55
	v_mov_b32_e32 v50, v55
	v_mov_b32_e32 v56, v55
	v_mov_b32_e32 v57, v55
	s_and_saveexec_b64 s[2:3], vcc
	s_cbranch_execz .LBB54_39
; %bb.36:
	v_lshlrev_b64 v[4:5], 3, v[44:45]
	v_mov_b32_e32 v3, 0
	v_mov_b32_e32 v6, s13
	v_add_co_u32_e32 v4, vcc, s12, v4
	v_addc_co_u32_e32 v5, vcc, v6, v5, vcc
	v_lshlrev_b32_e32 v2, 3, v2
	s_mov_b64 s[10:11], 0
	s_movk_i32 s14, 0x2000
	v_mov_b32_e32 v6, s19
	v_mov_b32_e32 v7, s7
	;; [unrolled: 1-line block ×10, first 2 shown]
.LBB54_37:                              ; =>This Inner Loop Header: Depth=1
	global_load_dwordx2 v[58:59], v[4:5], off
	global_load_dwordx4 v[8:11], v[48:49], off offset:48
	global_load_dwordx4 v[12:15], v[48:49], off offset:32
	;; [unrolled: 1-line block ×3, first 2 shown]
	global_load_dwordx4 v[20:23], v[48:49], off
	global_load_dwordx4 v[24:27], v[48:49], off offset:96
	global_load_dwordx4 v[28:31], v[48:49], off offset:80
	;; [unrolled: 1-line block ×3, first 2 shown]
	v_add_co_u32_e64 v44, s[0:1], 64, v44
	v_addc_co_u32_e64 v45, s[0:1], 0, v45, s[0:1]
	v_add_co_u32_e64 v2, s[0:1], -8, v2
	v_addc_co_u32_e64 v3, s[0:1], -1, v3, s[0:1]
	v_cmp_eq_u64_e64 s[0:1], 0, v[2:3]
	s_or_b64 s[10:11], s[0:1], s[10:11]
	s_waitcnt vmcnt(7)
	v_subrev_co_u32_e32 v58, vcc, s16, v58
	v_subb_co_u32_e32 v59, vcc, v59, v6, vcc
	v_lshlrev_b64 v[58:59], 5, v[58:59]
	v_add_co_u32_e32 v70, vcc, s6, v58
	v_addc_co_u32_e32 v71, vcc, v7, v59, vcc
	global_load_dwordx4 v[58:61], v[70:71], off offset:16
	global_load_dwordx4 v[62:65], v[70:71], off
	global_load_dwordx4 v[66:69], v[48:49], off offset:112
	s_waitcnt vmcnt(6)
	v_xor_b32_e32 v70, 0x80000000, v23
	v_mov_b32_e32 v71, v22
	v_xor_b32_e32 v78, 0x80000000, v19
	v_mov_b32_e32 v79, v18
	;; [unrolled: 2-line block ×4, first 2 shown]
	v_add_co_u32_e32 v48, vcc, s14, v48
	s_waitcnt vmcnt(3)
	v_xor_b32_e32 v74, 0x80000000, v35
	v_mov_b32_e32 v75, v34
	v_xor_b32_e32 v82, 0x80000000, v31
	v_mov_b32_e32 v83, v30
	v_addc_co_u32_e32 v49, vcc, 0, v49, vcc
	v_add_co_u32_e32 v4, vcc, 0x200, v4
	v_xor_b32_e32 v76, 0x80000000, v27
	v_mov_b32_e32 v77, v26
	v_addc_co_u32_e32 v5, vcc, 0, v5, vcc
	s_waitcnt vmcnt(2)
	v_mov_b32_e32 v88, v61
	s_waitcnt vmcnt(1)
	v_pk_fma_f32 v[56:57], v[20:21], v[62:63], v[56:57] op_sel_hi:[1,0,1]
	v_pk_fma_f32 v[22:23], v[22:23], v[62:63], v[54:55] op_sel_hi:[1,0,1]
	;; [unrolled: 1-line block ×4, first 2 shown]
	v_pk_fma_f32 v[20:21], v[20:21], v[62:63], v[56:57] op_sel:[1,1,0] op_sel_hi:[0,1,1] neg_lo:[1,0,0]
	v_pk_fma_f32 v[22:23], v[70:71], v[62:63], v[22:23] op_sel:[0,1,0]
	v_pk_fma_f32 v[16:17], v[16:17], v[62:63], v[52:53] op_sel:[1,1,0] op_sel_hi:[0,1,1] neg_lo:[1,0,0]
	v_pk_fma_f32 v[18:19], v[78:79], v[62:63], v[18:19] op_sel:[0,1,0]
	v_mov_b32_e32 v86, v65
	v_pk_fma_f32 v[20:21], v[12:13], v[64:65], v[20:21] op_sel_hi:[1,0,1]
	v_pk_fma_f32 v[14:15], v[14:15], v[64:65], v[22:23] op_sel_hi:[1,0,1]
	v_pk_fma_f32 v[16:17], v[8:9], v[64:65], v[16:17] op_sel_hi:[1,0,1]
	v_pk_fma_f32 v[10:11], v[10:11], v[64:65], v[18:19] op_sel_hi:[1,0,1]
	v_pk_fma_f32 v[12:13], v[12:13], v[86:87], v[20:21] op_sel:[1,0,0] op_sel_hi:[0,0,1] neg_lo:[1,0,0]
	v_pk_fma_f32 v[14:15], v[72:73], v[86:87], v[14:15] op_sel_hi:[1,0,1]
	v_pk_fma_f32 v[8:9], v[8:9], v[86:87], v[16:17] op_sel:[1,0,0] op_sel_hi:[0,0,1] neg_lo:[1,0,0]
	v_pk_fma_f32 v[10:11], v[80:81], v[86:87], v[10:11] op_sel_hi:[1,0,1]
	v_pk_fma_f32 v[12:13], v[32:33], v[58:59], v[12:13] op_sel_hi:[1,0,1]
	;; [unrolled: 1-line block ×5, first 2 shown]
	v_pk_fma_f32 v[12:13], v[32:33], v[58:59], v[12:13] op_sel:[1,1,0] op_sel_hi:[0,1,1] neg_lo:[1,0,0]
	v_pk_fma_f32 v[14:15], v[74:75], v[58:59], v[14:15] op_sel:[0,1,0]
	v_pk_fma_f32 v[8:9], v[28:29], v[58:59], v[8:9] op_sel:[1,1,0] op_sel_hi:[0,1,1] neg_lo:[1,0,0]
	v_pk_fma_f32 v[10:11], v[82:83], v[58:59], v[10:11] op_sel:[0,1,0]
	s_waitcnt vmcnt(0)
	v_xor_b32_e32 v84, 0x80000000, v69
	v_mov_b32_e32 v85, v68
	v_pk_fma_f32 v[12:13], v[24:25], v[60:61], v[12:13] op_sel_hi:[1,0,1]
	v_pk_fma_f32 v[14:15], v[26:27], v[60:61], v[14:15] op_sel_hi:[1,0,1]
	;; [unrolled: 1-line block ×4, first 2 shown]
	v_pk_fma_f32 v[56:57], v[24:25], v[88:89], v[12:13] op_sel:[1,0,0] op_sel_hi:[0,0,1] neg_lo:[1,0,0]
	v_pk_fma_f32 v[54:55], v[76:77], v[88:89], v[14:15] op_sel_hi:[1,0,1]
	v_pk_fma_f32 v[52:53], v[66:67], v[88:89], v[8:9] op_sel:[1,0,0] op_sel_hi:[0,0,1] neg_lo:[1,0,0]
	v_pk_fma_f32 v[50:51], v[84:85], v[88:89], v[10:11] op_sel_hi:[1,0,1]
	s_andn2_b64 exec, exec, s[10:11]
	s_cbranch_execnz .LBB54_37
; %bb.38:
	s_or_b64 exec, exec, s[10:11]
.LBB54_39:
	s_or_b64 exec, exec, s[2:3]
	s_mov_b64 s[0:1], 0xbf
	v_cmp_lt_u64_e32 vcc, s[0:1], v[0:1]
	s_and_saveexec_b64 s[10:11], vcc
	s_cbranch_execz .LBB54_43
; %bb.40:
	v_lshlrev_b64 v[0:1], 3, v[44:45]
	v_mov_b32_e32 v2, s13
	v_add_co_u32_e32 v0, vcc, s12, v0
	v_addc_co_u32_e32 v1, vcc, v1, v2, vcc
	v_add_co_u32_e32 v58, vcc, 0x400, v0
	v_addc_co_u32_e32 v59, vcc, 0, v1, vcc
	s_mov_b64 s[12:13], 0
	v_mov_b32_e32 v43, s19
	v_mov_b32_e32 v72, s7
	s_movk_i32 s7, 0x2000
	s_movk_i32 s14, 0x4000
	;; [unrolled: 1-line block ×4, first 2 shown]
.LBB54_41:                              ; =>This Inner Loop Header: Depth=1
	global_load_dwordx4 v[28:31], v[48:49], off
	global_load_dwordx2 v[64:65], v[58:59], off offset:-1024
	global_load_dwordx4 v[24:27], v[48:49], off offset:16
	global_load_dwordx4 v[12:15], v[48:49], off offset:48
	;; [unrolled: 1-line block ×7, first 2 shown]
	global_load_dwordx2 v[66:67], v[58:59], off offset:-512
	global_load_dwordx2 v[60:61], v[58:59], off
	global_load_dwordx2 v[62:63], v[58:59], off offset:512
	v_add_co_u32_e32 v44, vcc, s17, v44
	s_mov_b64 s[0:1], vcc
	v_add_co_u32_e32 v98, vcc, s7, v48
	v_addc_co_u32_e32 v99, vcc, 0, v49, vcc
	v_add_co_u32_e32 v70, vcc, s14, v48
	v_addc_co_u32_e32 v71, vcc, 0, v49, vcc
	;; [unrolled: 2-line block ×3, first 2 shown]
	v_add_co_u32_e32 v58, vcc, 0x800, v58
	s_mov_b64 s[2:3], vcc
	global_load_dwordx4 v[74:77], v[98:99], off offset:48
	global_load_dwordx4 v[78:81], v[98:99], off offset:32
	global_load_dwordx4 v[82:85], v[98:99], off
	global_load_dwordx4 v[86:89], v[98:99], off offset:16
	global_load_dwordx4 v[32:35], v[98:99], off offset:112
	s_waitcnt vmcnt(16)
	v_xor_b32_e32 v100, 0x80000000, v31
	s_waitcnt vmcnt(15)
	v_subrev_co_u32_e32 v64, vcc, s16, v64
	v_subb_co_u32_e32 v65, vcc, v65, v43, vcc
	v_lshlrev_b64 v[64:65], 5, v[64:65]
	v_add_co_u32_e32 v64, vcc, s6, v64
	v_addc_co_u32_e32 v65, vcc, v72, v65, vcc
	global_load_dwordx4 v[90:93], v[64:65], off
	global_load_dwordx4 v[94:97], v[64:65], off offset:16
	v_mov_b32_e32 v101, v30
	s_waitcnt vmcnt(4)
	v_xor_b32_e32 v104, 0x80000000, v85
	v_mov_b32_e32 v105, v84
	s_waitcnt vmcnt(1)
	v_pk_fma_f32 v[56:57], v[28:29], v[90:91], v[56:57] op_sel_hi:[1,0,1]
	v_pk_fma_f32 v[30:31], v[30:31], v[90:91], v[54:55] op_sel_hi:[1,0,1]
	v_pk_fma_f32 v[54:55], v[28:29], v[90:91], v[56:57] op_sel:[1,1,0] op_sel_hi:[0,1,1] neg_lo:[1,0,0]
	v_xor_b32_e32 v56, 0x80000000, v27
	v_mov_b32_e32 v57, v26
	v_pk_fma_f32 v[28:29], v[24:25], v[90:91], v[52:53] op_sel_hi:[1,0,1]
	v_pk_fma_f32 v[50:51], v[26:27], v[90:91], v[50:51] op_sel_hi:[1,0,1]
	v_pk_fma_f32 v[64:65], v[24:25], v[90:91], v[28:29] op_sel:[1,1,0] op_sel_hi:[0,1,1] neg_lo:[1,0,0]
	v_pk_fma_f32 v[100:101], v[100:101], v[90:91], v[30:31] op_sel:[0,1,0]
	v_pk_fma_f32 v[56:57], v[56:57], v[90:91], v[50:51] op_sel:[0,1,0]
	global_load_dwordx4 v[24:27], v[98:99], off offset:96
	global_load_dwordx4 v[28:31], v[98:99], off offset:80
	;; [unrolled: 1-line block ×3, first 2 shown]
	v_pk_fma_f32 v[54:55], v[16:17], v[92:93], v[54:55] op_sel_hi:[1,0,1]
	v_pk_fma_f32 v[90:91], v[18:19], v[92:93], v[100:101] op_sel_hi:[1,0,1]
	;; [unrolled: 1-line block ×4, first 2 shown]
	v_mov_b32_e32 v92, v93
	v_xor_b32_e32 v98, 0x80000000, v19
	v_mov_b32_e32 v99, v18
	v_xor_b32_e32 v100, 0x80000000, v15
	v_mov_b32_e32 v101, v14
	v_pk_fma_f32 v[54:55], v[16:17], v[92:93], v[54:55] op_sel:[1,0,0] op_sel_hi:[0,0,1] neg_lo:[1,0,0]
	v_pk_fma_f32 v[64:65], v[12:13], v[92:93], v[64:65] op_sel:[1,0,0] op_sel_hi:[0,0,1] neg_lo:[1,0,0]
	v_pk_fma_f32 v[90:91], v[98:99], v[92:93], v[90:91] op_sel_hi:[1,0,1]
	v_pk_fma_f32 v[92:93], v[100:101], v[92:93], v[56:57] op_sel_hi:[1,0,1]
	v_xor_b32_e32 v98, 0x80000000, v23
	v_mov_b32_e32 v99, v22
	s_waitcnt vmcnt(3)
	v_pk_fma_f32 v[54:55], v[20:21], v[94:95], v[54:55] op_sel_hi:[1,0,1]
	v_pk_fma_f32 v[22:23], v[22:23], v[94:95], v[90:91] op_sel_hi:[1,0,1]
	v_xor_b32_e32 v100, 0x80000000, v11
	v_mov_b32_e32 v101, v10
	v_pk_fma_f32 v[64:65], v[8:9], v[94:95], v[64:65] op_sel_hi:[1,0,1]
	v_pk_fma_f32 v[10:11], v[10:11], v[94:95], v[92:93] op_sel_hi:[1,0,1]
	v_pk_fma_f32 v[20:21], v[20:21], v[94:95], v[54:55] op_sel:[1,1,0] op_sel_hi:[0,1,1] neg_lo:[1,0,0]
	v_pk_fma_f32 v[64:65], v[8:9], v[94:95], v[64:65] op_sel:[1,1,0] op_sel_hi:[0,1,1] neg_lo:[1,0,0]
	v_pk_fma_f32 v[22:23], v[98:99], v[94:95], v[22:23] op_sel:[0,1,0]
	v_pk_fma_f32 v[94:95], v[100:101], v[94:95], v[10:11] op_sel:[0,1,0]
	v_pk_fma_f32 v[20:21], v[4:5], v[96:97], v[20:21] op_sel_hi:[1,0,1]
	v_pk_fma_f32 v[22:23], v[6:7], v[96:97], v[22:23] op_sel_hi:[1,0,1]
	;; [unrolled: 1-line block ×4, first 2 shown]
	v_mov_b32_e32 v96, v97
	v_pk_fma_f32 v[4:5], v[4:5], v[96:97], v[20:21] op_sel:[1,0,0] op_sel_hi:[0,0,1] neg_lo:[1,0,0]
	v_subrev_co_u32_e32 v20, vcc, s16, v66
	v_subb_co_u32_e32 v21, vcc, v67, v43, vcc
	v_lshlrev_b64 v[20:21], 5, v[20:21]
	v_add_co_u32_e32 v102, vcc, s6, v20
	v_xor_b32_e32 v98, 0x80000000, v7
	v_mov_b32_e32 v99, v6
	v_addc_co_u32_e32 v103, vcc, v72, v21, vcc
	global_load_dwordx4 v[12:15], v[70:71], off offset:48
	global_load_dwordx4 v[16:19], v[70:71], off offset:32
	global_load_dwordx4 v[54:57], v[70:71], off
	global_load_dwordx4 v[90:93], v[70:71], off offset:16
	global_load_dwordx4 v[8:11], v[70:71], off offset:112
	v_xor_b32_e32 v6, 0x80000000, v3
	v_mov_b32_e32 v7, v2
	v_pk_fma_f32 v[100:101], v[0:1], v[96:97], v[64:65] op_sel:[1,0,0] op_sel_hi:[0,0,1] neg_lo:[1,0,0]
	global_load_dwordx4 v[0:3], v[70:71], off offset:96
	v_pk_fma_f32 v[98:99], v[98:99], v[96:97], v[22:23] op_sel_hi:[1,0,1]
	global_load_dwordx4 v[20:23], v[102:103], off
	global_load_dwordx4 v[64:67], v[102:103], off offset:16
	v_pk_fma_f32 v[6:7], v[6:7], v[96:97], v[94:95] op_sel_hi:[1,0,1]
	v_xor_b32_e32 v102, 0x80000000, v81
	v_mov_b32_e32 v103, v80
	s_waitcnt vmcnt(1)
	v_pk_fma_f32 v[4:5], v[82:83], v[20:21], v[4:5] op_sel_hi:[1,0,1]
	v_pk_fma_f32 v[94:95], v[84:85], v[20:21], v[98:99] op_sel_hi:[1,0,1]
	v_pk_fma_f32 v[96:97], v[82:83], v[20:21], v[4:5] op_sel:[1,1,0] op_sel_hi:[0,1,1] neg_lo:[1,0,0]
	v_xor_b32_e32 v4, 0x80000000, v89
	v_mov_b32_e32 v5, v88
	v_pk_fma_f32 v[82:83], v[86:87], v[20:21], v[100:101] op_sel_hi:[1,0,1]
	v_pk_fma_f32 v[6:7], v[88:89], v[20:21], v[6:7] op_sel_hi:[1,0,1]
	v_pk_fma_f32 v[98:99], v[86:87], v[20:21], v[82:83] op_sel:[1,1,0] op_sel_hi:[0,1,1] neg_lo:[1,0,0]
	global_load_dwordx4 v[82:85], v[70:71], off offset:80
	global_load_dwordx4 v[86:89], v[70:71], off offset:64
	v_pk_fma_f32 v[70:71], v[104:105], v[20:21], v[94:95] op_sel:[0,1,0]
	v_pk_fma_f32 v[20:21], v[4:5], v[20:21], v[6:7] op_sel:[0,1,0]
	v_pk_fma_f32 v[94:95], v[78:79], v[22:23], v[96:97] op_sel_hi:[1,0,1]
	v_mov_b32_e32 v100, v23
	v_pk_fma_f32 v[70:71], v[80:81], v[22:23], v[70:71] op_sel_hi:[1,0,1]
	v_pk_fma_f32 v[96:97], v[74:75], v[22:23], v[98:99] op_sel_hi:[1,0,1]
	v_pk_fma_f32 v[98:99], v[76:77], v[22:23], v[20:21] op_sel_hi:[1,0,1]
	v_pk_fma_f32 v[78:79], v[78:79], v[100:101], v[94:95] op_sel:[1,0,0] op_sel_hi:[0,0,1] neg_lo:[1,0,0]
	v_xor_b32_e32 v80, 0x80000000, v77
	v_mov_b32_e32 v81, v76
	v_pk_fma_f32 v[94:95], v[74:75], v[100:101], v[96:97] op_sel:[1,0,0] op_sel_hi:[0,0,1] neg_lo:[1,0,0]
	v_pk_fma_f32 v[70:71], v[102:103], v[100:101], v[70:71] op_sel_hi:[1,0,1]
	v_pk_fma_f32 v[80:81], v[80:81], v[100:101], v[98:99] op_sel_hi:[1,0,1]
	s_waitcnt vmcnt(2)
	v_pk_fma_f32 v[78:79], v[50:51], v[64:65], v[78:79] op_sel_hi:[1,0,1]
	v_xor_b32_e32 v96, 0x80000000, v53
	v_mov_b32_e32 v97, v52
	v_pk_fma_f32 v[70:71], v[52:53], v[64:65], v[70:71] op_sel_hi:[1,0,1]
	v_pk_fma_f32 v[98:99], v[50:51], v[64:65], v[78:79] op_sel:[1,1,0] op_sel_hi:[0,1,1] neg_lo:[1,0,0]
	v_xor_b32_e32 v78, 0x80000000, v31
	v_mov_b32_e32 v79, v30
	v_pk_fma_f32 v[94:95], v[28:29], v[64:65], v[94:95] op_sel_hi:[1,0,1]
	v_pk_fma_f32 v[80:81], v[30:31], v[64:65], v[80:81] op_sel_hi:[1,0,1]
	v_pk_fma_f32 v[94:95], v[28:29], v[64:65], v[94:95] op_sel:[1,1,0] op_sel_hi:[0,1,1] neg_lo:[1,0,0]
	v_pk_fma_f32 v[70:71], v[96:97], v[64:65], v[70:71] op_sel:[0,1,0]
	v_pk_fma_f32 v[64:65], v[78:79], v[64:65], v[80:81] op_sel:[0,1,0]
	v_pk_fma_f32 v[96:97], v[24:25], v[66:67], v[98:99] op_sel_hi:[1,0,1]
	v_pk_fma_f32 v[70:71], v[26:27], v[66:67], v[70:71] op_sel_hi:[1,0,1]
	;; [unrolled: 1-line block ×4, first 2 shown]
	v_mov_b32_e32 v66, v67
	v_pk_fma_f32 v[94:95], v[32:33], v[66:67], v[94:95] op_sel:[1,0,0] op_sel_hi:[0,0,1] neg_lo:[1,0,0]
	v_subrev_co_u32_e32 v32, vcc, s16, v60
	v_subb_co_u32_e32 v33, vcc, v61, v43, vcc
	v_lshlrev_b64 v[32:33], 5, v[32:33]
	v_add_co_u32_e32 v60, vcc, s6, v32
	v_xor_b32_e32 v98, 0x80000000, v27
	v_mov_b32_e32 v99, v26
	v_xor_b32_e32 v100, 0x80000000, v35
	v_mov_b32_e32 v101, v34
	v_addc_co_u32_e32 v61, vcc, v72, v33, vcc
	global_load_dwordx4 v[4:7], v[68:69], off offset:48
	global_load_dwordx4 v[20:23], v[68:69], off offset:32
	global_load_dwordx4 v[74:77], v[68:69], off
	global_load_dwordx4 v[50:53], v[68:69], off offset:16
	global_load_dwordx4 v[28:31], v[68:69], off offset:112
	;; [unrolled: 1-line block ×3, first 2 shown]
	v_pk_fma_f32 v[96:97], v[24:25], v[66:67], v[96:97] op_sel:[1,0,0] op_sel_hi:[0,0,1] neg_lo:[1,0,0]
	global_load_dwordx4 v[24:27], v[68:69], off offset:80
	v_pk_fma_f32 v[70:71], v[98:99], v[66:67], v[70:71] op_sel_hi:[1,0,1]
	v_pk_fma_f32 v[98:99], v[100:101], v[66:67], v[64:65] op_sel_hi:[1,0,1]
	global_load_dwordx4 v[32:35], v[60:61], off
	global_load_dwordx4 v[64:67], v[60:61], off offset:16
	v_addc_co_u32_e64 v45, vcc, 0, v45, s[0:1]
	v_add_co_u32_e32 v48, vcc, 0x8000, v48
	v_addc_co_u32_e32 v49, vcc, 0, v49, vcc
	v_xor_b32_e32 v102, 0x80000000, v57
	v_mov_b32_e32 v103, v56
	v_addc_co_u32_e64 v59, s[0:1], 0, v59, s[2:3]
	v_cmp_ge_i64_e64 s[0:1], v[44:45], v[46:47]
	s_or_b64 s[12:13], s[0:1], s[12:13]
	s_waitcnt vmcnt(1)
	v_pk_fma_f32 v[60:61], v[54:55], v[32:33], v[96:97] op_sel_hi:[1,0,1]
	v_pk_fma_f32 v[96:97], v[54:55], v[32:33], v[60:61] op_sel:[1,1,0] op_sel_hi:[0,1,1] neg_lo:[1,0,0]
	v_subrev_co_u32_e32 v60, vcc, s16, v62
	v_subb_co_u32_e32 v61, vcc, v63, v43, vcc
	v_lshlrev_b64 v[60:61], 5, v[60:61]
	v_pk_fma_f32 v[70:71], v[56:57], v[32:33], v[70:71] op_sel_hi:[1,0,1]
	global_load_dwordx4 v[54:57], v[68:69], off offset:64
	v_xor_b32_e32 v68, 0x80000000, v93
	v_mov_b32_e32 v69, v92
	v_pk_fma_f32 v[92:93], v[92:93], v[32:33], v[98:99] op_sel_hi:[1,0,1]
	v_add_co_u32_e32 v98, vcc, s6, v60
	v_pk_fma_f32 v[62:63], v[90:91], v[32:33], v[94:95] op_sel_hi:[1,0,1]
	v_addc_co_u32_e32 v99, vcc, v72, v61, vcc
	v_pk_fma_f32 v[90:91], v[90:91], v[32:33], v[62:63] op_sel:[1,1,0] op_sel_hi:[0,1,1] neg_lo:[1,0,0]
	global_load_dwordx4 v[60:63], v[98:99], off
	v_pk_fma_f32 v[100:101], v[102:103], v[32:33], v[70:71] op_sel:[0,1,0]
	v_pk_fma_f32 v[32:33], v[68:69], v[32:33], v[92:93] op_sel:[0,1,0]
	global_load_dwordx4 v[68:71], v[98:99], off offset:16
	v_xor_b32_e32 v94, 0x80000000, v19
	v_mov_b32_e32 v95, v18
	v_pk_fma_f32 v[92:93], v[16:17], v[34:35], v[96:97] op_sel_hi:[1,0,1]
	v_pk_fma_f32 v[18:19], v[18:19], v[34:35], v[100:101] op_sel_hi:[1,0,1]
	;; [unrolled: 1-line block ×4, first 2 shown]
	v_mov_b32_e32 v34, v35
	v_xor_b32_e32 v96, 0x80000000, v15
	v_mov_b32_e32 v97, v14
	v_pk_fma_f32 v[14:15], v[16:17], v[34:35], v[92:93] op_sel:[1,0,0] op_sel_hi:[0,0,1] neg_lo:[1,0,0]
	v_pk_fma_f32 v[12:13], v[12:13], v[34:35], v[90:91] op_sel:[1,0,0] op_sel_hi:[0,0,1] neg_lo:[1,0,0]
	v_pk_fma_f32 v[18:19], v[94:95], v[34:35], v[18:19] op_sel_hi:[1,0,1]
	v_pk_fma_f32 v[32:33], v[96:97], v[34:35], v[32:33] op_sel_hi:[1,0,1]
	v_xor_b32_e32 v16, 0x80000000, v89
	v_xor_b32_e32 v92, 0x80000000, v85
	v_mov_b32_e32 v17, v88
	v_mov_b32_e32 v93, v84
	s_waitcnt vmcnt(3)
	v_pk_fma_f32 v[14:15], v[86:87], v[64:65], v[14:15] op_sel_hi:[1,0,1]
	v_pk_fma_f32 v[18:19], v[88:89], v[64:65], v[18:19] op_sel_hi:[1,0,1]
	;; [unrolled: 1-line block ×4, first 2 shown]
	v_pk_fma_f32 v[14:15], v[86:87], v[64:65], v[14:15] op_sel:[1,1,0] op_sel_hi:[0,1,1] neg_lo:[1,0,0]
	v_pk_fma_f32 v[12:13], v[82:83], v[64:65], v[12:13] op_sel:[1,1,0] op_sel_hi:[0,1,1] neg_lo:[1,0,0]
	v_pk_fma_f32 v[16:17], v[16:17], v[64:65], v[18:19] op_sel:[0,1,0]
	v_pk_fma_f32 v[32:33], v[92:93], v[64:65], v[32:33] op_sel:[0,1,0]
	v_xor_b32_e32 v90, 0x80000000, v3
	v_mov_b32_e32 v91, v2
	v_xor_b32_e32 v86, 0x80000000, v11
	v_mov_b32_e32 v87, v10
	v_mov_b32_e32 v64, v67
	v_pk_fma_f32 v[14:15], v[0:1], v[66:67], v[14:15] op_sel_hi:[1,0,1]
	v_pk_fma_f32 v[2:3], v[2:3], v[66:67], v[16:17] op_sel_hi:[1,0,1]
	;; [unrolled: 1-line block ×4, first 2 shown]
	v_pk_fma_f32 v[0:1], v[0:1], v[64:65], v[14:15] op_sel:[1,0,0] op_sel_hi:[0,0,1] neg_lo:[1,0,0]
	v_pk_fma_f32 v[8:9], v[8:9], v[64:65], v[12:13] op_sel:[1,0,0] op_sel_hi:[0,0,1] neg_lo:[1,0,0]
	v_pk_fma_f32 v[2:3], v[90:91], v[64:65], v[2:3] op_sel_hi:[1,0,1]
	v_pk_fma_f32 v[10:11], v[86:87], v[64:65], v[10:11] op_sel_hi:[1,0,1]
	v_xor_b32_e32 v98, 0x80000000, v77
	v_mov_b32_e32 v99, v76
	v_xor_b32_e32 v88, 0x80000000, v53
	v_mov_b32_e32 v89, v52
	;; [unrolled: 2-line block ×7, first 2 shown]
	s_waitcnt vmcnt(2)
	v_xor_b32_e32 v34, 0x80000000, v57
	v_mov_b32_e32 v35, v56
	s_waitcnt vmcnt(1)
	v_pk_fma_f32 v[0:1], v[74:75], v[60:61], v[0:1] op_sel_hi:[1,0,1]
	v_pk_fma_f32 v[2:3], v[76:77], v[60:61], v[2:3] op_sel_hi:[1,0,1]
	;; [unrolled: 1-line block ×4, first 2 shown]
	v_pk_fma_f32 v[0:1], v[74:75], v[60:61], v[0:1] op_sel:[1,1,0] op_sel_hi:[0,1,1] neg_lo:[1,0,0]
	v_pk_fma_f32 v[2:3], v[98:99], v[60:61], v[2:3] op_sel:[0,1,0]
	v_pk_fma_f32 v[8:9], v[50:51], v[60:61], v[8:9] op_sel:[1,1,0] op_sel_hi:[0,1,1] neg_lo:[1,0,0]
	v_pk_fma_f32 v[10:11], v[88:89], v[60:61], v[10:11] op_sel:[0,1,0]
	v_mov_b32_e32 v16, v63
	v_pk_fma_f32 v[0:1], v[20:21], v[62:63], v[0:1] op_sel_hi:[1,0,1]
	v_pk_fma_f32 v[2:3], v[22:23], v[62:63], v[2:3] op_sel_hi:[1,0,1]
	;; [unrolled: 1-line block ×4, first 2 shown]
	v_pk_fma_f32 v[0:1], v[20:21], v[16:17], v[0:1] op_sel:[1,0,0] op_sel_hi:[0,0,1] neg_lo:[1,0,0]
	v_pk_fma_f32 v[2:3], v[94:95], v[16:17], v[2:3] op_sel_hi:[1,0,1]
	v_pk_fma_f32 v[4:5], v[4:5], v[16:17], v[8:9] op_sel:[1,0,0] op_sel_hi:[0,0,1] neg_lo:[1,0,0]
	v_pk_fma_f32 v[6:7], v[82:83], v[16:17], v[6:7] op_sel_hi:[1,0,1]
	s_waitcnt vmcnt(0)
	v_pk_fma_f32 v[0:1], v[54:55], v[68:69], v[0:1] op_sel_hi:[1,0,1]
	v_pk_fma_f32 v[2:3], v[56:57], v[68:69], v[2:3] op_sel_hi:[1,0,1]
	;; [unrolled: 1-line block ×4, first 2 shown]
	v_pk_fma_f32 v[0:1], v[54:55], v[68:69], v[0:1] op_sel:[1,1,0] op_sel_hi:[0,1,1] neg_lo:[1,0,0]
	v_pk_fma_f32 v[2:3], v[34:35], v[68:69], v[2:3] op_sel:[0,1,0]
	v_pk_fma_f32 v[4:5], v[24:25], v[68:69], v[4:5] op_sel:[1,1,0] op_sel_hi:[0,1,1] neg_lo:[1,0,0]
	v_pk_fma_f32 v[6:7], v[84:85], v[68:69], v[6:7] op_sel:[0,1,0]
	v_mov_b32_e32 v32, v71
	v_pk_fma_f32 v[0:1], v[78:79], v[70:71], v[0:1] op_sel_hi:[1,0,1]
	v_pk_fma_f32 v[2:3], v[80:81], v[70:71], v[2:3] op_sel_hi:[1,0,1]
	v_pk_fma_f32 v[4:5], v[28:29], v[70:71], v[4:5] op_sel_hi:[1,0,1]
	v_pk_fma_f32 v[6:7], v[30:31], v[70:71], v[6:7] op_sel_hi:[1,0,1]
	v_pk_fma_f32 v[56:57], v[78:79], v[32:33], v[0:1] op_sel:[1,0,0] op_sel_hi:[0,0,1] neg_lo:[1,0,0]
	v_pk_fma_f32 v[54:55], v[96:97], v[32:33], v[2:3] op_sel_hi:[1,0,1]
	v_pk_fma_f32 v[52:53], v[28:29], v[32:33], v[4:5] op_sel:[1,0,0] op_sel_hi:[0,0,1] neg_lo:[1,0,0]
	v_pk_fma_f32 v[50:51], v[18:19], v[32:33], v[6:7] op_sel_hi:[1,0,1]
	s_andn2_b64 exec, exec, s[12:13]
	s_cbranch_execnz .LBB54_41
; %bb.42:
	s_or_b64 exec, exec, s[12:13]
.LBB54_43:
	s_or_b64 exec, exec, s[10:11]
.LBB54_44:
	s_or_b64 exec, exec, s[8:9]
.LBB54_45:
	v_mov_b32_dpp v6, v55 row_shr:1 row_mask:0xf bank_mask:0xf
	v_add_f32_e32 v6, v55, v6
	v_mov_b32_dpp v0, v56 row_shr:1 row_mask:0xf bank_mask:0xf
	v_mov_b32_dpp v2, v57 row_shr:1 row_mask:0xf bank_mask:0xf
	v_mov_b32_dpp v7, v6 row_shr:2 row_mask:0xf bank_mask:0xf
	v_add_f32_e32 v6, v6, v7
	v_mov_b32_dpp v4, v54 row_shr:1 row_mask:0xf bank_mask:0xf
	v_add_f32_e32 v0, v56, v0
	v_mov_b32_dpp v7, v6 row_shr:4 row_mask:0xf bank_mask:0xe
	v_add_f32_e32 v6, v6, v7
	v_add_f32_e32 v2, v57, v2
	;; [unrolled: 1-line block ×3, first 2 shown]
	v_mov_b32_dpp v7, v6 row_shr:8 row_mask:0xf bank_mask:0xc
	v_add_f32_e32 v6, v6, v7
	v_mov_b32_dpp v1, v0 row_shr:2 row_mask:0xf bank_mask:0xf
	v_mov_b32_dpp v3, v2 row_shr:2 row_mask:0xf bank_mask:0xf
	v_mov_b32_dpp v7, v6 row_bcast:15 row_mask:0xa bank_mask:0xf
	v_add_f32_e32 v7, v6, v7
	v_mov_b32_dpp v6, v52 row_shr:1 row_mask:0xf bank_mask:0xf
	v_add_f32_e32 v6, v52, v6
	v_mov_b32_dpp v5, v4 row_shr:2 row_mask:0xf bank_mask:0xf
	;; [unrolled: 2-line block ×3, first 2 shown]
	v_add_f32_e32 v6, v6, v8
	v_add_f32_e32 v2, v2, v3
	;; [unrolled: 1-line block ×3, first 2 shown]
	v_mov_b32_dpp v8, v6 row_shr:4 row_mask:0xf bank_mask:0xe
	v_add_f32_e32 v6, v6, v8
	v_mov_b32_dpp v1, v0 row_shr:4 row_mask:0xf bank_mask:0xe
	v_mov_b32_dpp v3, v2 row_shr:4 row_mask:0xf bank_mask:0xe
	;; [unrolled: 1-line block ×3, first 2 shown]
	v_add_f32_e32 v6, v6, v8
	v_mov_b32_dpp v5, v4 row_shr:4 row_mask:0xf bank_mask:0xe
	v_add_f32_e32 v0, v0, v1
	v_mov_b32_dpp v8, v6 row_bcast:15 row_mask:0xa bank_mask:0xf
	v_add_f32_e32 v10, v6, v8
	v_mov_b32_dpp v6, v53 row_shr:1 row_mask:0xf bank_mask:0xf
	v_add_f32_e32 v6, v53, v6
	v_add_f32_e32 v2, v2, v3
	;; [unrolled: 1-line block ×3, first 2 shown]
	v_mov_b32_dpp v8, v6 row_shr:2 row_mask:0xf bank_mask:0xf
	v_add_f32_e32 v6, v6, v8
	v_mov_b32_dpp v1, v0 row_shr:8 row_mask:0xf bank_mask:0xc
	v_mov_b32_dpp v3, v2 row_shr:8 row_mask:0xf bank_mask:0xc
	;; [unrolled: 1-line block ×3, first 2 shown]
	v_add_f32_e32 v6, v6, v8
	v_mov_b32_dpp v5, v4 row_shr:8 row_mask:0xf bank_mask:0xc
	v_add_f32_e32 v0, v0, v1
	v_mov_b32_dpp v8, v6 row_shr:8 row_mask:0xf bank_mask:0xc
	v_add_f32_e32 v6, v6, v8
	v_add_f32_e32 v2, v2, v3
	;; [unrolled: 1-line block ×3, first 2 shown]
	v_mov_b32_dpp v8, v6 row_bcast:15 row_mask:0xa bank_mask:0xf
	v_add_f32_e32 v13, v6, v8
	v_mov_b32_dpp v6, v50 row_shr:1 row_mask:0xf bank_mask:0xf
	v_add_f32_e32 v6, v50, v6
	v_mov_b32_dpp v1, v0 row_bcast:15 row_mask:0xa bank_mask:0xf
	v_mov_b32_dpp v3, v2 row_bcast:15 row_mask:0xa bank_mask:0xf
	v_mov_b32_dpp v8, v6 row_shr:2 row_mask:0xf bank_mask:0xf
	v_add_f32_e32 v6, v6, v8
	v_mov_b32_dpp v5, v4 row_bcast:15 row_mask:0xa bank_mask:0xf
	v_add_f32_e32 v0, v0, v1
	v_mov_b32_dpp v8, v6 row_shr:4 row_mask:0xf bank_mask:0xe
	v_add_f32_e32 v6, v6, v8
	v_add_f32_e32 v2, v2, v3
	;; [unrolled: 1-line block ×3, first 2 shown]
	v_mov_b32_dpp v8, v6 row_shr:8 row_mask:0xf bank_mask:0xc
	v_add_f32_e32 v6, v6, v8
	v_mov_b32_dpp v1, v0 row_bcast:31 row_mask:0xc bank_mask:0xf
	v_mov_b32_dpp v3, v2 row_bcast:31 row_mask:0xc bank_mask:0xf
	;; [unrolled: 1-line block ×3, first 2 shown]
	v_add_f32_e32 v16, v6, v8
	v_mov_b32_dpp v6, v51 row_shr:1 row_mask:0xf bank_mask:0xf
	v_add_f32_e32 v6, v51, v6
	v_mov_b32_dpp v5, v4 row_bcast:31 row_mask:0xc bank_mask:0xf
	v_mov_b32_dpp v9, v7 row_bcast:31 row_mask:0xc bank_mask:0xf
	v_mov_b32_dpp v8, v6 row_shr:2 row_mask:0xf bank_mask:0xf
	v_add_f32_e32 v6, v6, v8
	v_mov_b32_dpp v11, v10 row_bcast:31 row_mask:0xc bank_mask:0xf
	v_mov_b32_dpp v15, v13 row_bcast:31 row_mask:0xc bank_mask:0xf
	v_mov_b32_dpp v8, v6 row_shr:4 row_mask:0xf bank_mask:0xe
	v_add_f32_e32 v6, v6, v8
	v_mov_b32_dpp v17, v16 row_bcast:31 row_mask:0xc bank_mask:0xf
	v_cmp_eq_u32_e32 vcc, 63, v42
	v_mov_b32_dpp v8, v6 row_shr:8 row_mask:0xf bank_mask:0xc
	v_add_f32_e32 v6, v6, v8
	s_nop 1
	v_mov_b32_dpp v8, v6 row_bcast:15 row_mask:0xa bank_mask:0xf
	v_add_f32_e32 v18, v6, v8
	s_nop 1
	v_mov_b32_dpp v19, v18 row_bcast:31 row_mask:0xc bank_mask:0xf
	s_and_b64 exec, exec, vcc
	s_cbranch_execz .LBB54_14
; %bb.46:
	s_load_dwordx2 s[2:3], s[4:5], 0x58
	v_add_f32_e32 v8, v0, v1
	v_and_b32_e32 v1, 0x7fffffff, v38
	v_cmp_eq_u32_e32 vcc, 0, v1
	v_cmp_eq_f32_e64 s[0:1], 0, v39
	v_add_f32_e32 v14, v2, v3
	v_add_f32_e32 v6, v4, v5
	;; [unrolled: 1-line block ×7, first 2 shown]
	s_and_b64 s[0:1], vcc, s[0:1]
	v_lshlrev_b64 v[16:17], 5, v[40:41]
	s_and_saveexec_b64 s[4:5], s[0:1]
	s_xor_b64 s[0:1], exec, s[4:5]
	s_cbranch_execz .LBB54_48
; %bb.47:
	v_xor_b32_e32 v18, 0x80000000, v37
	v_mov_b32_e32 v19, v36
	v_pk_mul_f32 v[14:15], v[14:15], v[18:19] op_sel_hi:[0,1]
	s_waitcnt lgkmcnt(0)
	v_mov_b32_e32 v1, s3
	v_add_co_u32_e32 v20, vcc, s2, v16
	v_pk_fma_f32 v[14:15], v[36:37], v[8:9], v[14:15] op_sel_hi:[1,0,1]
	v_pk_mul_f32 v[8:9], v[12:13], v[18:19] op_sel_hi:[0,1]
	v_addc_co_u32_e32 v21, vcc, v1, v17, vcc
	v_pk_fma_f32 v[16:17], v[36:37], v[6:7], v[8:9] op_sel_hi:[1,0,1]
	v_pk_mul_f32 v[6:7], v[10:11], v[18:19] op_sel_hi:[0,1]
	v_pk_mul_f32 v[4:5], v[4:5], v[18:19] op_sel_hi:[0,1]
	v_pk_fma_f32 v[2:3], v[36:37], v[2:3], v[6:7] op_sel_hi:[1,0,1]
	v_pk_fma_f32 v[4:5], v[36:37], v[0:1], v[4:5] op_sel_hi:[1,0,1]
	global_store_dwordx4 v[20:21], v[14:17], off
	global_store_dwordx4 v[20:21], v[2:5], off offset:16
                                        ; implicit-def: $vgpr37
                                        ; implicit-def: $vgpr38
                                        ; implicit-def: $vgpr8
                                        ; implicit-def: $vgpr14
                                        ; implicit-def: $vgpr6
                                        ; implicit-def: $vgpr12
                                        ; implicit-def: $vgpr2
                                        ; implicit-def: $vgpr10
                                        ; implicit-def: $vgpr0
                                        ; implicit-def: $vgpr4
                                        ; implicit-def: $vgpr16_vgpr17
.LBB54_48:
	s_andn2_saveexec_b64 s[0:1], s[0:1]
	s_cbranch_execz .LBB54_14
; %bb.49:
	s_waitcnt lgkmcnt(0)
	v_mov_b32_e32 v1, s3
	v_add_co_u32_e32 v24, vcc, s2, v16
	v_addc_co_u32_e32 v25, vcc, v1, v17, vcc
	global_load_dwordx4 v[16:19], v[24:25], off
	global_load_dwordx4 v[20:23], v[24:25], off offset:16
	v_xor_b32_e32 v26, 0x80000000, v37
	v_mov_b32_e32 v27, v36
	v_pk_mul_f32 v[14:15], v[14:15], v[26:27] op_sel_hi:[0,1]
	v_pk_mul_f32 v[12:13], v[12:13], v[26:27] op_sel_hi:[0,1]
	;; [unrolled: 1-line block ×4, first 2 shown]
	v_pk_fma_f32 v[8:9], v[36:37], v[8:9], v[14:15] op_sel_hi:[1,0,1]
	v_pk_fma_f32 v[6:7], v[36:37], v[6:7], v[12:13] op_sel_hi:[1,0,1]
	v_xor_b32_e32 v28, 0x80000000, v39
	v_mov_b32_e32 v29, v38
	v_pk_fma_f32 v[2:3], v[36:37], v[2:3], v[10:11] op_sel_hi:[1,0,1]
	v_pk_fma_f32 v[0:1], v[36:37], v[0:1], v[4:5] op_sel_hi:[1,0,1]
	s_waitcnt vmcnt(1)
	v_pk_fma_f32 v[4:5], v[38:39], v[16:17], v[8:9] op_sel_hi:[1,0,1]
	v_pk_fma_f32 v[6:7], v[38:39], v[18:19], v[6:7] op_sel_hi:[1,0,1]
	v_mov_b32_e32 v8, v19
	s_waitcnt vmcnt(0)
	v_pk_fma_f32 v[10:11], v[38:39], v[20:21], v[2:3] op_sel_hi:[1,0,1]
	v_pk_fma_f32 v[12:13], v[38:39], v[22:23], v[0:1] op_sel_hi:[1,0,1]
	v_mov_b32_e32 v14, v23
	v_pk_fma_f32 v[0:1], v[28:29], v[16:17], v[4:5] op_sel:[0,1,0]
	v_pk_fma_f32 v[2:3], v[28:29], v[8:9], v[6:7] op_sel_hi:[1,0,1]
	v_pk_fma_f32 v[4:5], v[28:29], v[20:21], v[10:11] op_sel:[0,1,0]
	v_pk_fma_f32 v[6:7], v[28:29], v[14:15], v[12:13] op_sel_hi:[1,0,1]
	global_store_dwordx4 v[24:25], v[0:3], off
	global_store_dwordx4 v[24:25], v[4:7], off offset:16
	s_endpgm
	.section	.rodata,"a",@progbits
	.p2align	6, 0x0
	.amdhsa_kernel _ZN9rocsparseL18bsrxmvn_4x4_kernelILj128ELj64E21rocsparse_complex_numIfEllS2_S2_S2_EEvT3_20rocsparse_direction_NS_24const_host_device_scalarIT1_EES3_PKS3_PKT2_SC_S9_PKT4_PKT5_S7_PT6_21rocsparse_index_base_b
		.amdhsa_group_segment_fixed_size 0
		.amdhsa_private_segment_fixed_size 0
		.amdhsa_kernarg_size 104
		.amdhsa_user_sgpr_count 6
		.amdhsa_user_sgpr_private_segment_buffer 1
		.amdhsa_user_sgpr_dispatch_ptr 0
		.amdhsa_user_sgpr_queue_ptr 0
		.amdhsa_user_sgpr_kernarg_segment_ptr 1
		.amdhsa_user_sgpr_dispatch_id 0
		.amdhsa_user_sgpr_flat_scratch_init 0
		.amdhsa_user_sgpr_kernarg_preload_length 0
		.amdhsa_user_sgpr_kernarg_preload_offset 0
		.amdhsa_user_sgpr_private_segment_size 0
		.amdhsa_uses_dynamic_stack 0
		.amdhsa_system_sgpr_private_segment_wavefront_offset 0
		.amdhsa_system_sgpr_workgroup_id_x 1
		.amdhsa_system_sgpr_workgroup_id_y 0
		.amdhsa_system_sgpr_workgroup_id_z 0
		.amdhsa_system_sgpr_workgroup_info 0
		.amdhsa_system_vgpr_workitem_id 0
		.amdhsa_next_free_vgpr 106
		.amdhsa_next_free_sgpr 22
		.amdhsa_accum_offset 108
		.amdhsa_reserve_vcc 1
		.amdhsa_reserve_flat_scratch 0
		.amdhsa_float_round_mode_32 0
		.amdhsa_float_round_mode_16_64 0
		.amdhsa_float_denorm_mode_32 3
		.amdhsa_float_denorm_mode_16_64 3
		.amdhsa_dx10_clamp 1
		.amdhsa_ieee_mode 1
		.amdhsa_fp16_overflow 0
		.amdhsa_tg_split 0
		.amdhsa_exception_fp_ieee_invalid_op 0
		.amdhsa_exception_fp_denorm_src 0
		.amdhsa_exception_fp_ieee_div_zero 0
		.amdhsa_exception_fp_ieee_overflow 0
		.amdhsa_exception_fp_ieee_underflow 0
		.amdhsa_exception_fp_ieee_inexact 0
		.amdhsa_exception_int_div_zero 0
	.end_amdhsa_kernel
	.section	.text._ZN9rocsparseL18bsrxmvn_4x4_kernelILj128ELj64E21rocsparse_complex_numIfEllS2_S2_S2_EEvT3_20rocsparse_direction_NS_24const_host_device_scalarIT1_EES3_PKS3_PKT2_SC_S9_PKT4_PKT5_S7_PT6_21rocsparse_index_base_b,"axG",@progbits,_ZN9rocsparseL18bsrxmvn_4x4_kernelILj128ELj64E21rocsparse_complex_numIfEllS2_S2_S2_EEvT3_20rocsparse_direction_NS_24const_host_device_scalarIT1_EES3_PKS3_PKT2_SC_S9_PKT4_PKT5_S7_PT6_21rocsparse_index_base_b,comdat
.Lfunc_end54:
	.size	_ZN9rocsparseL18bsrxmvn_4x4_kernelILj128ELj64E21rocsparse_complex_numIfEllS2_S2_S2_EEvT3_20rocsparse_direction_NS_24const_host_device_scalarIT1_EES3_PKS3_PKT2_SC_S9_PKT4_PKT5_S7_PT6_21rocsparse_index_base_b, .Lfunc_end54-_ZN9rocsparseL18bsrxmvn_4x4_kernelILj128ELj64E21rocsparse_complex_numIfEllS2_S2_S2_EEvT3_20rocsparse_direction_NS_24const_host_device_scalarIT1_EES3_PKS3_PKT2_SC_S9_PKT4_PKT5_S7_PT6_21rocsparse_index_base_b
                                        ; -- End function
	.section	.AMDGPU.csdata,"",@progbits
; Kernel info:
; codeLenInByte = 7564
; NumSgprs: 26
; NumVgprs: 106
; NumAgprs: 0
; TotalNumVgprs: 106
; ScratchSize: 0
; MemoryBound: 0
; FloatMode: 240
; IeeeMode: 1
; LDSByteSize: 0 bytes/workgroup (compile time only)
; SGPRBlocks: 3
; VGPRBlocks: 13
; NumSGPRsForWavesPerEU: 26
; NumVGPRsForWavesPerEU: 106
; AccumOffset: 108
; Occupancy: 4
; WaveLimiterHint : 1
; COMPUTE_PGM_RSRC2:SCRATCH_EN: 0
; COMPUTE_PGM_RSRC2:USER_SGPR: 6
; COMPUTE_PGM_RSRC2:TRAP_HANDLER: 0
; COMPUTE_PGM_RSRC2:TGID_X_EN: 1
; COMPUTE_PGM_RSRC2:TGID_Y_EN: 0
; COMPUTE_PGM_RSRC2:TGID_Z_EN: 0
; COMPUTE_PGM_RSRC2:TIDIG_COMP_CNT: 0
; COMPUTE_PGM_RSRC3_GFX90A:ACCUM_OFFSET: 26
; COMPUTE_PGM_RSRC3_GFX90A:TG_SPLIT: 0
	.section	.text._ZN9rocsparseL18bsrxmvn_4x4_kernelILj128ELj4E21rocsparse_complex_numIdEllS2_S2_S2_EEvT3_20rocsparse_direction_NS_24const_host_device_scalarIT1_EES3_PKS3_PKT2_SC_S9_PKT4_PKT5_S7_PT6_21rocsparse_index_base_b,"axG",@progbits,_ZN9rocsparseL18bsrxmvn_4x4_kernelILj128ELj4E21rocsparse_complex_numIdEllS2_S2_S2_EEvT3_20rocsparse_direction_NS_24const_host_device_scalarIT1_EES3_PKS3_PKT2_SC_S9_PKT4_PKT5_S7_PT6_21rocsparse_index_base_b,comdat
	.globl	_ZN9rocsparseL18bsrxmvn_4x4_kernelILj128ELj4E21rocsparse_complex_numIdEllS2_S2_S2_EEvT3_20rocsparse_direction_NS_24const_host_device_scalarIT1_EES3_PKS3_PKT2_SC_S9_PKT4_PKT5_S7_PT6_21rocsparse_index_base_b ; -- Begin function _ZN9rocsparseL18bsrxmvn_4x4_kernelILj128ELj4E21rocsparse_complex_numIdEllS2_S2_S2_EEvT3_20rocsparse_direction_NS_24const_host_device_scalarIT1_EES3_PKS3_PKT2_SC_S9_PKT4_PKT5_S7_PT6_21rocsparse_index_base_b
	.p2align	8
	.type	_ZN9rocsparseL18bsrxmvn_4x4_kernelILj128ELj4E21rocsparse_complex_numIdEllS2_S2_S2_EEvT3_20rocsparse_direction_NS_24const_host_device_scalarIT1_EES3_PKS3_PKT2_SC_S9_PKT4_PKT5_S7_PT6_21rocsparse_index_base_b,@function
_ZN9rocsparseL18bsrxmvn_4x4_kernelILj128ELj4E21rocsparse_complex_numIdEllS2_S2_S2_EEvT3_20rocsparse_direction_NS_24const_host_device_scalarIT1_EES3_PKS3_PKT2_SC_S9_PKT4_PKT5_S7_PT6_21rocsparse_index_base_b: ; @_ZN9rocsparseL18bsrxmvn_4x4_kernelILj128ELj4E21rocsparse_complex_numIdEllS2_S2_S2_EEvT3_20rocsparse_direction_NS_24const_host_device_scalarIT1_EES3_PKS3_PKT2_SC_S9_PKT4_PKT5_S7_PT6_21rocsparse_index_base_b
; %bb.0:
	s_load_dwordx2 s[20:21], s[6:7], 0x70
	s_load_dwordx4 s[16:19], s[6:7], 0x10
	s_load_dwordx2 s[10:11], s[4:5], 0x4
	s_load_dwordx4 s[12:15], s[6:7], 0x58
	s_mov_b64 s[2:3], src_shared_base
	v_bfe_u32 v3, v0, 10, 10
	s_waitcnt lgkmcnt(0)
	s_bitcmp1_b32 s21, 0
	s_cselect_b64 s[0:1], -1, 0
	s_and_b64 vcc, s[0:1], exec
	s_cselect_b32 s2, s3, s17
	s_lshr_b32 s4, s10, 16
	v_and_b32_e32 v2, 0x3ff, v0
	s_mul_i32 s4, s4, s11
	v_mul_u32_u24_e32 v3, s11, v3
	v_mad_u32_u24 v3, s4, v2, v3
	v_bfe_u32 v0, v0, 20, 10
	v_add_lshl_u32 v0, v3, v0, 3
	v_mov_b32_e32 v1, s16
	v_add_u32_e32 v3, 0x400, v0
	v_pk_mov_b32 v[4:5], s[16:17], s[16:17] op_sel:[0,1]
	v_pk_mov_b32 v[6:7], s[12:13], s[12:13] op_sel:[0,1]
	ds_write2st64_b64 v0, v[6:7], v[4:5] offset1:2
	v_cndmask_b32_e64 v4, v1, v3, s[0:1]
	v_mov_b32_e32 v5, s2
	flat_load_dwordx2 v[48:49], v[4:5]
	s_xor_b64 s[4:5], s[0:1], -1
	v_pk_mov_b32 v[50:51], s[18:19], s[18:19] op_sel:[0,1]
	s_cbranch_vccnz .LBB55_2
; %bb.1:
	v_pk_mov_b32 v[4:5], s[16:17], s[16:17] op_sel:[0,1]
	flat_load_dwordx2 v[50:51], v[4:5] offset:8
.LBB55_2:
	s_and_b64 s[10:11], s[0:1], exec
	s_cselect_b32 s2, s3, s13
	v_mov_b32_e32 v1, s12
	v_cndmask_b32_e64 v0, v1, v0, s[0:1]
	v_mov_b32_e32 v1, s2
	flat_load_dwordx2 v[44:45], v[0:1]
	s_andn2_b64 vcc, exec, s[4:5]
	v_pk_mov_b32 v[46:47], s[14:15], s[14:15] op_sel:[0,1]
	s_cbranch_vccnz .LBB55_4
; %bb.3:
	v_pk_mov_b32 v[0:1], s[12:13], s[12:13] op_sel:[0,1]
	flat_load_dwordx2 v[46:47], v[0:1] offset:8
.LBB55_4:
	s_waitcnt vmcnt(0) lgkmcnt(0)
	v_cmp_eq_f64_e32 vcc, 0, v[48:49]
	v_cmp_eq_f64_e64 s[0:1], 0, v[50:51]
	s_and_b64 s[4:5], vcc, s[0:1]
	s_mov_b64 s[0:1], -1
	s_and_saveexec_b64 s[2:3], s[4:5]
; %bb.5:
	v_cmp_neq_f64_e32 vcc, 1.0, v[44:45]
	v_cmp_neq_f64_e64 s[0:1], 0, v[46:47]
	s_or_b64 s[0:1], vcc, s[0:1]
	s_orn2_b64 s[0:1], s[0:1], exec
; %bb.6:
	s_or_b64 exec, exec, s[2:3]
	s_and_saveexec_b64 s[2:3], s[0:1]
	s_cbranch_execz .LBB55_12
; %bb.7:
	s_load_dwordx2 s[2:3], s[6:7], 0x28
	v_lshrrev_b32_e32 v0, 2, v2
	v_lshl_or_b32 v0, s8, 5, v0
	v_mov_b32_e32 v1, 0
	s_mov_b64 s[0:1], 0
	s_waitcnt lgkmcnt(0)
	s_cmp_lg_u64 s[2:3], 0
	s_cbranch_scc0 .LBB55_13
; %bb.8:
	s_load_dwordx2 s[4:5], s[6:7], 0x20
                                        ; implicit-def: $vgpr52_vgpr53
	s_waitcnt lgkmcnt(0)
	v_cmp_gt_i64_e32 vcc, s[4:5], v[0:1]
	s_and_saveexec_b64 s[4:5], vcc
	s_xor_b64 s[4:5], exec, s[4:5]
                                        ; implicit-def: $sgpr16_sgpr17
	s_cbranch_execz .LBB55_10
; %bb.9:
	v_lshlrev_b64 v[4:5], 3, v[0:1]
	v_mov_b32_e32 v3, s3
	v_add_co_u32_e32 v4, vcc, s2, v4
	v_addc_co_u32_e32 v5, vcc, v3, v5, vcc
	global_load_dwordx2 v[4:5], v[4:5], off
	s_mov_b64 s[0:1], exec
	s_mov_b32 s17, 0
	s_waitcnt vmcnt(0)
	v_subrev_co_u32_e32 v52, vcc, s20, v4
	v_subbrev_co_u32_e32 v53, vcc, 0, v5, vcc
.LBB55_10:
	s_or_b64 exec, exec, s[4:5]
.LBB55_11:
	s_and_b64 exec, exec, s[0:1]
	s_cbranch_execnz .LBB55_17
.LBB55_12:
	s_endpgm
.LBB55_13:
                                        ; implicit-def: $vgpr52_vgpr53
                                        ; implicit-def: $sgpr16_sgpr17
	s_cbranch_execz .LBB55_11
; %bb.14:
	s_load_dwordx2 s[2:3], s[6:7], 0x0
                                        ; implicit-def: $vgpr52_vgpr53
	s_waitcnt lgkmcnt(0)
	v_cmp_gt_i64_e32 vcc, s[2:3], v[0:1]
	s_and_saveexec_b64 s[2:3], vcc
                                        ; implicit-def: $sgpr16_sgpr17
; %bb.15:
	s_mov_b32 s17, 0
	s_or_b64 s[0:1], s[0:1], exec
	v_pk_mov_b32 v[52:53], v[0:1], v[0:1] op_sel:[0,1]
; %bb.16:
	s_or_b64 exec, exec, s[2:3]
	s_and_b64 exec, exec, s[0:1]
	s_cbranch_execz .LBB55_12
.LBB55_17:
	s_load_dwordx8 s[8:15], s[6:7], 0x30
	v_lshlrev_b64 v[0:1], 3, v[52:53]
	v_and_b32_e32 v54, 3, v2
	v_mov_b32_e32 v2, s17
	s_waitcnt lgkmcnt(0)
	v_mov_b32_e32 v3, s9
	v_add_co_u32_e32 v4, vcc, s8, v0
	v_addc_co_u32_e32 v5, vcc, v3, v1, vcc
	v_add_co_u32_e32 v3, vcc, 8, v4
	global_load_dwordx2 v[16:17], v[4:5], off
	v_addc_co_u32_e32 v4, vcc, 0, v5, vcc
	v_mov_b32_e32 v5, s11
	v_add_co_u32_e32 v0, vcc, s10, v0
	s_cmp_eq_u64 s[10:11], 0
	v_addc_co_u32_e32 v1, vcc, v5, v1, vcc
	s_cselect_b64 vcc, -1, 0
	v_cndmask_b32_e32 v1, v1, v4, vcc
	v_cndmask_b32_e32 v0, v0, v3, vcc
	global_load_dwordx2 v[0:1], v[0:1], off
	s_load_dword s0, s[6:7], 0x8
	s_load_dwordx2 s[4:5], s[6:7], 0x50
	v_mov_b32_e32 v3, s15
	s_waitcnt lgkmcnt(0)
	s_cmp_eq_u32 s0, 1
	s_waitcnt vmcnt(1)
	v_subrev_co_u32_e32 v4, vcc, s20, v16
	v_subb_co_u32_e32 v5, vcc, v17, v2, vcc
	v_add_co_u32_e32 v56, vcc, v4, v54
	v_addc_co_u32_e32 v57, vcc, 0, v5, vcc
	s_waitcnt vmcnt(0)
	v_subrev_co_u32_e32 v58, vcc, s20, v0
	v_subb_co_u32_e32 v59, vcc, v1, v2, vcc
	v_lshlrev_b64 v[0:1], 8, v[56:57]
	v_add_co_u32_e32 v60, vcc, s14, v0
	v_addc_co_u32_e32 v61, vcc, v3, v1, vcc
	v_cmp_lt_i64_e64 s[0:1], v[56:57], v[58:59]
	s_cbranch_scc1 .LBB55_29
; %bb.18:
	v_pk_mov_b32 v[64:65], 0, 0
	s_mov_b64 s[8:9], 0
	v_pk_mov_b32 v[70:71], v[64:65], v[64:65] op_sel:[0,1]
	v_pk_mov_b32 v[76:77], v[64:65], v[64:65] op_sel:[0,1]
	;; [unrolled: 1-line block ×7, first 2 shown]
	s_and_saveexec_b64 s[10:11], s[0:1]
	s_cbranch_execz .LBB55_28
; %bb.19:
	v_or_b32_e32 v0, 4, v54
	v_mov_b32_e32 v1, s17
	v_subrev_co_u32_e32 v0, vcc, s20, v0
	v_subb_co_u32_e32 v1, vcc, 0, v1, vcc
	v_add_co_u32_e32 v0, vcc, v0, v16
	v_addc_co_u32_e32 v1, vcc, v1, v17, vcc
	v_cmp_gt_i64_e32 vcc, v[0:1], v[58:59]
	v_cndmask_b32_e32 v1, v59, v1, vcc
	v_cndmask_b32_e32 v0, v58, v0, vcc
	v_mov_b32_e32 v4, s17
	v_sub_co_u32_e32 v5, vcc, s20, v54
	v_not_b32_e32 v3, v16
	v_subbrev_co_u32_e32 v4, vcc, 0, v4, vcc
	v_not_b32_e32 v2, v17
	v_add_co_u32_e32 v3, vcc, v5, v3
	v_addc_co_u32_e32 v2, vcc, v4, v2, vcc
	v_add_co_u32_e32 v4, vcc, v3, v0
	v_lshrrev_b32_e32 v0, 2, v4
	v_add_u32_e32 v0, 1, v0
	v_addc_co_u32_e32 v5, vcc, v2, v1, vcc
	v_and_b32_e32 v0, 3, v0
	v_pk_mov_b32 v[68:69], 0, 0
	v_cmp_ne_u32_e32 vcc, 0, v0
	s_mov_b64 s[18:19], 0
	v_pk_mov_b32 v[72:73], v[68:69], v[68:69] op_sel:[0,1]
	v_pk_mov_b32 v[66:67], v[68:69], v[68:69] op_sel:[0,1]
	;; [unrolled: 1-line block ×9, first 2 shown]
	s_and_saveexec_b64 s[14:15], vcc
	s_cbranch_execz .LBB55_23
; %bb.20:
	v_lshlrev_b64 v[2:3], 3, v[56:57]
	v_mov_b32_e32 v1, s13
	v_add_co_u32_e32 v8, vcc, s12, v2
	v_pk_mov_b32 v[64:65], 0, 0
	v_mov_b32_e32 v7, 0
	v_addc_co_u32_e32 v9, vcc, v1, v3, vcc
	v_lshlrev_b32_e32 v6, 3, v0
	s_movk_i32 s16, 0x400
	v_mov_b32_e32 v10, s17
	v_mov_b32_e32 v11, s5
	v_pk_mov_b32 v[20:21], v[56:57], v[56:57] op_sel:[0,1]
	v_pk_mov_b32 v[18:19], v[60:61], v[60:61] op_sel:[0,1]
	;; [unrolled: 1-line block ×9, first 2 shown]
.LBB55_21:                              ; =>This Inner Loop Header: Depth=1
	global_load_dwordx2 v[42:43], v[8:9], off
	global_load_dwordx4 v[0:3], v[18:19], off offset:16
	global_load_dwordx4 v[12:15], v[18:19], off
	global_load_dwordx4 v[22:25], v[18:19], off offset:80
	global_load_dwordx4 v[26:29], v[18:19], off offset:64
	;; [unrolled: 1-line block ×5, first 2 shown]
	v_add_co_u32_e64 v20, s[2:3], 4, v20
	v_addc_co_u32_e64 v21, s[2:3], 0, v21, s[2:3]
	v_add_co_u32_e64 v8, s[2:3], 32, v8
	v_addc_co_u32_e64 v9, s[2:3], 0, v9, s[2:3]
	v_add_co_u32_e64 v6, s[2:3], -8, v6
	v_addc_co_u32_e64 v7, s[2:3], -1, v7, s[2:3]
	s_waitcnt vmcnt(7)
	v_subrev_co_u32_e32 v42, vcc, s20, v42
	v_subb_co_u32_e32 v43, vcc, v43, v10, vcc
	v_lshlrev_b64 v[42:43], 6, v[42:43]
	v_add_co_u32_e32 v42, vcc, s4, v42
	v_addc_co_u32_e32 v43, vcc, v11, v43, vcc
	global_load_dwordx4 v[78:81], v[42:43], off
	s_waitcnt vmcnt(0)
	v_fmac_f64_e32 v[70:71], v[12:13], v[78:79]
	v_fmac_f64_e32 v[64:65], v[14:15], v[78:79]
	;; [unrolled: 1-line block ×8, first 2 shown]
	v_fma_f64 v[82:83], -v[14:15], v[80:81], v[70:71]
	v_fmac_f64_e32 v[64:65], v[12:13], v[80:81]
	global_load_dwordx4 v[12:15], v[18:19], off offset:208
	v_fma_f64 v[84:85], -v[28:29], v[80:81], v[72:73]
	v_fmac_f64_e32 v[68:69], v[26:27], v[80:81]
	global_load_dwordx4 v[26:29], v[18:19], off offset:48
	;; [unrolled: 3-line block ×4, first 2 shown]
	global_load_dwordx4 v[70:73], v[42:43], off offset:16
	s_waitcnt vmcnt(0)
	v_fmac_f64_e32 v[82:83], v[0:1], v[70:71]
	v_fmac_f64_e32 v[64:65], v[2:3], v[70:71]
	;; [unrolled: 1-line block ×8, first 2 shown]
	v_fma_f64 v[78:79], -v[2:3], v[72:73], v[82:83]
	v_fmac_f64_e32 v[64:65], v[0:1], v[72:73]
	global_load_dwordx4 v[0:3], v[18:19], off offset:96
	v_fma_f64 v[80:81], -v[24:25], v[72:73], v[84:85]
	v_fmac_f64_e32 v[68:69], v[22:23], v[72:73]
	global_load_dwordx4 v[22:25], v[18:19], off offset:176
	;; [unrolled: 3-line block ×4, first 2 shown]
	global_load_dwordx4 v[70:73], v[42:43], off offset:32
	s_waitcnt vmcnt(0)
	v_fmac_f64_e32 v[78:79], v[34:35], v[70:71]
	v_fmac_f64_e32 v[64:65], v[36:37], v[70:71]
	;; [unrolled: 1-line block ×4, first 2 shown]
	v_fma_f64 v[78:79], -v[36:37], v[72:73], v[78:79]
	v_fmac_f64_e32 v[64:65], v[34:35], v[72:73]
	global_load_dwordx4 v[34:37], v[18:19], off offset:240
	v_fma_f64 v[80:81], -v[2:3], v[72:73], v[80:81]
	v_fmac_f64_e32 v[68:69], v[0:1], v[72:73]
	global_load_dwordx4 v[0:3], v[42:43], off offset:48
	v_add_co_u32_e32 v18, vcc, s16, v18
	v_fmac_f64_e32 v[74:75], v[30:31], v[70:71]
	v_fmac_f64_e32 v[66:67], v[32:33], v[70:71]
	;; [unrolled: 1-line block ×4, first 2 shown]
	v_addc_co_u32_e32 v19, vcc, 0, v19, vcc
	v_fma_f64 v[32:33], -v[32:33], v[72:73], v[74:75]
	v_fmac_f64_e32 v[66:67], v[30:31], v[72:73]
	v_fma_f64 v[14:15], -v[14:15], v[72:73], v[76:77]
	v_fmac_f64_e32 v[62:63], v[12:13], v[72:73]
	v_cmp_eq_u64_e32 vcc, 0, v[6:7]
	s_or_b64 s[18:19], vcc, s[18:19]
	s_waitcnt vmcnt(0)
	v_fmac_f64_e32 v[78:79], v[26:27], v[0:1]
	v_fmac_f64_e32 v[64:65], v[28:29], v[0:1]
	;; [unrolled: 1-line block ×8, first 2 shown]
	v_fma_f64 v[70:71], -v[28:29], v[2:3], v[78:79]
	v_fmac_f64_e32 v[64:65], v[26:27], v[2:3]
	v_fma_f64 v[72:73], -v[40:41], v[2:3], v[80:81]
	v_fmac_f64_e32 v[68:69], v[38:39], v[2:3]
	;; [unrolled: 2-line block ×4, first 2 shown]
	s_andn2_b64 exec, exec, s[18:19]
	s_cbranch_execnz .LBB55_21
; %bb.22:
	s_or_b64 exec, exec, s[18:19]
.LBB55_23:
	s_or_b64 exec, exec, s[14:15]
	v_cmp_lt_u64_e32 vcc, 11, v[4:5]
	s_and_saveexec_b64 s[2:3], vcc
	s_cbranch_execz .LBB55_27
; %bb.24:
	v_lshlrev_b64 v[0:1], 3, v[20:21]
	v_mov_b32_e32 v2, s13
	v_add_co_u32_e32 v0, vcc, s12, v0
	v_addc_co_u32_e32 v1, vcc, v1, v2, vcc
	v_add_co_u32_e32 v22, vcc, 64, v0
	v_addc_co_u32_e32 v23, vcc, 0, v1, vcc
	s_mov_b64 s[14:15], 0
	v_mov_b32_e32 v32, s17
	v_mov_b32_e32 v33, s5
	s_movk_i32 s16, 0x1000
.LBB55_25:                              ; =>This Inner Loop Header: Depth=1
	global_load_dwordx2 v[0:1], v[22:23], off offset:-64
	global_load_dwordx4 v[26:29], v[18:19], off offset:48
	global_load_dwordx4 v[34:37], v[18:19], off offset:32
	;; [unrolled: 1-line block ×3, first 2 shown]
	global_load_dwordx4 v[78:81], v[18:19], off
	s_waitcnt vmcnt(4)
	v_subrev_co_u32_e32 v0, vcc, s20, v0
	v_subb_co_u32_e32 v1, vcc, v1, v32, vcc
	v_lshlrev_b64 v[0:1], 6, v[0:1]
	v_add_co_u32_e32 v24, vcc, s4, v0
	v_addc_co_u32_e32 v25, vcc, v33, v1, vcc
	global_load_dwordx4 v[0:3], v[24:25], off offset:48
	global_load_dwordx4 v[4:7], v[24:25], off offset:32
	;; [unrolled: 1-line block ×3, first 2 shown]
	global_load_dwordx4 v[12:15], v[24:25], off
	s_waitcnt vmcnt(0)
	v_fmac_f64_e32 v[70:71], v[78:79], v[12:13]
	v_fma_f64 v[24:25], -v[80:81], v[14:15], v[70:71]
	v_fmac_f64_e32 v[64:65], v[80:81], v[12:13]
	v_fmac_f64_e32 v[64:65], v[78:79], v[14:15]
	v_fmac_f64_e32 v[24:25], v[38:39], v[8:9]
	v_fma_f64 v[24:25], -v[40:41], v[10:11], v[24:25]
	v_fmac_f64_e32 v[64:65], v[40:41], v[8:9]
	v_fmac_f64_e32 v[64:65], v[38:39], v[10:11]
	;; [unrolled: 4-line block ×3, first 2 shown]
	v_fmac_f64_e32 v[24:25], v[26:27], v[0:1]
	v_fma_f64 v[24:25], -v[28:29], v[2:3], v[24:25]
	v_fmac_f64_e32 v[64:65], v[28:29], v[0:1]
	global_load_dwordx4 v[28:31], v[18:19], off offset:112
	global_load_dwordx4 v[34:37], v[18:19], off offset:96
	;; [unrolled: 1-line block ×4, first 2 shown]
	v_fmac_f64_e32 v[64:65], v[26:27], v[2:3]
	s_waitcnt vmcnt(0)
	v_fmac_f64_e32 v[72:73], v[78:79], v[12:13]
	v_fmac_f64_e32 v[68:69], v[80:81], v[12:13]
	v_fma_f64 v[26:27], -v[80:81], v[14:15], v[72:73]
	v_fmac_f64_e32 v[68:69], v[78:79], v[14:15]
	v_fmac_f64_e32 v[26:27], v[38:39], v[8:9]
	v_fmac_f64_e32 v[68:69], v[40:41], v[8:9]
	v_fma_f64 v[26:27], -v[40:41], v[10:11], v[26:27]
	v_fmac_f64_e32 v[68:69], v[38:39], v[10:11]
	;; [unrolled: 4-line block ×4, first 2 shown]
	global_load_dwordx4 v[34:37], v[18:19], off offset:176
	global_load_dwordx4 v[28:31], v[18:19], off offset:160
	;; [unrolled: 1-line block ×4, first 2 shown]
	s_waitcnt vmcnt(0)
	v_fmac_f64_e32 v[74:75], v[70:71], v[12:13]
	v_fmac_f64_e32 v[66:67], v[72:73], v[12:13]
	v_fma_f64 v[42:43], -v[72:73], v[14:15], v[74:75]
	v_fmac_f64_e32 v[66:67], v[70:71], v[14:15]
	v_fmac_f64_e32 v[42:43], v[38:39], v[8:9]
	v_fmac_f64_e32 v[66:67], v[40:41], v[8:9]
	v_fma_f64 v[42:43], -v[40:41], v[10:11], v[42:43]
	v_fmac_f64_e32 v[66:67], v[38:39], v[10:11]
	;; [unrolled: 4-line block ×4, first 2 shown]
	global_load_dwordx4 v[34:37], v[18:19], off offset:240
	global_load_dwordx4 v[38:41], v[18:19], off offset:224
	global_load_dwordx4 v[70:73], v[18:19], off offset:208
	global_load_dwordx4 v[78:81], v[18:19], off offset:192
	s_waitcnt vmcnt(0)
	v_fmac_f64_e32 v[76:77], v[78:79], v[12:13]
	v_fmac_f64_e32 v[62:63], v[80:81], v[12:13]
	v_fma_f64 v[30:31], -v[80:81], v[14:15], v[76:77]
	v_fmac_f64_e32 v[62:63], v[78:79], v[14:15]
	v_fmac_f64_e32 v[30:31], v[70:71], v[8:9]
	v_fmac_f64_e32 v[62:63], v[72:73], v[8:9]
	v_fma_f64 v[12:13], -v[72:73], v[10:11], v[30:31]
	v_fmac_f64_e32 v[62:63], v[70:71], v[10:11]
	;; [unrolled: 4-line block ×3, first 2 shown]
	v_fmac_f64_e32 v[8:9], v[34:35], v[0:1]
	v_fmac_f64_e32 v[62:63], v[36:37], v[0:1]
	global_load_dwordx2 v[0:1], v[22:23], off offset:-32
	v_fma_f64 v[6:7], -v[36:37], v[2:3], v[8:9]
	v_fmac_f64_e32 v[62:63], v[34:35], v[2:3]
	global_load_dwordx4 v[2:5], v[18:19], off offset:1072
	global_load_dwordx4 v[8:11], v[18:19], off offset:1056
	;; [unrolled: 1-line block ×4, first 2 shown]
	s_waitcnt vmcnt(4)
	v_subrev_co_u32_e32 v0, vcc, s20, v0
	v_subb_co_u32_e32 v1, vcc, v1, v32, vcc
	v_lshlrev_b64 v[0:1], 6, v[0:1]
	v_add_co_u32_e32 v0, vcc, s4, v0
	v_addc_co_u32_e32 v1, vcc, v33, v1, vcc
	global_load_dwordx4 v[38:41], v[0:1], off offset:48
	global_load_dwordx4 v[70:73], v[0:1], off offset:32
	;; [unrolled: 1-line block ×3, first 2 shown]
	global_load_dwordx4 v[78:81], v[0:1], off
	s_waitcnt vmcnt(0)
	v_fmac_f64_e32 v[24:25], v[34:35], v[78:79]
	v_fmac_f64_e32 v[64:65], v[36:37], v[78:79]
	v_fma_f64 v[0:1], -v[36:37], v[80:81], v[24:25]
	v_fmac_f64_e32 v[64:65], v[34:35], v[80:81]
	v_fmac_f64_e32 v[0:1], v[12:13], v[74:75]
	v_fmac_f64_e32 v[64:65], v[14:15], v[74:75]
	v_fma_f64 v[0:1], -v[14:15], v[76:77], v[0:1]
	v_fmac_f64_e32 v[64:65], v[12:13], v[76:77]
	v_fmac_f64_e32 v[0:1], v[8:9], v[70:71]
	v_fmac_f64_e32 v[64:65], v[10:11], v[70:71]
	v_fma_f64 v[0:1], -v[10:11], v[72:73], v[0:1]
	v_fmac_f64_e32 v[64:65], v[8:9], v[72:73]
	v_fmac_f64_e32 v[0:1], v[2:3], v[38:39]
	v_fmac_f64_e32 v[64:65], v[4:5], v[38:39]
	v_fma_f64 v[0:1], -v[4:5], v[40:41], v[0:1]
	v_fmac_f64_e32 v[64:65], v[2:3], v[40:41]
	global_load_dwordx4 v[8:11], v[18:19], off offset:1136
	global_load_dwordx4 v[2:5], v[18:19], off offset:1120
	global_load_dwordx4 v[12:15], v[18:19], off offset:1104
	global_load_dwordx4 v[34:37], v[18:19], off offset:1088
	s_waitcnt vmcnt(0)
	v_fmac_f64_e32 v[26:27], v[34:35], v[78:79]
	v_fmac_f64_e32 v[68:69], v[36:37], v[78:79]
	v_fma_f64 v[24:25], -v[36:37], v[80:81], v[26:27]
	v_fmac_f64_e32 v[68:69], v[34:35], v[80:81]
	v_fmac_f64_e32 v[24:25], v[12:13], v[74:75]
	v_fmac_f64_e32 v[68:69], v[14:15], v[74:75]
	v_fma_f64 v[24:25], -v[14:15], v[76:77], v[24:25]
	v_fmac_f64_e32 v[68:69], v[12:13], v[76:77]
	v_fmac_f64_e32 v[24:25], v[2:3], v[70:71]
	v_fmac_f64_e32 v[68:69], v[4:5], v[70:71]
	v_fma_f64 v[12:13], -v[4:5], v[72:73], v[24:25]
	v_fmac_f64_e32 v[68:69], v[2:3], v[72:73]
	v_fmac_f64_e32 v[12:13], v[8:9], v[38:39]
	v_fmac_f64_e32 v[68:69], v[10:11], v[38:39]
	v_fma_f64 v[2:3], -v[10:11], v[40:41], v[12:13]
	v_fmac_f64_e32 v[68:69], v[8:9], v[40:41]
	global_load_dwordx4 v[8:11], v[18:19], off offset:1200
	global_load_dwordx4 v[12:15], v[18:19], off offset:1184
	global_load_dwordx4 v[24:27], v[18:19], off offset:1168
	global_load_dwordx4 v[34:37], v[18:19], off offset:1152
	;; [unrolled: 21-line block ×3, first 2 shown]
	s_waitcnt vmcnt(0)
	v_fmac_f64_e32 v[62:63], v[30:31], v[78:79]
	v_fmac_f64_e32 v[6:7], v[28:29], v[78:79]
	v_fmac_f64_e32 v[62:63], v[28:29], v[80:81]
	v_fma_f64 v[6:7], -v[30:31], v[80:81], v[6:7]
	v_fmac_f64_e32 v[62:63], v[26:27], v[74:75]
	v_fmac_f64_e32 v[6:7], v[24:25], v[74:75]
	v_fmac_f64_e32 v[62:63], v[24:25], v[76:77]
	v_fma_f64 v[6:7], -v[26:27], v[76:77], v[6:7]
	;; [unrolled: 4-line block ×3, first 2 shown]
	v_fmac_f64_e32 v[62:63], v[10:11], v[38:39]
	v_fmac_f64_e32 v[6:7], v[8:9], v[38:39]
	;; [unrolled: 1-line block ×3, first 2 shown]
	global_load_dwordx2 v[8:9], v[22:23], off
	v_fma_f64 v[6:7], -v[10:11], v[40:41], v[6:7]
	s_waitcnt vmcnt(0)
	v_subrev_co_u32_e32 v34, vcc, s20, v8
	v_subb_co_u32_e32 v35, vcc, v9, v32, vcc
	v_lshlrev_b64 v[34:35], 6, v[34:35]
	v_add_co_u32_e32 v42, vcc, s4, v34
	v_addc_co_u32_e32 v43, vcc, v33, v35, vcc
	global_load_dwordx4 v[8:11], v[18:19], off offset:2096
	global_load_dwordx4 v[12:15], v[18:19], off offset:2080
	;; [unrolled: 1-line block ×7, first 2 shown]
	global_load_dwordx4 v[74:77], v[42:43], off
	s_waitcnt vmcnt(0)
	v_fmac_f64_e32 v[0:1], v[28:29], v[74:75]
	v_fmac_f64_e32 v[64:65], v[30:31], v[74:75]
	v_fma_f64 v[0:1], -v[30:31], v[76:77], v[0:1]
	v_fmac_f64_e32 v[64:65], v[28:29], v[76:77]
	v_fmac_f64_e32 v[0:1], v[24:25], v[70:71]
	v_fmac_f64_e32 v[64:65], v[26:27], v[70:71]
	v_fma_f64 v[0:1], -v[26:27], v[72:73], v[0:1]
	v_fmac_f64_e32 v[64:65], v[24:25], v[72:73]
	v_fmac_f64_e32 v[0:1], v[12:13], v[38:39]
	v_fmac_f64_e32 v[64:65], v[14:15], v[38:39]
	v_fma_f64 v[0:1], -v[14:15], v[40:41], v[0:1]
	v_fmac_f64_e32 v[64:65], v[12:13], v[40:41]
	v_fmac_f64_e32 v[0:1], v[8:9], v[34:35]
	v_fmac_f64_e32 v[64:65], v[10:11], v[34:35]
	v_fma_f64 v[30:31], -v[10:11], v[36:37], v[0:1]
	v_fmac_f64_e32 v[64:65], v[8:9], v[36:37]
	global_load_dwordx4 v[8:11], v[18:19], off offset:2160
	global_load_dwordx4 v[12:15], v[18:19], off offset:2144
	global_load_dwordx4 v[24:27], v[18:19], off offset:2128
	global_load_dwordx4 v[78:81], v[18:19], off offset:2112
	s_waitcnt vmcnt(0)
	v_fmac_f64_e32 v[2:3], v[78:79], v[74:75]
	v_fmac_f64_e32 v[68:69], v[80:81], v[74:75]
	v_fma_f64 v[0:1], -v[80:81], v[76:77], v[2:3]
	v_fmac_f64_e32 v[68:69], v[78:79], v[76:77]
	v_fmac_f64_e32 v[0:1], v[24:25], v[70:71]
	v_fmac_f64_e32 v[68:69], v[26:27], v[70:71]
	v_fma_f64 v[0:1], -v[26:27], v[72:73], v[0:1]
	v_fmac_f64_e32 v[68:69], v[24:25], v[72:73]
	v_fmac_f64_e32 v[0:1], v[12:13], v[38:39]
	v_fmac_f64_e32 v[68:69], v[14:15], v[38:39]
	v_fma_f64 v[0:1], -v[14:15], v[40:41], v[0:1]
	v_fmac_f64_e32 v[68:69], v[12:13], v[40:41]
	v_fmac_f64_e32 v[0:1], v[8:9], v[34:35]
	v_fmac_f64_e32 v[68:69], v[10:11], v[34:35]
	v_fma_f64 v[28:29], -v[10:11], v[36:37], v[0:1]
	v_fmac_f64_e32 v[68:69], v[8:9], v[36:37]
	global_load_dwordx4 v[0:3], v[18:19], off offset:2224
	global_load_dwordx4 v[8:11], v[18:19], off offset:2208
	global_load_dwordx4 v[12:15], v[18:19], off offset:2192
	global_load_dwordx4 v[24:27], v[18:19], off offset:2176
	;; [unrolled: 21-line block ×3, first 2 shown]
	s_waitcnt vmcnt(0)
	v_fmac_f64_e32 v[62:63], v[80:81], v[74:75]
	v_fmac_f64_e32 v[6:7], v[78:79], v[74:75]
	v_fmac_f64_e32 v[62:63], v[78:79], v[76:77]
	v_fma_f64 v[4:5], -v[80:81], v[76:77], v[6:7]
	v_fmac_f64_e32 v[62:63], v[14:15], v[70:71]
	v_fmac_f64_e32 v[4:5], v[12:13], v[70:71]
	v_fmac_f64_e32 v[62:63], v[12:13], v[72:73]
	v_fma_f64 v[4:5], -v[14:15], v[72:73], v[4:5]
	;; [unrolled: 4-line block ×3, first 2 shown]
	v_fmac_f64_e32 v[62:63], v[2:3], v[34:35]
	v_fmac_f64_e32 v[4:5], v[0:1], v[34:35]
	;; [unrolled: 1-line block ×3, first 2 shown]
	global_load_dwordx2 v[0:1], v[22:23], off offset:32
	v_fma_f64 v[24:25], -v[2:3], v[36:37], v[4:5]
	global_load_dwordx4 v[34:37], v[18:19], off offset:3120
	global_load_dwordx4 v[38:41], v[18:19], off offset:3104
	;; [unrolled: 1-line block ×4, first 2 shown]
	s_waitcnt vmcnt(4)
	v_subrev_co_u32_e32 v0, vcc, s20, v0
	v_subb_co_u32_e32 v1, vcc, v1, v32, vcc
	v_lshlrev_b64 v[0:1], 6, v[0:1]
	v_add_co_u32_e32 v42, vcc, s4, v0
	v_addc_co_u32_e32 v43, vcc, v33, v1, vcc
	global_load_dwordx4 v[0:3], v[42:43], off offset:48
	global_load_dwordx4 v[4:7], v[42:43], off offset:32
	;; [unrolled: 1-line block ×3, first 2 shown]
	global_load_dwordx4 v[12:15], v[42:43], off
	s_waitcnt vmcnt(0)
	v_fmac_f64_e32 v[30:31], v[74:75], v[12:13]
	v_fmac_f64_e32 v[64:65], v[76:77], v[12:13]
	v_fma_f64 v[30:31], -v[76:77], v[14:15], v[30:31]
	v_fmac_f64_e32 v[64:65], v[74:75], v[14:15]
	v_fmac_f64_e32 v[30:31], v[70:71], v[8:9]
	v_fmac_f64_e32 v[64:65], v[72:73], v[8:9]
	v_fma_f64 v[30:31], -v[72:73], v[10:11], v[30:31]
	v_fmac_f64_e32 v[64:65], v[70:71], v[10:11]
	v_fmac_f64_e32 v[30:31], v[38:39], v[4:5]
	v_fmac_f64_e32 v[64:65], v[40:41], v[4:5]
	v_fma_f64 v[30:31], -v[40:41], v[6:7], v[30:31]
	v_fmac_f64_e32 v[64:65], v[38:39], v[6:7]
	v_fmac_f64_e32 v[30:31], v[34:35], v[0:1]
	v_fmac_f64_e32 v[64:65], v[36:37], v[0:1]
	v_fma_f64 v[70:71], -v[36:37], v[2:3], v[30:31]
	v_fmac_f64_e32 v[64:65], v[34:35], v[2:3]
	global_load_dwordx4 v[34:37], v[18:19], off offset:3184
	global_load_dwordx4 v[38:41], v[18:19], off offset:3168
	global_load_dwordx4 v[72:75], v[18:19], off offset:3152
	global_load_dwordx4 v[76:79], v[18:19], off offset:3136
	s_waitcnt vmcnt(0)
	v_fmac_f64_e32 v[28:29], v[76:77], v[12:13]
	v_fmac_f64_e32 v[68:69], v[78:79], v[12:13]
	v_fma_f64 v[28:29], -v[78:79], v[14:15], v[28:29]
	v_fmac_f64_e32 v[68:69], v[76:77], v[14:15]
	v_fmac_f64_e32 v[28:29], v[72:73], v[8:9]
	v_fmac_f64_e32 v[68:69], v[74:75], v[8:9]
	v_fma_f64 v[28:29], -v[74:75], v[10:11], v[28:29]
	v_fmac_f64_e32 v[68:69], v[72:73], v[10:11]
	v_fmac_f64_e32 v[28:29], v[38:39], v[4:5]
	v_fmac_f64_e32 v[68:69], v[40:41], v[4:5]
	v_fma_f64 v[28:29], -v[40:41], v[6:7], v[28:29]
	v_fmac_f64_e32 v[68:69], v[38:39], v[6:7]
	v_fmac_f64_e32 v[28:29], v[34:35], v[0:1]
	v_fmac_f64_e32 v[68:69], v[36:37], v[0:1]
	v_fma_f64 v[72:73], -v[36:37], v[2:3], v[28:29]
	v_fmac_f64_e32 v[68:69], v[34:35], v[2:3]
	global_load_dwordx4 v[28:31], v[18:19], off offset:3248
	global_load_dwordx4 v[34:37], v[18:19], off offset:3232
	global_load_dwordx4 v[38:41], v[18:19], off offset:3216
	global_load_dwordx4 v[74:77], v[18:19], off offset:3200
	;; [unrolled: 21-line block ×3, first 2 shown]
	v_add_co_u32_e32 v18, vcc, s16, v18
	v_addc_co_u32_e32 v19, vcc, 0, v19, vcc
	v_add_co_u32_e32 v20, vcc, 16, v20
	v_addc_co_u32_e32 v21, vcc, 0, v21, vcc
	;; [unrolled: 2-line block ×3, first 2 shown]
	v_cmp_ge_i64_e32 vcc, v[20:21], v[58:59]
	s_or_b64 s[14:15], vcc, s[14:15]
	s_waitcnt vmcnt(0)
	v_fmac_f64_e32 v[24:25], v[76:77], v[12:13]
	v_fmac_f64_e32 v[62:63], v[78:79], v[12:13]
	v_fma_f64 v[24:25], -v[78:79], v[14:15], v[24:25]
	v_fmac_f64_e32 v[62:63], v[76:77], v[14:15]
	v_fmac_f64_e32 v[24:25], v[38:39], v[8:9]
	v_fmac_f64_e32 v[62:63], v[40:41], v[8:9]
	v_fma_f64 v[12:13], -v[40:41], v[10:11], v[24:25]
	v_fmac_f64_e32 v[62:63], v[38:39], v[10:11]
	v_fmac_f64_e32 v[12:13], v[34:35], v[4:5]
	v_fmac_f64_e32 v[62:63], v[36:37], v[4:5]
	v_fma_f64 v[8:9], -v[36:37], v[6:7], v[12:13]
	v_fmac_f64_e32 v[62:63], v[34:35], v[6:7]
	v_fmac_f64_e32 v[8:9], v[26:27], v[0:1]
	v_fmac_f64_e32 v[62:63], v[28:29], v[0:1]
	v_fma_f64 v[76:77], -v[28:29], v[2:3], v[8:9]
	v_fmac_f64_e32 v[62:63], v[26:27], v[2:3]
	s_andn2_b64 exec, exec, s[14:15]
	s_cbranch_execnz .LBB55_25
; %bb.26:
	s_or_b64 exec, exec, s[14:15]
.LBB55_27:
	s_or_b64 exec, exec, s[2:3]
.LBB55_28:
	s_or_b64 exec, exec, s[10:11]
	s_andn2_b64 vcc, exec, s[8:9]
	s_cbranch_vccz .LBB55_30
	s_branch .LBB55_41
.LBB55_29:
                                        ; implicit-def: $vgpr64_vgpr65
                                        ; implicit-def: $vgpr70_vgpr71
                                        ; implicit-def: $vgpr76_vgpr77
                                        ; implicit-def: $vgpr62_vgpr63
                                        ; implicit-def: $vgpr74_vgpr75
                                        ; implicit-def: $vgpr66_vgpr67
                                        ; implicit-def: $vgpr72_vgpr73
                                        ; implicit-def: $vgpr68_vgpr69
.LBB55_30:
	v_pk_mov_b32 v[64:65], 0, 0
	v_pk_mov_b32 v[70:71], v[64:65], v[64:65] op_sel:[0,1]
	v_pk_mov_b32 v[76:77], v[64:65], v[64:65] op_sel:[0,1]
	;; [unrolled: 1-line block ×7, first 2 shown]
	s_and_saveexec_b64 s[2:3], s[0:1]
	s_cbranch_execz .LBB55_40
; %bb.31:
	v_or_b32_e32 v0, 4, v54
	v_mov_b32_e32 v1, s17
	v_subrev_co_u32_e32 v0, vcc, s20, v0
	v_subb_co_u32_e32 v1, vcc, 0, v1, vcc
	v_add_co_u32_e32 v0, vcc, v0, v16
	v_addc_co_u32_e32 v1, vcc, v1, v17, vcc
	v_cmp_gt_i64_e32 vcc, v[0:1], v[58:59]
	v_cndmask_b32_e32 v1, v59, v1, vcc
	v_cndmask_b32_e32 v0, v58, v0, vcc
	v_mov_b32_e32 v4, s17
	v_sub_co_u32_e32 v5, vcc, s20, v54
	v_not_b32_e32 v3, v16
	v_subbrev_co_u32_e32 v4, vcc, 0, v4, vcc
	v_not_b32_e32 v2, v17
	v_add_co_u32_e32 v3, vcc, v5, v3
	v_addc_co_u32_e32 v2, vcc, v4, v2, vcc
	v_add_co_u32_e32 v78, vcc, v3, v0
	v_lshrrev_b32_e32 v0, 2, v78
	v_add_u32_e32 v0, 1, v0
	v_addc_co_u32_e32 v79, vcc, v2, v1, vcc
	v_and_b32_e32 v0, 3, v0
	v_pk_mov_b32 v[68:69], 0, 0
	v_cmp_ne_u32_e32 vcc, 0, v0
	s_mov_b64 s[10:11], 0
	v_pk_mov_b32 v[72:73], v[68:69], v[68:69] op_sel:[0,1]
	v_pk_mov_b32 v[66:67], v[68:69], v[68:69] op_sel:[0,1]
	;; [unrolled: 1-line block ×7, first 2 shown]
	s_and_saveexec_b64 s[8:9], vcc
	s_cbranch_execz .LBB55_35
; %bb.32:
	v_lshlrev_b64 v[2:3], 3, v[56:57]
	v_mov_b32_e32 v1, s13
	v_add_co_u32_e32 v82, vcc, s12, v2
	v_pk_mov_b32 v[64:65], 0, 0
	v_mov_b32_e32 v81, 0
	v_addc_co_u32_e32 v83, vcc, v1, v3, vcc
	v_lshlrev_b32_e32 v80, 3, v0
	s_movk_i32 s14, 0x400
	v_mov_b32_e32 v55, s17
	v_mov_b32_e32 v86, s5
	v_pk_mov_b32 v[70:71], v[64:65], v[64:65] op_sel:[0,1]
	v_pk_mov_b32 v[76:77], v[64:65], v[64:65] op_sel:[0,1]
	v_pk_mov_b32 v[62:63], v[64:65], v[64:65] op_sel:[0,1]
	v_pk_mov_b32 v[74:75], v[64:65], v[64:65] op_sel:[0,1]
	v_pk_mov_b32 v[66:67], v[64:65], v[64:65] op_sel:[0,1]
	v_pk_mov_b32 v[72:73], v[64:65], v[64:65] op_sel:[0,1]
	v_pk_mov_b32 v[68:69], v[64:65], v[64:65] op_sel:[0,1]
.LBB55_33:                              ; =>This Inner Loop Header: Depth=1
	global_load_dwordx2 v[84:85], v[82:83], off
	global_load_dwordx4 v[0:3], v[60:61], off offset:48
	global_load_dwordx4 v[4:7], v[60:61], off offset:32
	;; [unrolled: 1-line block ×3, first 2 shown]
	global_load_dwordx4 v[12:15], v[60:61], off
	global_load_dwordx4 v[16:19], v[60:61], off offset:112
	global_load_dwordx4 v[20:23], v[60:61], off offset:96
	global_load_dwordx4 v[24:27], v[60:61], off offset:80
	global_load_dwordx4 v[28:31], v[60:61], off offset:64
	global_load_dwordx4 v[32:35], v[60:61], off offset:176
	global_load_dwordx4 v[36:39], v[60:61], off offset:160
	global_load_dwordx4 v[40:43], v[60:61], off offset:144
	global_load_dwordx4 v[88:91], v[60:61], off offset:128
	global_load_dwordx4 v[92:95], v[60:61], off offset:208
	global_load_dwordx4 v[96:99], v[60:61], off offset:192
	global_load_dwordx4 v[100:103], v[60:61], off offset:224
	global_load_dwordx4 v[104:107], v[60:61], off offset:240
	v_add_co_u32_e32 v60, vcc, s14, v60
	v_addc_co_u32_e32 v61, vcc, 0, v61, vcc
	s_waitcnt vmcnt(16)
	v_subrev_co_u32_e64 v84, s[0:1], s20, v84
	v_subb_co_u32_e64 v85, s[0:1], v85, v55, s[0:1]
	v_lshlrev_b64 v[84:85], 6, v[84:85]
	v_add_co_u32_e64 v84, s[0:1], s4, v84
	v_addc_co_u32_e64 v85, s[0:1], v86, v85, s[0:1]
	global_load_dwordx4 v[108:111], v[84:85], off
	global_load_dwordx4 v[112:115], v[84:85], off offset:16
	global_load_dwordx4 v[116:119], v[84:85], off offset:32
	;; [unrolled: 1-line block ×3, first 2 shown]
	v_add_co_u32_e64 v56, s[0:1], 4, v56
	v_addc_co_u32_e64 v57, s[0:1], 0, v57, s[0:1]
	v_add_co_u32_e64 v82, s[0:1], 32, v82
	v_addc_co_u32_e64 v83, s[0:1], 0, v83, s[0:1]
	v_add_co_u32_e64 v80, s[0:1], -8, v80
	v_addc_co_u32_e64 v81, s[0:1], -1, v81, s[0:1]
	v_cmp_eq_u64_e32 vcc, 0, v[80:81]
	s_or_b64 s[10:11], vcc, s[10:11]
	s_waitcnt vmcnt(3)
	v_fmac_f64_e32 v[70:71], v[12:13], v[108:109]
	v_fmac_f64_e32 v[64:65], v[14:15], v[108:109]
	v_fmac_f64_e32 v[72:73], v[8:9], v[108:109]
	v_fmac_f64_e32 v[68:69], v[10:11], v[108:109]
	v_fmac_f64_e32 v[74:75], v[4:5], v[108:109]
	v_fmac_f64_e32 v[66:67], v[6:7], v[108:109]
	v_fmac_f64_e32 v[76:77], v[0:1], v[108:109]
	v_fmac_f64_e32 v[62:63], v[2:3], v[108:109]
	v_fma_f64 v[14:15], -v[14:15], v[110:111], v[70:71]
	v_fmac_f64_e32 v[64:65], v[12:13], v[110:111]
	v_fma_f64 v[10:11], -v[10:11], v[110:111], v[72:73]
	v_fmac_f64_e32 v[68:69], v[8:9], v[110:111]
	v_fma_f64 v[6:7], -v[6:7], v[110:111], v[74:75]
	v_fmac_f64_e32 v[66:67], v[4:5], v[110:111]
	v_fma_f64 v[2:3], -v[2:3], v[110:111], v[76:77]
	v_fmac_f64_e32 v[62:63], v[0:1], v[110:111]
	s_waitcnt vmcnt(2)
	v_fmac_f64_e32 v[14:15], v[28:29], v[112:113]
	v_fmac_f64_e32 v[64:65], v[30:31], v[112:113]
	v_fmac_f64_e32 v[10:11], v[24:25], v[112:113]
	v_fmac_f64_e32 v[68:69], v[26:27], v[112:113]
	v_fmac_f64_e32 v[6:7], v[20:21], v[112:113]
	v_fmac_f64_e32 v[66:67], v[22:23], v[112:113]
	v_fmac_f64_e32 v[2:3], v[16:17], v[112:113]
	v_fmac_f64_e32 v[62:63], v[18:19], v[112:113]
	v_fma_f64 v[0:1], -v[30:31], v[114:115], v[14:15]
	v_fmac_f64_e32 v[64:65], v[28:29], v[114:115]
	v_fma_f64 v[4:5], -v[26:27], v[114:115], v[10:11]
	v_fmac_f64_e32 v[68:69], v[24:25], v[114:115]
	v_fma_f64 v[6:7], -v[22:23], v[114:115], v[6:7]
	v_fmac_f64_e32 v[66:67], v[20:21], v[114:115]
	v_fma_f64 v[2:3], -v[18:19], v[114:115], v[2:3]
	v_fmac_f64_e32 v[62:63], v[16:17], v[114:115]
	;; [unrolled: 17-line block ×4, first 2 shown]
	s_andn2_b64 exec, exec, s[10:11]
	s_cbranch_execnz .LBB55_33
; %bb.34:
	s_or_b64 exec, exec, s[10:11]
.LBB55_35:
	s_or_b64 exec, exec, s[8:9]
	v_cmp_lt_u64_e32 vcc, 11, v[78:79]
	s_and_saveexec_b64 s[0:1], vcc
	s_cbranch_execz .LBB55_39
; %bb.36:
	v_lshlrev_b64 v[0:1], 3, v[56:57]
	v_mov_b32_e32 v2, s13
	v_add_co_u32_e32 v0, vcc, s12, v0
	v_addc_co_u32_e32 v1, vcc, v1, v2, vcc
	v_add_co_u32_e32 v8, vcc, 64, v0
	v_addc_co_u32_e32 v9, vcc, 0, v1, vcc
	s_mov_b64 s[8:9], 0
	v_mov_b32_e32 v18, s17
	v_mov_b32_e32 v19, s5
	s_movk_i32 s5, 0x1000
.LBB55_37:                              ; =>This Inner Loop Header: Depth=1
	global_load_dwordx2 v[0:1], v[8:9], off offset:-64
	global_load_dwordx4 v[10:13], v[60:61], off offset:48
	global_load_dwordx4 v[14:17], v[60:61], off offset:32
	;; [unrolled: 1-line block ×3, first 2 shown]
	global_load_dwordx4 v[24:27], v[60:61], off
	s_waitcnt vmcnt(4)
	v_subrev_co_u32_e32 v0, vcc, s20, v0
	v_subb_co_u32_e32 v1, vcc, v1, v18, vcc
	v_lshlrev_b64 v[0:1], 6, v[0:1]
	v_add_co_u32_e32 v36, vcc, s4, v0
	v_addc_co_u32_e32 v37, vcc, v19, v1, vcc
	global_load_dwordx4 v[0:3], v[36:37], off offset:48
	global_load_dwordx4 v[4:7], v[36:37], off offset:32
	;; [unrolled: 1-line block ×3, first 2 shown]
	global_load_dwordx4 v[32:35], v[36:37], off
	s_waitcnt vmcnt(0)
	v_fmac_f64_e32 v[70:71], v[24:25], v[32:33]
	v_fmac_f64_e32 v[64:65], v[26:27], v[32:33]
	;; [unrolled: 1-line block ×8, first 2 shown]
	v_fma_f64 v[36:37], -v[26:27], v[34:35], v[70:71]
	v_fmac_f64_e32 v[64:65], v[24:25], v[34:35]
	v_fma_f64 v[38:39], -v[22:23], v[34:35], v[72:73]
	v_fmac_f64_e32 v[68:69], v[20:21], v[34:35]
	v_fma_f64 v[40:41], -v[16:17], v[34:35], v[74:75]
	v_fmac_f64_e32 v[66:67], v[14:15], v[34:35]
	v_fma_f64 v[42:43], -v[12:13], v[34:35], v[76:77]
	v_fmac_f64_e32 v[62:63], v[10:11], v[34:35]
	global_load_dwordx4 v[10:13], v[60:61], off offset:112
	global_load_dwordx4 v[14:17], v[60:61], off offset:96
	global_load_dwordx4 v[20:23], v[60:61], off offset:80
	global_load_dwordx4 v[24:27], v[60:61], off offset:64
	s_waitcnt vmcnt(3)
	v_fmac_f64_e32 v[42:43], v[10:11], v[28:29]
	s_waitcnt vmcnt(2)
	v_fmac_f64_e32 v[40:41], v[14:15], v[28:29]
	s_waitcnt vmcnt(1)
	v_fmac_f64_e32 v[38:39], v[20:21], v[28:29]
	s_waitcnt vmcnt(0)
	v_fmac_f64_e32 v[36:37], v[24:25], v[28:29]
	v_fmac_f64_e32 v[64:65], v[26:27], v[28:29]
	v_fmac_f64_e32 v[68:69], v[22:23], v[28:29]
	v_fmac_f64_e32 v[66:67], v[16:17], v[28:29]
	v_fmac_f64_e32 v[62:63], v[12:13], v[28:29]
	v_fma_f64 v[32:33], -v[26:27], v[30:31], v[36:37]
	v_fmac_f64_e32 v[64:65], v[24:25], v[30:31]
	v_fma_f64 v[34:35], -v[22:23], v[30:31], v[38:39]
	v_fmac_f64_e32 v[68:69], v[20:21], v[30:31]
	v_fma_f64 v[36:37], -v[16:17], v[30:31], v[40:41]
	v_fmac_f64_e32 v[66:67], v[14:15], v[30:31]
	v_fma_f64 v[38:39], -v[12:13], v[30:31], v[42:43]
	v_fmac_f64_e32 v[62:63], v[10:11], v[30:31]
	global_load_dwordx4 v[10:13], v[60:61], off offset:176
	global_load_dwordx4 v[14:17], v[60:61], off offset:160
	global_load_dwordx4 v[20:23], v[60:61], off offset:144
	global_load_dwordx4 v[24:27], v[60:61], off offset:128
	s_waitcnt vmcnt(3)
	v_fmac_f64_e32 v[38:39], v[10:11], v[4:5]
	s_waitcnt vmcnt(2)
	v_fmac_f64_e32 v[36:37], v[14:15], v[4:5]
	s_waitcnt vmcnt(1)
	v_fmac_f64_e32 v[34:35], v[20:21], v[4:5]
	s_waitcnt vmcnt(0)
	v_fmac_f64_e32 v[32:33], v[24:25], v[4:5]
	v_fmac_f64_e32 v[64:65], v[26:27], v[4:5]
	v_fmac_f64_e32 v[68:69], v[22:23], v[4:5]
	v_fmac_f64_e32 v[66:67], v[16:17], v[4:5]
	v_fmac_f64_e32 v[62:63], v[12:13], v[4:5]
	;; [unrolled: 24-line block ×3, first 2 shown]
	global_load_dwordx2 v[0:1], v[8:9], off offset:-32
	v_fmac_f64_e32 v[64:65], v[20:21], v[2:3]
	v_fma_f64 v[36:37], -v[22:23], v[2:3], v[28:29]
	v_fma_f64 v[38:39], -v[16:17], v[2:3], v[24:25]
	v_fmac_f64_e32 v[68:69], v[14:15], v[2:3]
	v_fma_f64 v[40:41], -v[12:13], v[2:3], v[26:27]
	v_fmac_f64_e32 v[66:67], v[10:11], v[2:3]
	;; [unrolled: 2-line block ×3, first 2 shown]
	s_waitcnt vmcnt(0)
	v_subrev_co_u32_e32 v20, vcc, s20, v0
	v_subb_co_u32_e32 v21, vcc, v1, v18, vcc
	v_lshlrev_b64 v[20:21], 6, v[20:21]
	v_add_co_u32_e32 v70, vcc, s4, v20
	v_addc_co_u32_e32 v71, vcc, v19, v21, vcc
	global_load_dwordx4 v[0:3], v[60:61], off offset:1072
	global_load_dwordx4 v[4:7], v[60:61], off offset:1056
	;; [unrolled: 1-line block ×7, first 2 shown]
	global_load_dwordx4 v[32:35], v[70:71], off
	s_waitcnt vmcnt(0)
	v_fmac_f64_e32 v[36:37], v[14:15], v[32:33]
	v_fmac_f64_e32 v[64:65], v[16:17], v[32:33]
	;; [unrolled: 1-line block ×8, first 2 shown]
	v_fma_f64 v[36:37], -v[16:17], v[34:35], v[36:37]
	v_fmac_f64_e32 v[64:65], v[14:15], v[34:35]
	v_fma_f64 v[38:39], -v[12:13], v[34:35], v[38:39]
	v_fmac_f64_e32 v[68:69], v[10:11], v[34:35]
	;; [unrolled: 2-line block ×4, first 2 shown]
	global_load_dwordx4 v[0:3], v[60:61], off offset:1136
	global_load_dwordx4 v[4:7], v[60:61], off offset:1120
	;; [unrolled: 1-line block ×4, first 2 shown]
	s_waitcnt vmcnt(3)
	v_fmac_f64_e32 v[42:43], v[0:1], v[28:29]
	s_waitcnt vmcnt(2)
	v_fmac_f64_e32 v[40:41], v[4:5], v[28:29]
	;; [unrolled: 2-line block ×4, first 2 shown]
	v_fmac_f64_e32 v[64:65], v[16:17], v[28:29]
	v_fmac_f64_e32 v[68:69], v[12:13], v[28:29]
	;; [unrolled: 1-line block ×4, first 2 shown]
	v_fma_f64 v[32:33], -v[16:17], v[30:31], v[36:37]
	v_fmac_f64_e32 v[64:65], v[14:15], v[30:31]
	v_fma_f64 v[34:35], -v[12:13], v[30:31], v[38:39]
	v_fmac_f64_e32 v[68:69], v[10:11], v[30:31]
	;; [unrolled: 2-line block ×4, first 2 shown]
	global_load_dwordx4 v[0:3], v[60:61], off offset:1200
	global_load_dwordx4 v[4:7], v[60:61], off offset:1184
	;; [unrolled: 1-line block ×4, first 2 shown]
	s_waitcnt vmcnt(3)
	v_fmac_f64_e32 v[38:39], v[0:1], v[24:25]
	s_waitcnt vmcnt(2)
	v_fmac_f64_e32 v[36:37], v[4:5], v[24:25]
	;; [unrolled: 2-line block ×4, first 2 shown]
	v_fmac_f64_e32 v[64:65], v[16:17], v[24:25]
	v_fmac_f64_e32 v[68:69], v[12:13], v[24:25]
	v_fmac_f64_e32 v[66:67], v[6:7], v[24:25]
	v_fmac_f64_e32 v[62:63], v[2:3], v[24:25]
	v_fma_f64 v[28:29], -v[16:17], v[26:27], v[32:33]
	v_fmac_f64_e32 v[64:65], v[14:15], v[26:27]
	v_fma_f64 v[30:31], -v[12:13], v[26:27], v[34:35]
	v_fmac_f64_e32 v[68:69], v[10:11], v[26:27]
	;; [unrolled: 2-line block ×4, first 2 shown]
	global_load_dwordx4 v[10:13], v[60:61], off offset:1264
	global_load_dwordx4 v[14:17], v[60:61], off offset:1248
	;; [unrolled: 1-line block ×4, first 2 shown]
	s_waitcnt vmcnt(3)
	v_fmac_f64_e32 v[62:63], v[12:13], v[20:21]
	v_fmac_f64_e32 v[34:35], v[10:11], v[20:21]
	;; [unrolled: 1-line block ×3, first 2 shown]
	global_load_dwordx2 v[10:11], v[8:9], off
	s_waitcnt vmcnt(1)
	v_fmac_f64_e32 v[28:29], v[24:25], v[20:21]
	v_fma_f64 v[0:1], -v[26:27], v[22:23], v[28:29]
	v_fmac_f64_e32 v[64:65], v[26:27], v[20:21]
	v_fmac_f64_e32 v[30:31], v[4:5], v[20:21]
	;; [unrolled: 1-line block ×6, first 2 shown]
	v_fma_f64 v[2:3], -v[6:7], v[22:23], v[30:31]
	v_fmac_f64_e32 v[68:69], v[4:5], v[22:23]
	v_fma_f64 v[4:5], -v[16:17], v[22:23], v[32:33]
	v_fmac_f64_e32 v[66:67], v[14:15], v[22:23]
	v_fma_f64 v[6:7], -v[12:13], v[22:23], v[34:35]
	s_waitcnt vmcnt(0)
	v_subrev_co_u32_e32 v28, vcc, s20, v10
	v_subb_co_u32_e32 v29, vcc, v11, v18, vcc
	v_lshlrev_b64 v[28:29], 6, v[28:29]
	v_add_co_u32_e32 v70, vcc, s4, v28
	v_addc_co_u32_e32 v71, vcc, v19, v29, vcc
	global_load_dwordx4 v[10:13], v[60:61], off offset:2096
	global_load_dwordx4 v[14:17], v[60:61], off offset:2080
	;; [unrolled: 1-line block ×7, first 2 shown]
	global_load_dwordx4 v[40:43], v[70:71], off
	s_waitcnt vmcnt(0)
	v_fmac_f64_e32 v[0:1], v[24:25], v[40:41]
	v_fmac_f64_e32 v[64:65], v[26:27], v[40:41]
	;; [unrolled: 1-line block ×8, first 2 shown]
	v_fma_f64 v[70:71], -v[26:27], v[42:43], v[0:1]
	v_fmac_f64_e32 v[64:65], v[24:25], v[42:43]
	v_fma_f64 v[24:25], -v[22:23], v[42:43], v[2:3]
	v_fmac_f64_e32 v[68:69], v[20:21], v[42:43]
	;; [unrolled: 2-line block ×4, first 2 shown]
	global_load_dwordx4 v[0:3], v[60:61], off offset:2160
	global_load_dwordx4 v[4:7], v[60:61], off offset:2144
	;; [unrolled: 1-line block ×4, first 2 shown]
	s_waitcnt vmcnt(3)
	v_fmac_f64_e32 v[22:23], v[0:1], v[36:37]
	s_waitcnt vmcnt(2)
	v_fmac_f64_e32 v[20:21], v[4:5], v[36:37]
	;; [unrolled: 2-line block ×4, first 2 shown]
	v_fmac_f64_e32 v[64:65], v[16:17], v[36:37]
	v_fmac_f64_e32 v[68:69], v[12:13], v[36:37]
	;; [unrolled: 1-line block ×4, first 2 shown]
	v_fma_f64 v[26:27], -v[16:17], v[38:39], v[70:71]
	v_fmac_f64_e32 v[64:65], v[14:15], v[38:39]
	v_fma_f64 v[24:25], -v[12:13], v[38:39], v[24:25]
	v_fmac_f64_e32 v[68:69], v[10:11], v[38:39]
	;; [unrolled: 2-line block ×4, first 2 shown]
	global_load_dwordx4 v[0:3], v[60:61], off offset:2224
	global_load_dwordx4 v[4:7], v[60:61], off offset:2208
	;; [unrolled: 1-line block ×4, first 2 shown]
	s_waitcnt vmcnt(3)
	v_fmac_f64_e32 v[22:23], v[0:1], v[32:33]
	s_waitcnt vmcnt(2)
	v_fmac_f64_e32 v[20:21], v[4:5], v[32:33]
	v_fmac_f64_e32 v[66:67], v[6:7], v[32:33]
	s_waitcnt vmcnt(0)
	v_fmac_f64_e32 v[26:27], v[14:15], v[32:33]
	v_fmac_f64_e32 v[64:65], v[16:17], v[32:33]
	;; [unrolled: 1-line block ×3, first 2 shown]
	v_fma_f64 v[26:27], -v[16:17], v[34:35], v[26:27]
	v_fmac_f64_e32 v[64:65], v[14:15], v[34:35]
	v_fma_f64 v[36:37], -v[6:7], v[34:35], v[20:21]
	v_fmac_f64_e32 v[66:67], v[4:5], v[34:35]
	;; [unrolled: 2-line block ×3, first 2 shown]
	global_load_dwordx4 v[0:3], v[60:61], off offset:2288
	global_load_dwordx4 v[4:7], v[60:61], off offset:2272
	;; [unrolled: 1-line block ×4, first 2 shown]
	v_fmac_f64_e32 v[24:25], v[10:11], v[32:33]
	v_fmac_f64_e32 v[68:69], v[12:13], v[32:33]
	v_fma_f64 v[24:25], -v[12:13], v[34:35], v[24:25]
	v_fmac_f64_e32 v[68:69], v[10:11], v[34:35]
	s_waitcnt vmcnt(3)
	v_fmac_f64_e32 v[62:63], v[2:3], v[28:29]
	v_fmac_f64_e32 v[38:39], v[0:1], v[28:29]
	;; [unrolled: 1-line block ×3, first 2 shown]
	global_load_dwordx2 v[0:1], v[8:9], off offset:32
	s_waitcnt vmcnt(1)
	v_fmac_f64_e32 v[26:27], v[20:21], v[28:29]
	v_fmac_f64_e32 v[64:65], v[22:23], v[28:29]
	;; [unrolled: 1-line block ×6, first 2 shown]
	v_fma_f64 v[10:11], -v[22:23], v[30:31], v[26:27]
	v_fmac_f64_e32 v[64:65], v[20:21], v[30:31]
	v_fma_f64 v[12:13], -v[16:17], v[30:31], v[24:25]
	v_fmac_f64_e32 v[68:69], v[14:15], v[30:31]
	;; [unrolled: 2-line block ×3, first 2 shown]
	v_fma_f64 v[16:17], -v[2:3], v[30:31], v[38:39]
	global_load_dwordx4 v[20:23], v[60:61], off offset:3120
	global_load_dwordx4 v[24:27], v[60:61], off offset:3104
	;; [unrolled: 1-line block ×4, first 2 shown]
	s_waitcnt vmcnt(4)
	v_subrev_co_u32_e32 v0, vcc, s20, v0
	v_subb_co_u32_e32 v1, vcc, v1, v18, vcc
	v_lshlrev_b64 v[0:1], 6, v[0:1]
	v_add_co_u32_e32 v70, vcc, s4, v0
	v_addc_co_u32_e32 v71, vcc, v19, v1, vcc
	global_load_dwordx4 v[0:3], v[70:71], off offset:48
	global_load_dwordx4 v[4:7], v[70:71], off offset:32
	;; [unrolled: 1-line block ×3, first 2 shown]
	global_load_dwordx4 v[40:43], v[70:71], off
	s_waitcnt vmcnt(0)
	v_fmac_f64_e32 v[10:11], v[32:33], v[40:41]
	v_fmac_f64_e32 v[64:65], v[34:35], v[40:41]
	;; [unrolled: 1-line block ×8, first 2 shown]
	v_fma_f64 v[70:71], -v[34:35], v[42:43], v[10:11]
	v_fmac_f64_e32 v[64:65], v[32:33], v[42:43]
	v_fma_f64 v[32:33], -v[30:31], v[42:43], v[12:13]
	v_fmac_f64_e32 v[68:69], v[28:29], v[42:43]
	;; [unrolled: 2-line block ×4, first 2 shown]
	global_load_dwordx4 v[10:13], v[60:61], off offset:3184
	global_load_dwordx4 v[14:17], v[60:61], off offset:3168
	global_load_dwordx4 v[20:23], v[60:61], off offset:3152
	global_load_dwordx4 v[24:27], v[60:61], off offset:3136
	s_waitcnt vmcnt(3)
	v_fmac_f64_e32 v[30:31], v[10:11], v[36:37]
	s_waitcnt vmcnt(2)
	v_fmac_f64_e32 v[28:29], v[14:15], v[36:37]
	;; [unrolled: 2-line block ×4, first 2 shown]
	v_fmac_f64_e32 v[64:65], v[26:27], v[36:37]
	v_fmac_f64_e32 v[68:69], v[22:23], v[36:37]
	;; [unrolled: 1-line block ×4, first 2 shown]
	v_fma_f64 v[34:35], -v[26:27], v[38:39], v[70:71]
	v_fmac_f64_e32 v[64:65], v[24:25], v[38:39]
	v_fma_f64 v[32:33], -v[22:23], v[38:39], v[32:33]
	v_fmac_f64_e32 v[68:69], v[20:21], v[38:39]
	;; [unrolled: 2-line block ×4, first 2 shown]
	global_load_dwordx4 v[10:13], v[60:61], off offset:3248
	global_load_dwordx4 v[14:17], v[60:61], off offset:3232
	;; [unrolled: 1-line block ×4, first 2 shown]
	s_waitcnt vmcnt(3)
	v_fmac_f64_e32 v[30:31], v[10:11], v[4:5]
	s_waitcnt vmcnt(2)
	v_fmac_f64_e32 v[28:29], v[14:15], v[4:5]
	;; [unrolled: 2-line block ×4, first 2 shown]
	v_fmac_f64_e32 v[64:65], v[26:27], v[4:5]
	v_fmac_f64_e32 v[68:69], v[22:23], v[4:5]
	;; [unrolled: 1-line block ×4, first 2 shown]
	v_fma_f64 v[34:35], -v[26:27], v[6:7], v[34:35]
	v_fmac_f64_e32 v[64:65], v[24:25], v[6:7]
	v_fma_f64 v[24:25], -v[22:23], v[6:7], v[32:33]
	v_fmac_f64_e32 v[68:69], v[20:21], v[6:7]
	;; [unrolled: 2-line block ×4, first 2 shown]
	global_load_dwordx4 v[4:7], v[60:61], off offset:3312
	global_load_dwordx4 v[10:13], v[60:61], off offset:3296
	;; [unrolled: 1-line block ×4, first 2 shown]
	v_add_co_u32_e32 v60, vcc, s5, v60
	v_addc_co_u32_e32 v61, vcc, 0, v61, vcc
	v_add_co_u32_e32 v56, vcc, 16, v56
	v_addc_co_u32_e32 v57, vcc, 0, v57, vcc
	;; [unrolled: 2-line block ×3, first 2 shown]
	v_cmp_ge_i64_e32 vcc, v[56:57], v[58:59]
	s_or_b64 s[8:9], vcc, s[8:9]
	s_waitcnt vmcnt(3)
	v_fmac_f64_e32 v[28:29], v[4:5], v[0:1]
	s_waitcnt vmcnt(2)
	v_fmac_f64_e32 v[26:27], v[10:11], v[0:1]
	;; [unrolled: 2-line block ×4, first 2 shown]
	v_fmac_f64_e32 v[64:65], v[22:23], v[0:1]
	v_fmac_f64_e32 v[68:69], v[16:17], v[0:1]
	;; [unrolled: 1-line block ×4, first 2 shown]
	v_fma_f64 v[70:71], -v[22:23], v[2:3], v[34:35]
	v_fmac_f64_e32 v[64:65], v[20:21], v[2:3]
	v_fma_f64 v[72:73], -v[16:17], v[2:3], v[24:25]
	v_fmac_f64_e32 v[68:69], v[14:15], v[2:3]
	;; [unrolled: 2-line block ×4, first 2 shown]
	s_andn2_b64 exec, exec, s[8:9]
	s_cbranch_execnz .LBB55_37
; %bb.38:
	s_or_b64 exec, exec, s[8:9]
.LBB55_39:
	s_or_b64 exec, exec, s[0:1]
.LBB55_40:
	s_or_b64 exec, exec, s[2:3]
.LBB55_41:
	v_mov_b32_dpp v0, v70 row_shr:1 row_mask:0xf bank_mask:0xf
	v_mov_b32_dpp v1, v71 row_shr:1 row_mask:0xf bank_mask:0xf
	;; [unrolled: 1-line block ×16, first 2 shown]
	v_add_f64 v[0:1], v[70:71], v[0:1]
	v_add_f64 v[4:5], v[64:65], v[4:5]
	;; [unrolled: 1-line block ×8, first 2 shown]
	v_mov_b32_dpp v2, v0 row_shr:2 row_mask:0xf bank_mask:0xf
	v_mov_b32_dpp v3, v1 row_shr:2 row_mask:0xf bank_mask:0xf
	;; [unrolled: 1-line block ×16, first 2 shown]
	v_cmp_eq_u32_e32 vcc, 3, v54
	s_and_b64 exec, exec, vcc
	s_cbranch_execz .LBB55_12
; %bb.42:
	s_load_dwordx2 s[2:3], s[6:7], 0x68
	v_add_f64 v[32:33], v[0:1], v[2:3]
	v_add_f64 v[0:1], v[4:5], v[6:7]
	;; [unrolled: 1-line block ×8, first 2 shown]
	v_cmp_eq_f64_e32 vcc, 0, v[44:45]
	v_cmp_eq_f64_e64 s[0:1], 0, v[46:47]
	v_mul_f64 v[12:13], v[0:1], -v[50:51]
	v_mul_f64 v[14:15], v[48:49], v[0:1]
	v_mul_f64 v[8:9], v[2:3], -v[50:51]
	v_mul_f64 v[10:11], v[48:49], v[2:3]
	;; [unrolled: 2-line block ×4, first 2 shown]
	s_and_b64 s[0:1], vcc, s[0:1]
	v_fmac_f64_e32 v[12:13], v[48:49], v[32:33]
	v_fmac_f64_e32 v[14:15], v[50:51], v[32:33]
	v_lshlrev_b64 v[16:17], 6, v[52:53]
	v_fmac_f64_e32 v[8:9], v[48:49], v[34:35]
	v_fmac_f64_e32 v[10:11], v[50:51], v[34:35]
	;; [unrolled: 1-line block ×6, first 2 shown]
	s_and_saveexec_b64 s[4:5], s[0:1]
	s_xor_b64 s[0:1], exec, s[4:5]
	s_cbranch_execz .LBB55_44
; %bb.43:
	s_waitcnt lgkmcnt(0)
	v_mov_b32_e32 v18, s3
	v_add_co_u32_e32 v16, vcc, s2, v16
	v_addc_co_u32_e32 v17, vcc, v18, v17, vcc
	global_store_dwordx4 v[16:17], v[12:15], off
	global_store_dwordx4 v[16:17], v[8:11], off offset:16
	global_store_dwordx4 v[16:17], v[4:7], off offset:32
	;; [unrolled: 1-line block ×3, first 2 shown]
                                        ; implicit-def: $vgpr44_vgpr45
                                        ; implicit-def: $vgpr46_vgpr47
                                        ; implicit-def: $vgpr12_vgpr13
                                        ; implicit-def: $vgpr16_vgpr17
                                        ; implicit-def: $vgpr8_vgpr9
                                        ; implicit-def: $vgpr4_vgpr5
                                        ; implicit-def: $vgpr0_vgpr1
.LBB55_44:
	s_andn2_saveexec_b64 s[0:1], s[0:1]
	s_cbranch_execz .LBB55_12
; %bb.45:
	s_waitcnt lgkmcnt(0)
	v_mov_b32_e32 v18, s3
	v_add_co_u32_e32 v32, vcc, s2, v16
	v_addc_co_u32_e32 v33, vcc, v18, v17, vcc
	global_load_dwordx4 v[16:19], v[32:33], off
	global_load_dwordx4 v[20:23], v[32:33], off offset:16
	global_load_dwordx4 v[24:27], v[32:33], off offset:32
	;; [unrolled: 1-line block ×3, first 2 shown]
	s_waitcnt vmcnt(3)
	v_fmac_f64_e32 v[12:13], v[44:45], v[16:17]
	v_fmac_f64_e32 v[14:15], v[46:47], v[16:17]
	s_waitcnt vmcnt(2)
	v_fmac_f64_e32 v[8:9], v[44:45], v[20:21]
	v_fmac_f64_e32 v[10:11], v[46:47], v[20:21]
	;; [unrolled: 3-line block ×4, first 2 shown]
	v_fma_f64 v[12:13], -v[46:47], v[18:19], v[12:13]
	v_fmac_f64_e32 v[14:15], v[44:45], v[18:19]
	v_fma_f64 v[8:9], -v[46:47], v[22:23], v[8:9]
	v_fmac_f64_e32 v[10:11], v[44:45], v[22:23]
	v_fma_f64 v[4:5], -v[46:47], v[26:27], v[4:5]
	v_fmac_f64_e32 v[6:7], v[44:45], v[26:27]
	v_fma_f64 v[0:1], -v[46:47], v[30:31], v[0:1]
	v_fmac_f64_e32 v[2:3], v[44:45], v[30:31]
	global_store_dwordx4 v[32:33], v[12:15], off
	global_store_dwordx4 v[32:33], v[8:11], off offset:16
	global_store_dwordx4 v[32:33], v[4:7], off offset:32
	;; [unrolled: 1-line block ×3, first 2 shown]
	s_endpgm
	.section	.rodata,"a",@progbits
	.p2align	6, 0x0
	.amdhsa_kernel _ZN9rocsparseL18bsrxmvn_4x4_kernelILj128ELj4E21rocsparse_complex_numIdEllS2_S2_S2_EEvT3_20rocsparse_direction_NS_24const_host_device_scalarIT1_EES3_PKS3_PKT2_SC_S9_PKT4_PKT5_S7_PT6_21rocsparse_index_base_b
		.amdhsa_group_segment_fixed_size 2048
		.amdhsa_private_segment_fixed_size 0
		.amdhsa_kernarg_size 120
		.amdhsa_user_sgpr_count 8
		.amdhsa_user_sgpr_private_segment_buffer 1
		.amdhsa_user_sgpr_dispatch_ptr 1
		.amdhsa_user_sgpr_queue_ptr 0
		.amdhsa_user_sgpr_kernarg_segment_ptr 1
		.amdhsa_user_sgpr_dispatch_id 0
		.amdhsa_user_sgpr_flat_scratch_init 0
		.amdhsa_user_sgpr_kernarg_preload_length 0
		.amdhsa_user_sgpr_kernarg_preload_offset 0
		.amdhsa_user_sgpr_private_segment_size 0
		.amdhsa_uses_dynamic_stack 0
		.amdhsa_system_sgpr_private_segment_wavefront_offset 0
		.amdhsa_system_sgpr_workgroup_id_x 1
		.amdhsa_system_sgpr_workgroup_id_y 0
		.amdhsa_system_sgpr_workgroup_id_z 0
		.amdhsa_system_sgpr_workgroup_info 0
		.amdhsa_system_vgpr_workitem_id 2
		.amdhsa_next_free_vgpr 124
		.amdhsa_next_free_sgpr 22
		.amdhsa_accum_offset 124
		.amdhsa_reserve_vcc 1
		.amdhsa_reserve_flat_scratch 0
		.amdhsa_float_round_mode_32 0
		.amdhsa_float_round_mode_16_64 0
		.amdhsa_float_denorm_mode_32 3
		.amdhsa_float_denorm_mode_16_64 3
		.amdhsa_dx10_clamp 1
		.amdhsa_ieee_mode 1
		.amdhsa_fp16_overflow 0
		.amdhsa_tg_split 0
		.amdhsa_exception_fp_ieee_invalid_op 0
		.amdhsa_exception_fp_denorm_src 0
		.amdhsa_exception_fp_ieee_div_zero 0
		.amdhsa_exception_fp_ieee_overflow 0
		.amdhsa_exception_fp_ieee_underflow 0
		.amdhsa_exception_fp_ieee_inexact 0
		.amdhsa_exception_int_div_zero 0
	.end_amdhsa_kernel
	.section	.text._ZN9rocsparseL18bsrxmvn_4x4_kernelILj128ELj4E21rocsparse_complex_numIdEllS2_S2_S2_EEvT3_20rocsparse_direction_NS_24const_host_device_scalarIT1_EES3_PKS3_PKT2_SC_S9_PKT4_PKT5_S7_PT6_21rocsparse_index_base_b,"axG",@progbits,_ZN9rocsparseL18bsrxmvn_4x4_kernelILj128ELj4E21rocsparse_complex_numIdEllS2_S2_S2_EEvT3_20rocsparse_direction_NS_24const_host_device_scalarIT1_EES3_PKS3_PKT2_SC_S9_PKT4_PKT5_S7_PT6_21rocsparse_index_base_b,comdat
.Lfunc_end55:
	.size	_ZN9rocsparseL18bsrxmvn_4x4_kernelILj128ELj4E21rocsparse_complex_numIdEllS2_S2_S2_EEvT3_20rocsparse_direction_NS_24const_host_device_scalarIT1_EES3_PKS3_PKT2_SC_S9_PKT4_PKT5_S7_PT6_21rocsparse_index_base_b, .Lfunc_end55-_ZN9rocsparseL18bsrxmvn_4x4_kernelILj128ELj4E21rocsparse_complex_numIdEllS2_S2_S2_EEvT3_20rocsparse_direction_NS_24const_host_device_scalarIT1_EES3_PKS3_PKT2_SC_S9_PKT4_PKT5_S7_PT6_21rocsparse_index_base_b
                                        ; -- End function
	.section	.AMDGPU.csdata,"",@progbits
; Kernel info:
; codeLenInByte = 8028
; NumSgprs: 26
; NumVgprs: 124
; NumAgprs: 0
; TotalNumVgprs: 124
; ScratchSize: 0
; MemoryBound: 1
; FloatMode: 240
; IeeeMode: 1
; LDSByteSize: 2048 bytes/workgroup (compile time only)
; SGPRBlocks: 3
; VGPRBlocks: 15
; NumSGPRsForWavesPerEU: 26
; NumVGPRsForWavesPerEU: 124
; AccumOffset: 124
; Occupancy: 4
; WaveLimiterHint : 1
; COMPUTE_PGM_RSRC2:SCRATCH_EN: 0
; COMPUTE_PGM_RSRC2:USER_SGPR: 8
; COMPUTE_PGM_RSRC2:TRAP_HANDLER: 0
; COMPUTE_PGM_RSRC2:TGID_X_EN: 1
; COMPUTE_PGM_RSRC2:TGID_Y_EN: 0
; COMPUTE_PGM_RSRC2:TGID_Z_EN: 0
; COMPUTE_PGM_RSRC2:TIDIG_COMP_CNT: 2
; COMPUTE_PGM_RSRC3_GFX90A:ACCUM_OFFSET: 30
; COMPUTE_PGM_RSRC3_GFX90A:TG_SPLIT: 0
	.section	.text._ZN9rocsparseL18bsrxmvn_4x4_kernelILj128ELj8E21rocsparse_complex_numIdEllS2_S2_S2_EEvT3_20rocsparse_direction_NS_24const_host_device_scalarIT1_EES3_PKS3_PKT2_SC_S9_PKT4_PKT5_S7_PT6_21rocsparse_index_base_b,"axG",@progbits,_ZN9rocsparseL18bsrxmvn_4x4_kernelILj128ELj8E21rocsparse_complex_numIdEllS2_S2_S2_EEvT3_20rocsparse_direction_NS_24const_host_device_scalarIT1_EES3_PKS3_PKT2_SC_S9_PKT4_PKT5_S7_PT6_21rocsparse_index_base_b,comdat
	.globl	_ZN9rocsparseL18bsrxmvn_4x4_kernelILj128ELj8E21rocsparse_complex_numIdEllS2_S2_S2_EEvT3_20rocsparse_direction_NS_24const_host_device_scalarIT1_EES3_PKS3_PKT2_SC_S9_PKT4_PKT5_S7_PT6_21rocsparse_index_base_b ; -- Begin function _ZN9rocsparseL18bsrxmvn_4x4_kernelILj128ELj8E21rocsparse_complex_numIdEllS2_S2_S2_EEvT3_20rocsparse_direction_NS_24const_host_device_scalarIT1_EES3_PKS3_PKT2_SC_S9_PKT4_PKT5_S7_PT6_21rocsparse_index_base_b
	.p2align	8
	.type	_ZN9rocsparseL18bsrxmvn_4x4_kernelILj128ELj8E21rocsparse_complex_numIdEllS2_S2_S2_EEvT3_20rocsparse_direction_NS_24const_host_device_scalarIT1_EES3_PKS3_PKT2_SC_S9_PKT4_PKT5_S7_PT6_21rocsparse_index_base_b,@function
_ZN9rocsparseL18bsrxmvn_4x4_kernelILj128ELj8E21rocsparse_complex_numIdEllS2_S2_S2_EEvT3_20rocsparse_direction_NS_24const_host_device_scalarIT1_EES3_PKS3_PKT2_SC_S9_PKT4_PKT5_S7_PT6_21rocsparse_index_base_b: ; @_ZN9rocsparseL18bsrxmvn_4x4_kernelILj128ELj8E21rocsparse_complex_numIdEllS2_S2_S2_EEvT3_20rocsparse_direction_NS_24const_host_device_scalarIT1_EES3_PKS3_PKT2_SC_S9_PKT4_PKT5_S7_PT6_21rocsparse_index_base_b
; %bb.0:
	s_load_dwordx2 s[20:21], s[6:7], 0x70
	s_load_dwordx4 s[16:19], s[6:7], 0x10
	s_load_dwordx2 s[10:11], s[4:5], 0x4
	s_load_dwordx4 s[12:15], s[6:7], 0x58
	s_mov_b64 s[2:3], src_shared_base
	v_bfe_u32 v3, v0, 10, 10
	s_waitcnt lgkmcnt(0)
	s_bitcmp1_b32 s21, 0
	s_cselect_b64 s[0:1], -1, 0
	s_and_b64 vcc, s[0:1], exec
	s_cselect_b32 s2, s3, s17
	s_lshr_b32 s4, s10, 16
	v_and_b32_e32 v2, 0x3ff, v0
	s_mul_i32 s4, s4, s11
	v_mul_u32_u24_e32 v3, s11, v3
	v_mad_u32_u24 v3, s4, v2, v3
	v_bfe_u32 v0, v0, 20, 10
	v_add_lshl_u32 v0, v3, v0, 3
	v_mov_b32_e32 v1, s16
	v_add_u32_e32 v3, 0x400, v0
	v_pk_mov_b32 v[4:5], s[16:17], s[16:17] op_sel:[0,1]
	v_pk_mov_b32 v[6:7], s[12:13], s[12:13] op_sel:[0,1]
	ds_write2st64_b64 v0, v[6:7], v[4:5] offset1:2
	v_cndmask_b32_e64 v4, v1, v3, s[0:1]
	v_mov_b32_e32 v5, s2
	flat_load_dwordx2 v[48:49], v[4:5]
	s_xor_b64 s[4:5], s[0:1], -1
	v_pk_mov_b32 v[50:51], s[18:19], s[18:19] op_sel:[0,1]
	s_cbranch_vccnz .LBB56_2
; %bb.1:
	v_pk_mov_b32 v[4:5], s[16:17], s[16:17] op_sel:[0,1]
	flat_load_dwordx2 v[50:51], v[4:5] offset:8
.LBB56_2:
	s_and_b64 s[10:11], s[0:1], exec
	s_cselect_b32 s2, s3, s13
	v_mov_b32_e32 v1, s12
	v_cndmask_b32_e64 v0, v1, v0, s[0:1]
	v_mov_b32_e32 v1, s2
	flat_load_dwordx2 v[44:45], v[0:1]
	s_andn2_b64 vcc, exec, s[4:5]
	v_pk_mov_b32 v[46:47], s[14:15], s[14:15] op_sel:[0,1]
	s_cbranch_vccnz .LBB56_4
; %bb.3:
	v_pk_mov_b32 v[0:1], s[12:13], s[12:13] op_sel:[0,1]
	flat_load_dwordx2 v[46:47], v[0:1] offset:8
.LBB56_4:
	s_waitcnt vmcnt(0) lgkmcnt(0)
	v_cmp_eq_f64_e32 vcc, 0, v[48:49]
	v_cmp_eq_f64_e64 s[0:1], 0, v[50:51]
	s_and_b64 s[4:5], vcc, s[0:1]
	s_mov_b64 s[0:1], -1
	s_and_saveexec_b64 s[2:3], s[4:5]
; %bb.5:
	v_cmp_neq_f64_e32 vcc, 1.0, v[44:45]
	v_cmp_neq_f64_e64 s[0:1], 0, v[46:47]
	s_or_b64 s[0:1], vcc, s[0:1]
	s_orn2_b64 s[0:1], s[0:1], exec
; %bb.6:
	s_or_b64 exec, exec, s[2:3]
	s_and_saveexec_b64 s[2:3], s[0:1]
	s_cbranch_execz .LBB56_12
; %bb.7:
	s_load_dwordx2 s[2:3], s[6:7], 0x28
	v_lshrrev_b32_e32 v0, 3, v2
	v_lshl_or_b32 v0, s8, 4, v0
	v_mov_b32_e32 v1, 0
	s_mov_b64 s[0:1], 0
	s_waitcnt lgkmcnt(0)
	s_cmp_lg_u64 s[2:3], 0
	s_cbranch_scc0 .LBB56_13
; %bb.8:
	s_load_dwordx2 s[4:5], s[6:7], 0x20
                                        ; implicit-def: $vgpr52_vgpr53
	s_waitcnt lgkmcnt(0)
	v_cmp_gt_i64_e32 vcc, s[4:5], v[0:1]
	s_and_saveexec_b64 s[4:5], vcc
	s_xor_b64 s[4:5], exec, s[4:5]
                                        ; implicit-def: $sgpr16_sgpr17
	s_cbranch_execz .LBB56_10
; %bb.9:
	v_lshlrev_b64 v[4:5], 3, v[0:1]
	v_mov_b32_e32 v3, s3
	v_add_co_u32_e32 v4, vcc, s2, v4
	v_addc_co_u32_e32 v5, vcc, v3, v5, vcc
	global_load_dwordx2 v[4:5], v[4:5], off
	s_mov_b64 s[0:1], exec
	s_mov_b32 s17, 0
	s_waitcnt vmcnt(0)
	v_subrev_co_u32_e32 v52, vcc, s20, v4
	v_subbrev_co_u32_e32 v53, vcc, 0, v5, vcc
.LBB56_10:
	s_or_b64 exec, exec, s[4:5]
.LBB56_11:
	s_and_b64 exec, exec, s[0:1]
	s_cbranch_execnz .LBB56_17
.LBB56_12:
	s_endpgm
.LBB56_13:
                                        ; implicit-def: $vgpr52_vgpr53
                                        ; implicit-def: $sgpr16_sgpr17
	s_cbranch_execz .LBB56_11
; %bb.14:
	s_load_dwordx2 s[2:3], s[6:7], 0x0
                                        ; implicit-def: $vgpr52_vgpr53
	s_waitcnt lgkmcnt(0)
	v_cmp_gt_i64_e32 vcc, s[2:3], v[0:1]
	s_and_saveexec_b64 s[2:3], vcc
                                        ; implicit-def: $sgpr16_sgpr17
; %bb.15:
	s_mov_b32 s17, 0
	s_or_b64 s[0:1], s[0:1], exec
	v_pk_mov_b32 v[52:53], v[0:1], v[0:1] op_sel:[0,1]
; %bb.16:
	s_or_b64 exec, exec, s[2:3]
	s_and_b64 exec, exec, s[0:1]
	s_cbranch_execz .LBB56_12
.LBB56_17:
	s_load_dwordx8 s[8:15], s[6:7], 0x30
	v_lshlrev_b64 v[0:1], 3, v[52:53]
	v_and_b32_e32 v54, 7, v2
	v_mov_b32_e32 v2, s17
	s_waitcnt lgkmcnt(0)
	v_mov_b32_e32 v3, s9
	v_add_co_u32_e32 v4, vcc, s8, v0
	v_addc_co_u32_e32 v5, vcc, v3, v1, vcc
	v_add_co_u32_e32 v3, vcc, 8, v4
	global_load_dwordx2 v[16:17], v[4:5], off
	v_addc_co_u32_e32 v4, vcc, 0, v5, vcc
	v_mov_b32_e32 v5, s11
	v_add_co_u32_e32 v0, vcc, s10, v0
	s_cmp_eq_u64 s[10:11], 0
	v_addc_co_u32_e32 v1, vcc, v5, v1, vcc
	s_cselect_b64 vcc, -1, 0
	v_cndmask_b32_e32 v1, v1, v4, vcc
	v_cndmask_b32_e32 v0, v0, v3, vcc
	global_load_dwordx2 v[0:1], v[0:1], off
	s_load_dword s0, s[6:7], 0x8
	s_load_dwordx2 s[4:5], s[6:7], 0x50
	v_mov_b32_e32 v3, s15
	s_waitcnt lgkmcnt(0)
	s_cmp_eq_u32 s0, 1
	s_waitcnt vmcnt(1)
	v_subrev_co_u32_e32 v4, vcc, s20, v16
	v_subb_co_u32_e32 v5, vcc, v17, v2, vcc
	v_add_co_u32_e32 v56, vcc, v4, v54
	v_addc_co_u32_e32 v57, vcc, 0, v5, vcc
	s_waitcnt vmcnt(0)
	v_subrev_co_u32_e32 v58, vcc, s20, v0
	v_subb_co_u32_e32 v59, vcc, v1, v2, vcc
	v_lshlrev_b64 v[0:1], 8, v[56:57]
	v_add_co_u32_e32 v60, vcc, s14, v0
	v_addc_co_u32_e32 v61, vcc, v3, v1, vcc
	v_cmp_lt_i64_e64 s[0:1], v[56:57], v[58:59]
	s_cbranch_scc1 .LBB56_29
; %bb.18:
	v_pk_mov_b32 v[68:69], 0, 0
	s_mov_b64 s[8:9], 0
	v_pk_mov_b32 v[76:77], v[68:69], v[68:69] op_sel:[0,1]
	v_pk_mov_b32 v[70:71], v[68:69], v[68:69] op_sel:[0,1]
	;; [unrolled: 1-line block ×7, first 2 shown]
	s_and_saveexec_b64 s[10:11], s[0:1]
	s_cbranch_execz .LBB56_28
; %bb.19:
	v_or_b32_e32 v0, 8, v54
	v_mov_b32_e32 v1, s17
	v_subrev_co_u32_e32 v0, vcc, s20, v0
	v_subb_co_u32_e32 v1, vcc, 0, v1, vcc
	v_add_co_u32_e32 v0, vcc, v0, v16
	v_addc_co_u32_e32 v1, vcc, v1, v17, vcc
	v_cmp_gt_i64_e32 vcc, v[0:1], v[58:59]
	v_cndmask_b32_e32 v1, v59, v1, vcc
	v_cndmask_b32_e32 v0, v58, v0, vcc
	v_mov_b32_e32 v4, s17
	v_sub_co_u32_e32 v5, vcc, s20, v54
	v_not_b32_e32 v3, v16
	v_subbrev_co_u32_e32 v4, vcc, 0, v4, vcc
	v_not_b32_e32 v2, v17
	v_add_co_u32_e32 v3, vcc, v5, v3
	v_addc_co_u32_e32 v2, vcc, v4, v2, vcc
	v_add_co_u32_e32 v4, vcc, v3, v0
	v_lshrrev_b32_e32 v0, 3, v4
	v_add_u32_e32 v0, 1, v0
	v_addc_co_u32_e32 v5, vcc, v2, v1, vcc
	v_and_b32_e32 v0, 3, v0
	v_pk_mov_b32 v[66:67], 0, 0
	v_cmp_ne_u32_e32 vcc, 0, v0
	s_mov_b64 s[18:19], 0
	v_pk_mov_b32 v[74:75], v[66:67], v[66:67] op_sel:[0,1]
	v_pk_mov_b32 v[64:65], v[66:67], v[66:67] op_sel:[0,1]
	;; [unrolled: 1-line block ×9, first 2 shown]
	s_and_saveexec_b64 s[14:15], vcc
	s_cbranch_execz .LBB56_23
; %bb.20:
	v_lshlrev_b64 v[2:3], 3, v[56:57]
	v_mov_b32_e32 v1, s13
	v_add_co_u32_e32 v8, vcc, s12, v2
	v_pk_mov_b32 v[68:69], 0, 0
	v_mov_b32_e32 v7, 0
	v_addc_co_u32_e32 v9, vcc, v1, v3, vcc
	v_lshlrev_b32_e32 v6, 3, v0
	s_movk_i32 s16, 0x800
	v_mov_b32_e32 v10, s17
	v_mov_b32_e32 v11, s5
	v_pk_mov_b32 v[20:21], v[56:57], v[56:57] op_sel:[0,1]
	v_pk_mov_b32 v[18:19], v[60:61], v[60:61] op_sel:[0,1]
	v_pk_mov_b32 v[76:77], v[68:69], v[68:69] op_sel:[0,1]
	v_pk_mov_b32 v[70:71], v[68:69], v[68:69] op_sel:[0,1]
	v_pk_mov_b32 v[62:63], v[68:69], v[68:69] op_sel:[0,1]
	v_pk_mov_b32 v[72:73], v[68:69], v[68:69] op_sel:[0,1]
	v_pk_mov_b32 v[64:65], v[68:69], v[68:69] op_sel:[0,1]
	v_pk_mov_b32 v[74:75], v[68:69], v[68:69] op_sel:[0,1]
	v_pk_mov_b32 v[66:67], v[68:69], v[68:69] op_sel:[0,1]
.LBB56_21:                              ; =>This Inner Loop Header: Depth=1
	global_load_dwordx2 v[42:43], v[8:9], off
	global_load_dwordx4 v[0:3], v[18:19], off offset:16
	global_load_dwordx4 v[12:15], v[18:19], off
	global_load_dwordx4 v[22:25], v[18:19], off offset:80
	global_load_dwordx4 v[26:29], v[18:19], off offset:64
	;; [unrolled: 1-line block ×5, first 2 shown]
	v_add_co_u32_e64 v20, s[2:3], 8, v20
	v_addc_co_u32_e64 v21, s[2:3], 0, v21, s[2:3]
	v_add_co_u32_e64 v8, s[2:3], 64, v8
	v_addc_co_u32_e64 v9, s[2:3], 0, v9, s[2:3]
	v_add_co_u32_e64 v6, s[2:3], -8, v6
	v_addc_co_u32_e64 v7, s[2:3], -1, v7, s[2:3]
	s_waitcnt vmcnt(7)
	v_subrev_co_u32_e32 v42, vcc, s20, v42
	v_subb_co_u32_e32 v43, vcc, v43, v10, vcc
	v_lshlrev_b64 v[42:43], 6, v[42:43]
	v_add_co_u32_e32 v42, vcc, s4, v42
	v_addc_co_u32_e32 v43, vcc, v11, v43, vcc
	global_load_dwordx4 v[78:81], v[42:43], off
	s_waitcnt vmcnt(0)
	v_fmac_f64_e32 v[76:77], v[12:13], v[78:79]
	v_fmac_f64_e32 v[68:69], v[14:15], v[78:79]
	;; [unrolled: 1-line block ×8, first 2 shown]
	v_fma_f64 v[76:77], -v[14:15], v[80:81], v[76:77]
	v_fmac_f64_e32 v[68:69], v[12:13], v[80:81]
	global_load_dwordx4 v[12:15], v[18:19], off offset:208
	v_fma_f64 v[74:75], -v[28:29], v[80:81], v[74:75]
	v_fmac_f64_e32 v[66:67], v[26:27], v[80:81]
	global_load_dwordx4 v[26:29], v[18:19], off offset:48
	;; [unrolled: 3-line block ×4, first 2 shown]
	global_load_dwordx4 v[70:73], v[42:43], off offset:16
	s_waitcnt vmcnt(0)
	v_fmac_f64_e32 v[76:77], v[0:1], v[70:71]
	v_fmac_f64_e32 v[68:69], v[2:3], v[70:71]
	;; [unrolled: 1-line block ×8, first 2 shown]
	v_fma_f64 v[76:77], -v[2:3], v[72:73], v[76:77]
	v_fmac_f64_e32 v[68:69], v[0:1], v[72:73]
	global_load_dwordx4 v[0:3], v[18:19], off offset:96
	v_fma_f64 v[74:75], -v[24:25], v[72:73], v[74:75]
	v_fmac_f64_e32 v[66:67], v[22:23], v[72:73]
	global_load_dwordx4 v[22:25], v[18:19], off offset:176
	;; [unrolled: 3-line block ×4, first 2 shown]
	global_load_dwordx4 v[70:73], v[42:43], off offset:32
	s_waitcnt vmcnt(0)
	v_fmac_f64_e32 v[76:77], v[34:35], v[70:71]
	v_fmac_f64_e32 v[68:69], v[36:37], v[70:71]
	;; [unrolled: 1-line block ×4, first 2 shown]
	v_fma_f64 v[76:77], -v[36:37], v[72:73], v[76:77]
	v_fmac_f64_e32 v[68:69], v[34:35], v[72:73]
	global_load_dwordx4 v[34:37], v[18:19], off offset:240
	v_fma_f64 v[74:75], -v[2:3], v[72:73], v[74:75]
	v_fmac_f64_e32 v[66:67], v[0:1], v[72:73]
	global_load_dwordx4 v[0:3], v[42:43], off offset:48
	v_add_co_u32_e32 v18, vcc, s16, v18
	v_fmac_f64_e32 v[80:81], v[30:31], v[70:71]
	v_fmac_f64_e32 v[64:65], v[32:33], v[70:71]
	;; [unrolled: 1-line block ×4, first 2 shown]
	v_addc_co_u32_e32 v19, vcc, 0, v19, vcc
	v_fma_f64 v[32:33], -v[32:33], v[72:73], v[80:81]
	v_fmac_f64_e32 v[64:65], v[30:31], v[72:73]
	v_fma_f64 v[14:15], -v[14:15], v[72:73], v[78:79]
	v_fmac_f64_e32 v[62:63], v[12:13], v[72:73]
	v_cmp_eq_u64_e32 vcc, 0, v[6:7]
	s_or_b64 s[18:19], vcc, s[18:19]
	s_waitcnt vmcnt(0)
	v_fmac_f64_e32 v[76:77], v[26:27], v[0:1]
	v_fmac_f64_e32 v[68:69], v[28:29], v[0:1]
	;; [unrolled: 1-line block ×8, first 2 shown]
	v_fma_f64 v[76:77], -v[28:29], v[2:3], v[76:77]
	v_fmac_f64_e32 v[68:69], v[26:27], v[2:3]
	v_fma_f64 v[74:75], -v[40:41], v[2:3], v[74:75]
	v_fmac_f64_e32 v[66:67], v[38:39], v[2:3]
	;; [unrolled: 2-line block ×4, first 2 shown]
	s_andn2_b64 exec, exec, s[18:19]
	s_cbranch_execnz .LBB56_21
; %bb.22:
	s_or_b64 exec, exec, s[18:19]
.LBB56_23:
	s_or_b64 exec, exec, s[14:15]
	v_cmp_lt_u64_e32 vcc, 23, v[4:5]
	s_and_saveexec_b64 s[14:15], vcc
	s_cbranch_execz .LBB56_27
; %bb.24:
	v_lshlrev_b64 v[0:1], 3, v[20:21]
	v_mov_b32_e32 v2, s13
	v_add_co_u32_e32 v0, vcc, s12, v0
	v_addc_co_u32_e32 v1, vcc, v1, v2, vcc
	v_add_co_u32_e32 v22, vcc, 0x80, v0
	v_addc_co_u32_e32 v23, vcc, 0, v1, vcc
	s_mov_b64 s[18:19], 0
	v_mov_b32_e32 v30, s17
	v_mov_b32_e32 v31, s5
	s_movk_i32 s16, 0x1000
.LBB56_25:                              ; =>This Inner Loop Header: Depth=1
	global_load_dwordx2 v[0:1], v[22:23], off offset:-128
	global_load_dwordx4 v[26:29], v[18:19], off offset:48
	global_load_dwordx4 v[32:35], v[18:19], off offset:32
	;; [unrolled: 1-line block ×3, first 2 shown]
	global_load_dwordx4 v[40:43], v[18:19], off
	s_waitcnt vmcnt(4)
	v_subrev_co_u32_e32 v0, vcc, s20, v0
	v_subb_co_u32_e32 v1, vcc, v1, v30, vcc
	v_lshlrev_b64 v[0:1], 6, v[0:1]
	v_add_co_u32_e32 v24, vcc, s4, v0
	v_addc_co_u32_e32 v25, vcc, v31, v1, vcc
	global_load_dwordx4 v[0:3], v[24:25], off offset:48
	global_load_dwordx4 v[4:7], v[24:25], off offset:32
	;; [unrolled: 1-line block ×3, first 2 shown]
	global_load_dwordx4 v[12:15], v[24:25], off
	s_waitcnt vmcnt(0)
	v_fmac_f64_e32 v[76:77], v[40:41], v[12:13]
	v_fmac_f64_e32 v[68:69], v[42:43], v[12:13]
	v_fma_f64 v[24:25], -v[42:43], v[14:15], v[76:77]
	v_fmac_f64_e32 v[68:69], v[40:41], v[14:15]
	v_fmac_f64_e32 v[24:25], v[36:37], v[8:9]
	v_fmac_f64_e32 v[68:69], v[38:39], v[8:9]
	v_fma_f64 v[24:25], -v[38:39], v[10:11], v[24:25]
	v_fmac_f64_e32 v[68:69], v[36:37], v[10:11]
	v_fmac_f64_e32 v[24:25], v[32:33], v[4:5]
	v_fmac_f64_e32 v[68:69], v[34:35], v[4:5]
	v_fma_f64 v[24:25], -v[34:35], v[6:7], v[24:25]
	v_fmac_f64_e32 v[68:69], v[32:33], v[6:7]
	v_fmac_f64_e32 v[24:25], v[26:27], v[0:1]
	v_fmac_f64_e32 v[68:69], v[28:29], v[0:1]
	v_fma_f64 v[24:25], -v[28:29], v[2:3], v[24:25]
	v_fmac_f64_e32 v[68:69], v[26:27], v[2:3]
	global_load_dwordx4 v[32:35], v[18:19], off offset:112
	global_load_dwordx4 v[26:29], v[18:19], off offset:96
	global_load_dwordx4 v[36:39], v[18:19], off offset:80
	global_load_dwordx4 v[40:43], v[18:19], off offset:64
	s_waitcnt vmcnt(0)
	v_fmac_f64_e32 v[74:75], v[40:41], v[12:13]
	v_fmac_f64_e32 v[66:67], v[42:43], v[12:13]
	v_fma_f64 v[74:75], -v[42:43], v[14:15], v[74:75]
	v_fmac_f64_e32 v[66:67], v[40:41], v[14:15]
	v_fmac_f64_e32 v[74:75], v[36:37], v[8:9]
	v_fmac_f64_e32 v[66:67], v[38:39], v[8:9]
	v_fma_f64 v[40:41], -v[38:39], v[10:11], v[74:75]
	v_fmac_f64_e32 v[66:67], v[36:37], v[10:11]
	v_fmac_f64_e32 v[40:41], v[26:27], v[4:5]
	v_fmac_f64_e32 v[66:67], v[28:29], v[4:5]
	v_fma_f64 v[36:37], -v[28:29], v[6:7], v[40:41]
	v_fmac_f64_e32 v[66:67], v[26:27], v[6:7]
	v_fmac_f64_e32 v[36:37], v[32:33], v[0:1]
	v_fmac_f64_e32 v[66:67], v[34:35], v[0:1]
	v_fma_f64 v[26:27], -v[34:35], v[2:3], v[36:37]
	v_fmac_f64_e32 v[66:67], v[32:33], v[2:3]
	global_load_dwordx4 v[32:35], v[18:19], off offset:176
	global_load_dwordx4 v[36:39], v[18:19], off offset:160
	global_load_dwordx4 v[40:43], v[18:19], off offset:144
	global_load_dwordx4 v[74:77], v[18:19], off offset:128
	;; [unrolled: 21-line block ×3, first 2 shown]
	s_waitcnt vmcnt(0)
	v_fmac_f64_e32 v[70:71], v[72:73], v[12:13]
	v_fmac_f64_e32 v[62:63], v[74:75], v[12:13]
	v_fma_f64 v[70:71], -v[74:75], v[14:15], v[70:71]
	v_fmac_f64_e32 v[62:63], v[72:73], v[14:15]
	v_fmac_f64_e32 v[70:71], v[40:41], v[8:9]
	v_fmac_f64_e32 v[62:63], v[42:43], v[8:9]
	v_fma_f64 v[12:13], -v[42:43], v[10:11], v[70:71]
	v_fmac_f64_e32 v[62:63], v[40:41], v[10:11]
	;; [unrolled: 4-line block ×3, first 2 shown]
	v_fmac_f64_e32 v[8:9], v[32:33], v[0:1]
	v_fmac_f64_e32 v[62:63], v[34:35], v[0:1]
	global_load_dwordx2 v[0:1], v[22:23], off offset:-64
	v_fma_f64 v[4:5], -v[34:35], v[2:3], v[8:9]
	v_fmac_f64_e32 v[62:63], v[32:33], v[2:3]
	s_waitcnt vmcnt(0)
	v_subrev_co_u32_e32 v14, vcc, s20, v0
	v_subb_co_u32_e32 v15, vcc, v1, v30, vcc
	v_lshlrev_b64 v[14:15], 6, v[14:15]
	v_add_co_u32_e32 v14, vcc, s4, v14
	v_addc_co_u32_e32 v15, vcc, v31, v15, vcc
	global_load_dwordx4 v[6:9], v[18:19], off offset:2096
	global_load_dwordx4 v[0:3], v[18:19], off offset:2080
	;; [unrolled: 1-line block ×7, first 2 shown]
	global_load_dwordx4 v[74:77], v[14:15], off
	s_waitcnt vmcnt(0)
	v_fmac_f64_e32 v[24:25], v[32:33], v[74:75]
	v_fma_f64 v[14:15], -v[34:35], v[76:77], v[24:25]
	v_fmac_f64_e32 v[68:69], v[34:35], v[74:75]
	v_fmac_f64_e32 v[68:69], v[32:33], v[76:77]
	v_fmac_f64_e32 v[14:15], v[10:11], v[70:71]
	v_fma_f64 v[14:15], -v[12:13], v[72:73], v[14:15]
	v_fmac_f64_e32 v[68:69], v[12:13], v[70:71]
	v_fmac_f64_e32 v[68:69], v[10:11], v[72:73]
	v_fmac_f64_e32 v[14:15], v[0:1], v[40:41]
	v_fma_f64 v[10:11], -v[2:3], v[42:43], v[14:15]
	v_fmac_f64_e32 v[68:69], v[2:3], v[40:41]
	v_fmac_f64_e32 v[68:69], v[0:1], v[42:43]
	v_fmac_f64_e32 v[10:11], v[6:7], v[36:37]
	v_fma_f64 v[2:3], -v[8:9], v[38:39], v[10:11]
	v_fmac_f64_e32 v[68:69], v[8:9], v[36:37]
	global_load_dwordx4 v[8:11], v[18:19], off offset:2160
	global_load_dwordx4 v[12:15], v[18:19], off offset:2144
	global_load_dwordx4 v[32:35], v[18:19], off offset:2128
	global_load_dwordx4 v[78:81], v[18:19], off offset:2112
	v_fmac_f64_e32 v[68:69], v[6:7], v[38:39]
	s_waitcnt vmcnt(0)
	v_fmac_f64_e32 v[26:27], v[78:79], v[74:75]
	v_fma_f64 v[0:1], -v[80:81], v[76:77], v[26:27]
	v_fmac_f64_e32 v[66:67], v[80:81], v[74:75]
	v_fmac_f64_e32 v[66:67], v[78:79], v[76:77]
	v_fmac_f64_e32 v[0:1], v[32:33], v[70:71]
	v_fma_f64 v[0:1], -v[34:35], v[72:73], v[0:1]
	v_fmac_f64_e32 v[66:67], v[34:35], v[70:71]
	v_fmac_f64_e32 v[66:67], v[32:33], v[72:73]
	v_fmac_f64_e32 v[0:1], v[12:13], v[40:41]
	v_fma_f64 v[0:1], -v[14:15], v[42:43], v[0:1]
	v_fmac_f64_e32 v[66:67], v[14:15], v[40:41]
	v_fmac_f64_e32 v[66:67], v[12:13], v[42:43]
	v_fmac_f64_e32 v[0:1], v[8:9], v[36:37]
	v_fma_f64 v[6:7], -v[10:11], v[38:39], v[0:1]
	v_fmac_f64_e32 v[66:67], v[10:11], v[36:37]
	global_load_dwordx4 v[10:13], v[18:19], off offset:2224
	global_load_dwordx4 v[24:27], v[18:19], off offset:2208
	global_load_dwordx4 v[32:35], v[18:19], off offset:2192
	global_load_dwordx4 v[78:81], v[18:19], off offset:2176
	v_fmac_f64_e32 v[66:67], v[8:9], v[38:39]
	;; [unrolled: 21-line block ×3, first 2 shown]
	s_waitcnt vmcnt(0)
	v_fmac_f64_e32 v[4:5], v[78:79], v[74:75]
	v_fma_f64 v[0:1], -v[80:81], v[76:77], v[4:5]
	global_load_dwordx2 v[4:5], v[22:23], off
	v_fmac_f64_e32 v[0:1], v[32:33], v[70:71]
	v_fma_f64 v[0:1], -v[34:35], v[72:73], v[0:1]
	v_fmac_f64_e32 v[0:1], v[24:25], v[40:41]
	v_fma_f64 v[0:1], -v[26:27], v[42:43], v[0:1]
	v_fmac_f64_e32 v[0:1], v[12:13], v[36:37]
	v_fmac_f64_e32 v[62:63], v[80:81], v[74:75]
	v_fma_f64 v[10:11], -v[14:15], v[38:39], v[0:1]
	v_add_co_u32_e32 v0, vcc, s16, v18
	v_fmac_f64_e32 v[62:63], v[78:79], v[76:77]
	v_addc_co_u32_e32 v1, vcc, 0, v19, vcc
	v_fmac_f64_e32 v[62:63], v[34:35], v[70:71]
	v_fmac_f64_e32 v[62:63], v[32:33], v[72:73]
	v_fmac_f64_e32 v[62:63], v[26:27], v[40:41]
	v_fmac_f64_e32 v[62:63], v[24:25], v[42:43]
	v_fmac_f64_e32 v[62:63], v[14:15], v[36:37]
	v_fmac_f64_e32 v[62:63], v[12:13], v[38:39]
	global_load_dwordx4 v[12:15], v[0:1], off
	global_load_dwordx4 v[24:27], v[0:1], off offset:48
	global_load_dwordx4 v[32:35], v[0:1], off offset:32
	global_load_dwordx4 v[36:39], v[0:1], off offset:16
	s_waitcnt vmcnt(4)
	v_subrev_co_u32_e32 v4, vcc, s20, v4
	v_subb_co_u32_e32 v5, vcc, v5, v30, vcc
	v_lshlrev_b64 v[4:5], 6, v[4:5]
	v_add_co_u32_e32 v4, vcc, s4, v4
	v_addc_co_u32_e32 v5, vcc, v31, v5, vcc
	global_load_dwordx4 v[40:43], v[4:5], off offset:48
	global_load_dwordx4 v[70:73], v[4:5], off offset:32
	;; [unrolled: 1-line block ×3, first 2 shown]
	global_load_dwordx4 v[78:81], v[4:5], off
	s_waitcnt vmcnt(0)
	v_fmac_f64_e32 v[2:3], v[12:13], v[78:79]
	v_fmac_f64_e32 v[68:69], v[14:15], v[78:79]
	v_fma_f64 v[2:3], -v[14:15], v[80:81], v[2:3]
	v_fmac_f64_e32 v[68:69], v[12:13], v[80:81]
	v_fmac_f64_e32 v[2:3], v[36:37], v[74:75]
	v_fmac_f64_e32 v[68:69], v[38:39], v[74:75]
	v_fma_f64 v[2:3], -v[38:39], v[76:77], v[2:3]
	v_fmac_f64_e32 v[68:69], v[36:37], v[76:77]
	v_fmac_f64_e32 v[2:3], v[32:33], v[70:71]
	v_fmac_f64_e32 v[68:69], v[34:35], v[70:71]
	v_fma_f64 v[2:3], -v[34:35], v[72:73], v[2:3]
	v_fmac_f64_e32 v[68:69], v[32:33], v[72:73]
	v_fmac_f64_e32 v[2:3], v[24:25], v[40:41]
	v_fmac_f64_e32 v[68:69], v[26:27], v[40:41]
	v_fma_f64 v[4:5], -v[26:27], v[42:43], v[2:3]
	v_fmac_f64_e32 v[68:69], v[24:25], v[42:43]
	global_load_dwordx4 v[12:15], v[0:1], off offset:112
	global_load_dwordx4 v[24:27], v[0:1], off offset:96
	global_load_dwordx4 v[32:35], v[0:1], off offset:80
	global_load_dwordx4 v[36:39], v[0:1], off offset:64
	s_waitcnt vmcnt(0)
	v_fmac_f64_e32 v[6:7], v[36:37], v[78:79]
	v_fmac_f64_e32 v[66:67], v[38:39], v[78:79]
	v_fma_f64 v[2:3], -v[38:39], v[80:81], v[6:7]
	v_fmac_f64_e32 v[66:67], v[36:37], v[80:81]
	v_fmac_f64_e32 v[2:3], v[32:33], v[74:75]
	v_fmac_f64_e32 v[66:67], v[34:35], v[74:75]
	v_fma_f64 v[2:3], -v[34:35], v[76:77], v[2:3]
	v_fmac_f64_e32 v[66:67], v[32:33], v[76:77]
	v_fmac_f64_e32 v[2:3], v[24:25], v[70:71]
	v_fmac_f64_e32 v[66:67], v[26:27], v[70:71]
	v_fma_f64 v[2:3], -v[26:27], v[72:73], v[2:3]
	v_fmac_f64_e32 v[66:67], v[24:25], v[72:73]
	v_fmac_f64_e32 v[2:3], v[12:13], v[40:41]
	v_fmac_f64_e32 v[66:67], v[14:15], v[40:41]
	v_fma_f64 v[6:7], -v[14:15], v[42:43], v[2:3]
	v_fmac_f64_e32 v[66:67], v[12:13], v[42:43]
	global_load_dwordx4 v[12:15], v[0:1], off offset:176
	global_load_dwordx4 v[24:27], v[0:1], off offset:160
	global_load_dwordx4 v[32:35], v[0:1], off offset:144
	global_load_dwordx4 v[36:39], v[0:1], off offset:128
	;; [unrolled: 21-line block ×3, first 2 shown]
	s_waitcnt vmcnt(0)
	v_fmac_f64_e32 v[10:11], v[36:37], v[78:79]
	v_fma_f64 v[2:3], -v[38:39], v[80:81], v[10:11]
	global_load_dwordx2 v[10:11], v[22:23], off offset:64
	v_fmac_f64_e32 v[62:63], v[38:39], v[78:79]
	v_fmac_f64_e32 v[62:63], v[36:37], v[80:81]
	v_fmac_f64_e32 v[2:3], v[32:33], v[74:75]
	v_fma_f64 v[2:3], -v[34:35], v[76:77], v[2:3]
	v_fmac_f64_e32 v[62:63], v[34:35], v[74:75]
	v_fmac_f64_e32 v[62:63], v[32:33], v[76:77]
	v_fmac_f64_e32 v[2:3], v[24:25], v[70:71]
	v_fma_f64 v[2:3], -v[26:27], v[72:73], v[2:3]
	;; [unrolled: 4-line block ×3, first 2 shown]
	v_fmac_f64_e32 v[62:63], v[14:15], v[40:41]
	v_fmac_f64_e32 v[62:63], v[12:13], v[42:43]
	s_waitcnt vmcnt(0)
	v_subrev_co_u32_e32 v14, vcc, s20, v10
	v_subb_co_u32_e32 v15, vcc, v11, v30, vcc
	v_lshlrev_b64 v[14:15], 6, v[14:15]
	v_add_co_u32_e32 v14, vcc, s4, v14
	v_addc_co_u32_e32 v15, vcc, v31, v15, vcc
	global_load_dwordx4 v[10:13], v[0:1], off offset:2096
	global_load_dwordx4 v[24:27], v[0:1], off offset:2080
	;; [unrolled: 1-line block ×7, first 2 shown]
	global_load_dwordx4 v[86:89], v[14:15], off
	v_add_co_u32_e32 v20, vcc, 32, v20
	v_addc_co_u32_e32 v21, vcc, 0, v21, vcc
	v_add_co_u32_e32 v22, vcc, 0x100, v22
	v_addc_co_u32_e32 v23, vcc, 0, v23, vcc
	v_cmp_ge_i64_e64 s[2:3], v[20:21], v[58:59]
	v_add_co_u32_e32 v18, vcc, 0x2000, v18
	v_addc_co_u32_e32 v19, vcc, 0, v19, vcc
	s_or_b64 s[18:19], s[2:3], s[18:19]
	s_waitcnt vmcnt(0)
	v_fmac_f64_e32 v[4:5], v[36:37], v[86:87]
	v_fmac_f64_e32 v[68:69], v[38:39], v[86:87]
	v_fma_f64 v[4:5], -v[38:39], v[88:89], v[4:5]
	v_fmac_f64_e32 v[68:69], v[36:37], v[88:89]
	v_fmac_f64_e32 v[4:5], v[32:33], v[82:83]
	v_fmac_f64_e32 v[68:69], v[34:35], v[82:83]
	v_fma_f64 v[4:5], -v[34:35], v[84:85], v[4:5]
	v_fmac_f64_e32 v[68:69], v[32:33], v[84:85]
	v_fmac_f64_e32 v[4:5], v[24:25], v[78:79]
	v_fmac_f64_e32 v[68:69], v[26:27], v[78:79]
	v_fma_f64 v[4:5], -v[26:27], v[80:81], v[4:5]
	v_fmac_f64_e32 v[68:69], v[24:25], v[80:81]
	v_fmac_f64_e32 v[4:5], v[10:11], v[40:41]
	v_fmac_f64_e32 v[68:69], v[12:13], v[40:41]
	v_fma_f64 v[76:77], -v[12:13], v[42:43], v[4:5]
	v_fmac_f64_e32 v[68:69], v[10:11], v[42:43]
	global_load_dwordx4 v[10:13], v[0:1], off offset:2160
	global_load_dwordx4 v[24:27], v[0:1], off offset:2144
	global_load_dwordx4 v[32:35], v[0:1], off offset:2128
	global_load_dwordx4 v[36:39], v[0:1], off offset:2112
	s_waitcnt vmcnt(0)
	v_fmac_f64_e32 v[6:7], v[36:37], v[86:87]
	v_fmac_f64_e32 v[66:67], v[38:39], v[86:87]
	v_fma_f64 v[4:5], -v[38:39], v[88:89], v[6:7]
	v_fmac_f64_e32 v[66:67], v[36:37], v[88:89]
	v_fmac_f64_e32 v[4:5], v[32:33], v[82:83]
	v_fmac_f64_e32 v[66:67], v[34:35], v[82:83]
	v_fma_f64 v[4:5], -v[34:35], v[84:85], v[4:5]
	v_fmac_f64_e32 v[66:67], v[32:33], v[84:85]
	v_fmac_f64_e32 v[4:5], v[24:25], v[78:79]
	v_fmac_f64_e32 v[66:67], v[26:27], v[78:79]
	v_fma_f64 v[4:5], -v[26:27], v[80:81], v[4:5]
	v_fmac_f64_e32 v[66:67], v[24:25], v[80:81]
	v_fmac_f64_e32 v[4:5], v[10:11], v[40:41]
	v_fmac_f64_e32 v[66:67], v[12:13], v[40:41]
	v_fma_f64 v[74:75], -v[12:13], v[42:43], v[4:5]
	v_fmac_f64_e32 v[66:67], v[10:11], v[42:43]
	global_load_dwordx4 v[4:7], v[0:1], off offset:2224
	global_load_dwordx4 v[10:13], v[0:1], off offset:2208
	global_load_dwordx4 v[24:27], v[0:1], off offset:2192
	global_load_dwordx4 v[32:35], v[0:1], off offset:2176
	;; [unrolled: 21-line block ×3, first 2 shown]
	s_waitcnt vmcnt(0)
	v_fmac_f64_e32 v[2:3], v[24:25], v[86:87]
	v_fmac_f64_e32 v[62:63], v[26:27], v[86:87]
	v_fma_f64 v[0:1], -v[26:27], v[88:89], v[2:3]
	v_fmac_f64_e32 v[62:63], v[24:25], v[88:89]
	v_fmac_f64_e32 v[0:1], v[12:13], v[82:83]
	v_fmac_f64_e32 v[62:63], v[14:15], v[82:83]
	v_fma_f64 v[0:1], -v[14:15], v[84:85], v[0:1]
	v_fmac_f64_e32 v[62:63], v[12:13], v[84:85]
	;; [unrolled: 4-line block ×4, first 2 shown]
	s_andn2_b64 exec, exec, s[18:19]
	s_cbranch_execnz .LBB56_25
; %bb.26:
	s_or_b64 exec, exec, s[18:19]
.LBB56_27:
	s_or_b64 exec, exec, s[14:15]
.LBB56_28:
	s_or_b64 exec, exec, s[10:11]
	s_andn2_b64 vcc, exec, s[8:9]
	s_cbranch_vccz .LBB56_30
	s_branch .LBB56_41
.LBB56_29:
                                        ; implicit-def: $vgpr68_vgpr69
                                        ; implicit-def: $vgpr76_vgpr77
                                        ; implicit-def: $vgpr70_vgpr71
                                        ; implicit-def: $vgpr62_vgpr63
                                        ; implicit-def: $vgpr72_vgpr73
                                        ; implicit-def: $vgpr64_vgpr65
                                        ; implicit-def: $vgpr74_vgpr75
                                        ; implicit-def: $vgpr66_vgpr67
.LBB56_30:
	v_pk_mov_b32 v[68:69], 0, 0
	v_pk_mov_b32 v[76:77], v[68:69], v[68:69] op_sel:[0,1]
	v_pk_mov_b32 v[70:71], v[68:69], v[68:69] op_sel:[0,1]
	;; [unrolled: 1-line block ×7, first 2 shown]
	s_and_saveexec_b64 s[2:3], s[0:1]
	s_cbranch_execz .LBB56_40
; %bb.31:
	v_or_b32_e32 v0, 8, v54
	v_mov_b32_e32 v1, s17
	v_subrev_co_u32_e32 v0, vcc, s20, v0
	v_subb_co_u32_e32 v1, vcc, 0, v1, vcc
	v_add_co_u32_e32 v0, vcc, v0, v16
	v_addc_co_u32_e32 v1, vcc, v1, v17, vcc
	v_cmp_gt_i64_e32 vcc, v[0:1], v[58:59]
	v_cndmask_b32_e32 v1, v59, v1, vcc
	v_cndmask_b32_e32 v0, v58, v0, vcc
	v_mov_b32_e32 v4, s17
	v_sub_co_u32_e32 v5, vcc, s20, v54
	v_not_b32_e32 v3, v16
	v_subbrev_co_u32_e32 v4, vcc, 0, v4, vcc
	v_not_b32_e32 v2, v17
	v_add_co_u32_e32 v3, vcc, v5, v3
	v_addc_co_u32_e32 v2, vcc, v4, v2, vcc
	v_add_co_u32_e32 v78, vcc, v3, v0
	v_lshrrev_b32_e32 v0, 3, v78
	v_add_u32_e32 v0, 1, v0
	v_addc_co_u32_e32 v79, vcc, v2, v1, vcc
	v_and_b32_e32 v0, 3, v0
	v_pk_mov_b32 v[66:67], 0, 0
	v_cmp_ne_u32_e32 vcc, 0, v0
	s_mov_b64 s[10:11], 0
	v_pk_mov_b32 v[74:75], v[66:67], v[66:67] op_sel:[0,1]
	v_pk_mov_b32 v[64:65], v[66:67], v[66:67] op_sel:[0,1]
	;; [unrolled: 1-line block ×7, first 2 shown]
	s_and_saveexec_b64 s[8:9], vcc
	s_cbranch_execz .LBB56_35
; %bb.32:
	v_lshlrev_b64 v[2:3], 3, v[56:57]
	v_mov_b32_e32 v1, s13
	v_add_co_u32_e32 v82, vcc, s12, v2
	v_pk_mov_b32 v[68:69], 0, 0
	v_mov_b32_e32 v81, 0
	v_addc_co_u32_e32 v83, vcc, v1, v3, vcc
	v_lshlrev_b32_e32 v80, 3, v0
	s_movk_i32 s14, 0x800
	v_mov_b32_e32 v55, s17
	v_mov_b32_e32 v86, s5
	v_pk_mov_b32 v[76:77], v[68:69], v[68:69] op_sel:[0,1]
	v_pk_mov_b32 v[70:71], v[68:69], v[68:69] op_sel:[0,1]
	;; [unrolled: 1-line block ×7, first 2 shown]
.LBB56_33:                              ; =>This Inner Loop Header: Depth=1
	global_load_dwordx2 v[84:85], v[82:83], off
	global_load_dwordx4 v[0:3], v[60:61], off offset:48
	global_load_dwordx4 v[4:7], v[60:61], off offset:32
	global_load_dwordx4 v[8:11], v[60:61], off offset:16
	global_load_dwordx4 v[12:15], v[60:61], off
	global_load_dwordx4 v[16:19], v[60:61], off offset:112
	global_load_dwordx4 v[20:23], v[60:61], off offset:96
	;; [unrolled: 1-line block ×12, first 2 shown]
	v_add_co_u32_e32 v60, vcc, s14, v60
	v_addc_co_u32_e32 v61, vcc, 0, v61, vcc
	s_waitcnt vmcnt(16)
	v_subrev_co_u32_e64 v84, s[0:1], s20, v84
	v_subb_co_u32_e64 v85, s[0:1], v85, v55, s[0:1]
	v_lshlrev_b64 v[84:85], 6, v[84:85]
	v_add_co_u32_e64 v84, s[0:1], s4, v84
	v_addc_co_u32_e64 v85, s[0:1], v86, v85, s[0:1]
	global_load_dwordx4 v[108:111], v[84:85], off
	global_load_dwordx4 v[112:115], v[84:85], off offset:16
	global_load_dwordx4 v[116:119], v[84:85], off offset:32
	;; [unrolled: 1-line block ×3, first 2 shown]
	v_add_co_u32_e64 v56, s[0:1], 8, v56
	v_addc_co_u32_e64 v57, s[0:1], 0, v57, s[0:1]
	v_add_co_u32_e64 v82, s[0:1], 64, v82
	v_addc_co_u32_e64 v83, s[0:1], 0, v83, s[0:1]
	v_add_co_u32_e64 v80, s[0:1], -8, v80
	v_addc_co_u32_e64 v81, s[0:1], -1, v81, s[0:1]
	v_cmp_eq_u64_e32 vcc, 0, v[80:81]
	s_or_b64 s[10:11], vcc, s[10:11]
	s_waitcnt vmcnt(3)
	v_fmac_f64_e32 v[76:77], v[12:13], v[108:109]
	v_fmac_f64_e32 v[68:69], v[14:15], v[108:109]
	v_fmac_f64_e32 v[74:75], v[8:9], v[108:109]
	v_fmac_f64_e32 v[66:67], v[10:11], v[108:109]
	v_fmac_f64_e32 v[72:73], v[4:5], v[108:109]
	v_fmac_f64_e32 v[64:65], v[6:7], v[108:109]
	v_fmac_f64_e32 v[70:71], v[0:1], v[108:109]
	v_fmac_f64_e32 v[62:63], v[2:3], v[108:109]
	v_fma_f64 v[14:15], -v[14:15], v[110:111], v[76:77]
	v_fmac_f64_e32 v[68:69], v[12:13], v[110:111]
	v_fma_f64 v[10:11], -v[10:11], v[110:111], v[74:75]
	v_fmac_f64_e32 v[66:67], v[8:9], v[110:111]
	v_fma_f64 v[6:7], -v[6:7], v[110:111], v[72:73]
	v_fmac_f64_e32 v[64:65], v[4:5], v[110:111]
	v_fma_f64 v[2:3], -v[2:3], v[110:111], v[70:71]
	v_fmac_f64_e32 v[62:63], v[0:1], v[110:111]
	s_waitcnt vmcnt(2)
	v_fmac_f64_e32 v[14:15], v[28:29], v[112:113]
	v_fmac_f64_e32 v[68:69], v[30:31], v[112:113]
	v_fmac_f64_e32 v[10:11], v[24:25], v[112:113]
	v_fmac_f64_e32 v[66:67], v[26:27], v[112:113]
	v_fmac_f64_e32 v[6:7], v[20:21], v[112:113]
	v_fmac_f64_e32 v[64:65], v[22:23], v[112:113]
	v_fmac_f64_e32 v[2:3], v[16:17], v[112:113]
	v_fmac_f64_e32 v[62:63], v[18:19], v[112:113]
	v_fma_f64 v[0:1], -v[30:31], v[114:115], v[14:15]
	v_fmac_f64_e32 v[68:69], v[28:29], v[114:115]
	v_fma_f64 v[4:5], -v[26:27], v[114:115], v[10:11]
	v_fmac_f64_e32 v[66:67], v[24:25], v[114:115]
	v_fma_f64 v[6:7], -v[22:23], v[114:115], v[6:7]
	v_fmac_f64_e32 v[64:65], v[20:21], v[114:115]
	v_fma_f64 v[2:3], -v[18:19], v[114:115], v[2:3]
	v_fmac_f64_e32 v[62:63], v[16:17], v[114:115]
	s_waitcnt vmcnt(1)
	v_fmac_f64_e32 v[0:1], v[88:89], v[116:117]
	v_fmac_f64_e32 v[68:69], v[90:91], v[116:117]
	v_fmac_f64_e32 v[4:5], v[40:41], v[116:117]
	v_fmac_f64_e32 v[66:67], v[42:43], v[116:117]
	v_fmac_f64_e32 v[6:7], v[36:37], v[116:117]
	v_fmac_f64_e32 v[64:65], v[38:39], v[116:117]
	v_fmac_f64_e32 v[2:3], v[32:33], v[116:117]
	v_fmac_f64_e32 v[62:63], v[34:35], v[116:117]
	v_fma_f64 v[0:1], -v[90:91], v[118:119], v[0:1]
	v_fmac_f64_e32 v[68:69], v[88:89], v[118:119]
	v_fma_f64 v[4:5], -v[42:43], v[118:119], v[4:5]
	v_fmac_f64_e32 v[66:67], v[40:41], v[118:119]
	v_fma_f64 v[6:7], -v[38:39], v[118:119], v[6:7]
	v_fmac_f64_e32 v[64:65], v[36:37], v[118:119]
	v_fma_f64 v[2:3], -v[34:35], v[118:119], v[2:3]
	v_fmac_f64_e32 v[62:63], v[32:33], v[118:119]
	s_waitcnt vmcnt(0)
	v_fmac_f64_e32 v[0:1], v[96:97], v[120:121]
	v_fmac_f64_e32 v[68:69], v[98:99], v[120:121]
	v_fmac_f64_e32 v[4:5], v[92:93], v[120:121]
	v_fmac_f64_e32 v[66:67], v[94:95], v[120:121]
	v_fmac_f64_e32 v[6:7], v[100:101], v[120:121]
	v_fmac_f64_e32 v[64:65], v[102:103], v[120:121]
	v_fmac_f64_e32 v[2:3], v[104:105], v[120:121]
	v_fmac_f64_e32 v[62:63], v[106:107], v[120:121]
	v_fma_f64 v[76:77], -v[98:99], v[122:123], v[0:1]
	v_fmac_f64_e32 v[68:69], v[96:97], v[122:123]
	v_fma_f64 v[74:75], -v[94:95], v[122:123], v[4:5]
	v_fmac_f64_e32 v[66:67], v[92:93], v[122:123]
	v_fma_f64 v[72:73], -v[102:103], v[122:123], v[6:7]
	v_fmac_f64_e32 v[64:65], v[100:101], v[122:123]
	v_fma_f64 v[70:71], -v[106:107], v[122:123], v[2:3]
	v_fmac_f64_e32 v[62:63], v[104:105], v[122:123]
	s_andn2_b64 exec, exec, s[10:11]
	s_cbranch_execnz .LBB56_33
; %bb.34:
	s_or_b64 exec, exec, s[10:11]
.LBB56_35:
	s_or_b64 exec, exec, s[8:9]
	v_cmp_lt_u64_e32 vcc, 23, v[78:79]
	s_and_saveexec_b64 s[8:9], vcc
	s_cbranch_execz .LBB56_39
; %bb.36:
	v_lshlrev_b64 v[0:1], 3, v[56:57]
	v_mov_b32_e32 v2, s13
	v_add_co_u32_e32 v0, vcc, s12, v0
	v_addc_co_u32_e32 v1, vcc, v1, v2, vcc
	v_add_co_u32_e32 v8, vcc, 0x80, v0
	v_addc_co_u32_e32 v9, vcc, 0, v1, vcc
	s_mov_b64 s[10:11], 0
	v_mov_b32_e32 v12, s17
	v_mov_b32_e32 v13, s5
	s_movk_i32 s5, 0x1000
.LBB56_37:                              ; =>This Inner Loop Header: Depth=1
	global_load_dwordx2 v[0:1], v[8:9], off offset:-128
	global_load_dwordx4 v[14:17], v[60:61], off offset:48
	global_load_dwordx4 v[18:21], v[60:61], off offset:32
	;; [unrolled: 1-line block ×3, first 2 shown]
	global_load_dwordx4 v[26:29], v[60:61], off
	s_waitcnt vmcnt(4)
	v_subrev_co_u32_e32 v0, vcc, s20, v0
	v_subb_co_u32_e32 v1, vcc, v1, v12, vcc
	v_lshlrev_b64 v[0:1], 6, v[0:1]
	v_add_co_u32_e32 v10, vcc, s4, v0
	v_addc_co_u32_e32 v11, vcc, v13, v1, vcc
	global_load_dwordx4 v[0:3], v[10:11], off offset:48
	global_load_dwordx4 v[4:7], v[10:11], off offset:32
	;; [unrolled: 1-line block ×3, first 2 shown]
	global_load_dwordx4 v[34:37], v[10:11], off
	s_waitcnt vmcnt(0)
	v_fmac_f64_e32 v[76:77], v[26:27], v[34:35]
	v_fmac_f64_e32 v[68:69], v[28:29], v[34:35]
	;; [unrolled: 1-line block ×8, first 2 shown]
	v_fma_f64 v[10:11], -v[28:29], v[36:37], v[76:77]
	v_fmac_f64_e32 v[68:69], v[26:27], v[36:37]
	v_fma_f64 v[38:39], -v[24:25], v[36:37], v[74:75]
	v_fmac_f64_e32 v[66:67], v[22:23], v[36:37]
	v_fma_f64 v[40:41], -v[20:21], v[36:37], v[72:73]
	v_fmac_f64_e32 v[64:65], v[18:19], v[36:37]
	v_fma_f64 v[42:43], -v[16:17], v[36:37], v[70:71]
	v_fmac_f64_e32 v[62:63], v[14:15], v[36:37]
	global_load_dwordx4 v[14:17], v[60:61], off offset:112
	global_load_dwordx4 v[18:21], v[60:61], off offset:96
	global_load_dwordx4 v[22:25], v[60:61], off offset:80
	global_load_dwordx4 v[26:29], v[60:61], off offset:64
	s_waitcnt vmcnt(3)
	v_fmac_f64_e32 v[42:43], v[14:15], v[30:31]
	s_waitcnt vmcnt(2)
	v_fmac_f64_e32 v[40:41], v[18:19], v[30:31]
	s_waitcnt vmcnt(1)
	v_fmac_f64_e32 v[38:39], v[22:23], v[30:31]
	s_waitcnt vmcnt(0)
	v_fmac_f64_e32 v[10:11], v[26:27], v[30:31]
	v_fmac_f64_e32 v[68:69], v[28:29], v[30:31]
	v_fmac_f64_e32 v[66:67], v[24:25], v[30:31]
	v_fmac_f64_e32 v[64:65], v[20:21], v[30:31]
	v_fmac_f64_e32 v[62:63], v[16:17], v[30:31]
	v_fma_f64 v[10:11], -v[28:29], v[32:33], v[10:11]
	v_fmac_f64_e32 v[68:69], v[26:27], v[32:33]
	v_fma_f64 v[34:35], -v[24:25], v[32:33], v[38:39]
	v_fmac_f64_e32 v[66:67], v[22:23], v[32:33]
	v_fma_f64 v[36:37], -v[20:21], v[32:33], v[40:41]
	v_fmac_f64_e32 v[64:65], v[18:19], v[32:33]
	v_fma_f64 v[38:39], -v[16:17], v[32:33], v[42:43]
	v_fmac_f64_e32 v[62:63], v[14:15], v[32:33]
	global_load_dwordx4 v[14:17], v[60:61], off offset:176
	global_load_dwordx4 v[18:21], v[60:61], off offset:160
	global_load_dwordx4 v[22:25], v[60:61], off offset:144
	global_load_dwordx4 v[26:29], v[60:61], off offset:128
	s_waitcnt vmcnt(3)
	v_fmac_f64_e32 v[38:39], v[14:15], v[4:5]
	s_waitcnt vmcnt(2)
	v_fmac_f64_e32 v[36:37], v[18:19], v[4:5]
	s_waitcnt vmcnt(1)
	v_fmac_f64_e32 v[34:35], v[22:23], v[4:5]
	s_waitcnt vmcnt(0)
	v_fmac_f64_e32 v[10:11], v[26:27], v[4:5]
	v_fmac_f64_e32 v[68:69], v[28:29], v[4:5]
	v_fmac_f64_e32 v[66:67], v[24:25], v[4:5]
	v_fmac_f64_e32 v[64:65], v[20:21], v[4:5]
	v_fmac_f64_e32 v[62:63], v[16:17], v[4:5]
	;; [unrolled: 24-line block ×3, first 2 shown]
	global_load_dwordx2 v[0:1], v[8:9], off offset:-64
	v_fmac_f64_e32 v[68:69], v[22:23], v[2:3]
	v_fma_f64 v[10:11], -v[24:25], v[2:3], v[10:11]
	v_fma_f64 v[38:39], -v[20:21], v[2:3], v[26:27]
	v_fmac_f64_e32 v[66:67], v[18:19], v[2:3]
	v_fma_f64 v[40:41], -v[16:17], v[2:3], v[28:29]
	v_fmac_f64_e32 v[64:65], v[14:15], v[2:3]
	;; [unrolled: 2-line block ×3, first 2 shown]
	s_waitcnt vmcnt(0)
	v_subrev_co_u32_e32 v22, vcc, s20, v0
	v_subb_co_u32_e32 v23, vcc, v1, v12, vcc
	v_lshlrev_b64 v[22:23], 6, v[22:23]
	v_add_co_u32_e32 v70, vcc, s4, v22
	v_addc_co_u32_e32 v71, vcc, v13, v23, vcc
	global_load_dwordx4 v[0:3], v[60:61], off offset:2096
	global_load_dwordx4 v[4:7], v[60:61], off offset:2080
	;; [unrolled: 1-line block ×7, first 2 shown]
	global_load_dwordx4 v[34:37], v[70:71], off
	s_waitcnt vmcnt(0)
	v_fmac_f64_e32 v[10:11], v[18:19], v[34:35]
	v_fmac_f64_e32 v[68:69], v[20:21], v[34:35]
	v_fmac_f64_e32 v[38:39], v[14:15], v[34:35]
	v_fmac_f64_e32 v[66:67], v[16:17], v[34:35]
	v_fmac_f64_e32 v[40:41], v[4:5], v[34:35]
	v_fmac_f64_e32 v[64:65], v[6:7], v[34:35]
	v_fmac_f64_e32 v[42:43], v[0:1], v[34:35]
	v_fmac_f64_e32 v[62:63], v[2:3], v[34:35]
	v_fma_f64 v[10:11], -v[20:21], v[36:37], v[10:11]
	v_fmac_f64_e32 v[68:69], v[18:19], v[36:37]
	v_fma_f64 v[38:39], -v[16:17], v[36:37], v[38:39]
	v_fmac_f64_e32 v[66:67], v[14:15], v[36:37]
	;; [unrolled: 2-line block ×4, first 2 shown]
	global_load_dwordx4 v[0:3], v[60:61], off offset:2160
	global_load_dwordx4 v[4:7], v[60:61], off offset:2144
	;; [unrolled: 1-line block ×4, first 2 shown]
	s_waitcnt vmcnt(3)
	v_fmac_f64_e32 v[42:43], v[0:1], v[30:31]
	s_waitcnt vmcnt(2)
	v_fmac_f64_e32 v[40:41], v[4:5], v[30:31]
	;; [unrolled: 2-line block ×4, first 2 shown]
	v_fmac_f64_e32 v[68:69], v[20:21], v[30:31]
	v_fmac_f64_e32 v[66:67], v[16:17], v[30:31]
	;; [unrolled: 1-line block ×4, first 2 shown]
	v_fma_f64 v[10:11], -v[20:21], v[32:33], v[10:11]
	v_fmac_f64_e32 v[68:69], v[18:19], v[32:33]
	v_fma_f64 v[34:35], -v[16:17], v[32:33], v[38:39]
	v_fmac_f64_e32 v[66:67], v[14:15], v[32:33]
	;; [unrolled: 2-line block ×4, first 2 shown]
	global_load_dwordx4 v[0:3], v[60:61], off offset:2224
	global_load_dwordx4 v[4:7], v[60:61], off offset:2208
	;; [unrolled: 1-line block ×4, first 2 shown]
	s_waitcnt vmcnt(3)
	v_fmac_f64_e32 v[38:39], v[0:1], v[26:27]
	s_waitcnt vmcnt(2)
	v_fmac_f64_e32 v[36:37], v[4:5], v[26:27]
	;; [unrolled: 2-line block ×4, first 2 shown]
	v_fmac_f64_e32 v[68:69], v[20:21], v[26:27]
	v_fmac_f64_e32 v[66:67], v[16:17], v[26:27]
	;; [unrolled: 1-line block ×4, first 2 shown]
	v_fma_f64 v[10:11], -v[20:21], v[28:29], v[10:11]
	v_fmac_f64_e32 v[68:69], v[18:19], v[28:29]
	v_fma_f64 v[30:31], -v[16:17], v[28:29], v[34:35]
	v_fmac_f64_e32 v[66:67], v[14:15], v[28:29]
	;; [unrolled: 2-line block ×4, first 2 shown]
	global_load_dwordx4 v[14:17], v[60:61], off offset:2288
	global_load_dwordx4 v[18:21], v[60:61], off offset:2272
	;; [unrolled: 1-line block ×4, first 2 shown]
	v_add_co_u32_e32 v0, vcc, s5, v60
	v_addc_co_u32_e32 v1, vcc, 0, v61, vcc
	s_waitcnt vmcnt(3)
	v_fmac_f64_e32 v[62:63], v[16:17], v[22:23]
	v_fmac_f64_e32 v[34:35], v[14:15], v[22:23]
	;; [unrolled: 1-line block ×3, first 2 shown]
	global_load_dwordx2 v[14:15], v[8:9], off
	s_waitcnt vmcnt(1)
	v_fmac_f64_e32 v[68:69], v[6:7], v[22:23]
	v_fmac_f64_e32 v[30:31], v[26:27], v[22:23]
	v_fmac_f64_e32 v[10:11], v[4:5], v[22:23]
	v_fmac_f64_e32 v[68:69], v[4:5], v[24:25]
	v_fma_f64 v[4:5], -v[28:29], v[24:25], v[30:31]
	v_fmac_f64_e32 v[66:67], v[28:29], v[22:23]
	v_fmac_f64_e32 v[32:33], v[18:19], v[22:23]
	;; [unrolled: 1-line block ×3, first 2 shown]
	v_fma_f64 v[2:3], -v[6:7], v[24:25], v[10:11]
	v_fmac_f64_e32 v[66:67], v[26:27], v[24:25]
	v_fma_f64 v[6:7], -v[20:21], v[24:25], v[32:33]
	v_fmac_f64_e32 v[64:65], v[18:19], v[24:25]
	v_fma_f64 v[10:11], -v[16:17], v[24:25], v[34:35]
	s_waitcnt vmcnt(0)
	v_subrev_co_u32_e32 v30, vcc, s20, v14
	v_subb_co_u32_e32 v31, vcc, v15, v12, vcc
	v_lshlrev_b64 v[30:31], 6, v[30:31]
	v_add_co_u32_e32 v42, vcc, s4, v30
	v_addc_co_u32_e32 v43, vcc, v13, v31, vcc
	global_load_dwordx4 v[14:17], v[0:1], off
	global_load_dwordx4 v[18:21], v[0:1], off offset:48
	global_load_dwordx4 v[22:25], v[0:1], off offset:32
	;; [unrolled: 1-line block ×6, first 2 shown]
	global_load_dwordx4 v[70:73], v[42:43], off
	s_waitcnt vmcnt(0)
	v_fmac_f64_e32 v[2:3], v[14:15], v[70:71]
	v_fmac_f64_e32 v[68:69], v[16:17], v[70:71]
	;; [unrolled: 1-line block ×7, first 2 shown]
	v_fma_f64 v[42:43], -v[16:17], v[72:73], v[2:3]
	v_fmac_f64_e32 v[68:69], v[14:15], v[72:73]
	v_fma_f64 v[74:75], -v[28:29], v[72:73], v[4:5]
	v_fma_f64 v[6:7], -v[24:25], v[72:73], v[6:7]
	v_fmac_f64_e32 v[64:65], v[22:23], v[72:73]
	v_fma_f64 v[10:11], -v[20:21], v[72:73], v[10:11]
	v_fmac_f64_e32 v[62:63], v[18:19], v[72:73]
	global_load_dwordx4 v[2:5], v[0:1], off offset:112
	global_load_dwordx4 v[14:17], v[0:1], off offset:96
	global_load_dwordx4 v[18:21], v[0:1], off offset:80
	global_load_dwordx4 v[22:25], v[0:1], off offset:64
	v_fmac_f64_e32 v[66:67], v[28:29], v[70:71]
	v_fmac_f64_e32 v[66:67], v[26:27], v[72:73]
	s_waitcnt vmcnt(3)
	v_fmac_f64_e32 v[10:11], v[2:3], v[38:39]
	s_waitcnt vmcnt(2)
	;; [unrolled: 2-line block ×4, first 2 shown]
	v_fmac_f64_e32 v[42:43], v[22:23], v[38:39]
	v_fmac_f64_e32 v[68:69], v[24:25], v[38:39]
	v_fmac_f64_e32 v[66:67], v[20:21], v[38:39]
	v_fmac_f64_e32 v[64:65], v[16:17], v[38:39]
	v_fmac_f64_e32 v[62:63], v[4:5], v[38:39]
	v_fma_f64 v[26:27], -v[24:25], v[40:41], v[42:43]
	v_fmac_f64_e32 v[68:69], v[22:23], v[40:41]
	v_fma_f64 v[28:29], -v[20:21], v[40:41], v[74:75]
	v_fmac_f64_e32 v[66:67], v[18:19], v[40:41]
	;; [unrolled: 2-line block ×4, first 2 shown]
	global_load_dwordx4 v[2:5], v[0:1], off offset:176
	global_load_dwordx4 v[14:17], v[0:1], off offset:160
	;; [unrolled: 1-line block ×4, first 2 shown]
	s_waitcnt vmcnt(3)
	v_fmac_f64_e32 v[10:11], v[2:3], v[34:35]
	s_waitcnt vmcnt(2)
	v_fmac_f64_e32 v[6:7], v[14:15], v[34:35]
	;; [unrolled: 2-line block ×4, first 2 shown]
	v_fmac_f64_e32 v[68:69], v[24:25], v[34:35]
	v_fmac_f64_e32 v[66:67], v[20:21], v[34:35]
	;; [unrolled: 1-line block ×3, first 2 shown]
	v_fma_f64 v[26:27], -v[24:25], v[36:37], v[26:27]
	v_fmac_f64_e32 v[68:69], v[22:23], v[36:37]
	v_fma_f64 v[28:29], -v[20:21], v[36:37], v[28:29]
	v_fmac_f64_e32 v[66:67], v[18:19], v[36:37]
	;; [unrolled: 2-line block ×4, first 2 shown]
	global_load_dwordx4 v[14:17], v[0:1], off offset:240
	global_load_dwordx4 v[18:21], v[0:1], off offset:224
	;; [unrolled: 1-line block ×4, first 2 shown]
	v_fmac_f64_e32 v[62:63], v[2:3], v[36:37]
	s_waitcnt vmcnt(3)
	v_fmac_f64_e32 v[62:63], v[16:17], v[30:31]
	v_fmac_f64_e32 v[10:11], v[14:15], v[30:31]
	;; [unrolled: 1-line block ×3, first 2 shown]
	global_load_dwordx2 v[14:15], v[8:9], off offset:64
	s_waitcnt vmcnt(1)
	v_fmac_f64_e32 v[26:27], v[4:5], v[30:31]
	v_fmac_f64_e32 v[68:69], v[6:7], v[30:31]
	;; [unrolled: 1-line block ×6, first 2 shown]
	v_fma_f64 v[2:3], -v[6:7], v[32:33], v[26:27]
	v_fmac_f64_e32 v[68:69], v[4:5], v[32:33]
	v_fma_f64 v[4:5], -v[24:25], v[32:33], v[28:29]
	v_fmac_f64_e32 v[66:67], v[22:23], v[32:33]
	;; [unrolled: 2-line block ×3, first 2 shown]
	v_fma_f64 v[10:11], -v[16:17], v[32:33], v[10:11]
	s_waitcnt vmcnt(0)
	v_subrev_co_u32_e32 v30, vcc, s20, v14
	v_subb_co_u32_e32 v31, vcc, v15, v12, vcc
	v_lshlrev_b64 v[30:31], 6, v[30:31]
	v_add_co_u32_e32 v42, vcc, s4, v30
	v_addc_co_u32_e32 v43, vcc, v13, v31, vcc
	global_load_dwordx4 v[14:17], v[0:1], off offset:2096
	global_load_dwordx4 v[18:21], v[0:1], off offset:2080
	;; [unrolled: 1-line block ×7, first 2 shown]
	global_load_dwordx4 v[70:73], v[42:43], off
	v_add_co_u32_e32 v56, vcc, 32, v56
	v_addc_co_u32_e32 v57, vcc, 0, v57, vcc
	v_add_co_u32_e32 v8, vcc, 0x100, v8
	v_addc_co_u32_e32 v9, vcc, 0, v9, vcc
	v_cmp_ge_i64_e64 s[0:1], v[56:57], v[58:59]
	v_add_co_u32_e32 v60, vcc, 0x2000, v60
	v_addc_co_u32_e32 v61, vcc, 0, v61, vcc
	s_or_b64 s[10:11], s[0:1], s[10:11]
	s_waitcnt vmcnt(0)
	v_fmac_f64_e32 v[2:3], v[26:27], v[70:71]
	v_fmac_f64_e32 v[68:69], v[28:29], v[70:71]
	;; [unrolled: 1-line block ×8, first 2 shown]
	v_fma_f64 v[42:43], -v[28:29], v[72:73], v[2:3]
	v_fmac_f64_e32 v[68:69], v[26:27], v[72:73]
	v_fma_f64 v[26:27], -v[24:25], v[72:73], v[4:5]
	v_fmac_f64_e32 v[66:67], v[22:23], v[72:73]
	v_fma_f64 v[6:7], -v[20:21], v[72:73], v[6:7]
	v_fmac_f64_e32 v[64:65], v[18:19], v[72:73]
	v_fma_f64 v[10:11], -v[16:17], v[72:73], v[10:11]
	v_fmac_f64_e32 v[62:63], v[14:15], v[72:73]
	global_load_dwordx4 v[2:5], v[0:1], off offset:2160
	global_load_dwordx4 v[14:17], v[0:1], off offset:2144
	global_load_dwordx4 v[18:21], v[0:1], off offset:2128
	global_load_dwordx4 v[22:25], v[0:1], off offset:2112
	s_waitcnt vmcnt(3)
	v_fmac_f64_e32 v[10:11], v[2:3], v[38:39]
	s_waitcnt vmcnt(2)
	v_fmac_f64_e32 v[6:7], v[14:15], v[38:39]
	s_waitcnt vmcnt(1)
	v_fmac_f64_e32 v[26:27], v[18:19], v[38:39]
	s_waitcnt vmcnt(0)
	v_fmac_f64_e32 v[42:43], v[22:23], v[38:39]
	v_fmac_f64_e32 v[68:69], v[24:25], v[38:39]
	v_fmac_f64_e32 v[66:67], v[20:21], v[38:39]
	v_fmac_f64_e32 v[64:65], v[16:17], v[38:39]
	v_fmac_f64_e32 v[62:63], v[4:5], v[38:39]
	v_fma_f64 v[28:29], -v[24:25], v[40:41], v[42:43]
	v_fmac_f64_e32 v[68:69], v[22:23], v[40:41]
	v_fma_f64 v[26:27], -v[20:21], v[40:41], v[26:27]
	v_fmac_f64_e32 v[66:67], v[18:19], v[40:41]
	v_fma_f64 v[6:7], -v[16:17], v[40:41], v[6:7]
	v_fmac_f64_e32 v[64:65], v[14:15], v[40:41]
	v_fma_f64 v[10:11], -v[4:5], v[40:41], v[10:11]
	v_fmac_f64_e32 v[62:63], v[2:3], v[40:41]
	global_load_dwordx4 v[2:5], v[0:1], off offset:2224
	global_load_dwordx4 v[14:17], v[0:1], off offset:2208
	global_load_dwordx4 v[18:21], v[0:1], off offset:2192
	global_load_dwordx4 v[22:25], v[0:1], off offset:2176
	s_waitcnt vmcnt(3)
	v_fmac_f64_e32 v[10:11], v[2:3], v[34:35]
	s_waitcnt vmcnt(2)
	v_fmac_f64_e32 v[6:7], v[14:15], v[34:35]
	s_waitcnt vmcnt(1)
	v_fmac_f64_e32 v[26:27], v[18:19], v[34:35]
	s_waitcnt vmcnt(0)
	v_fmac_f64_e32 v[28:29], v[22:23], v[34:35]
	v_fmac_f64_e32 v[68:69], v[24:25], v[34:35]
	v_fmac_f64_e32 v[66:67], v[20:21], v[34:35]
	v_fmac_f64_e32 v[64:65], v[16:17], v[34:35]
	v_fmac_f64_e32 v[62:63], v[4:5], v[34:35]
	;; [unrolled: 24-line block ×3, first 2 shown]
	v_fma_f64 v[76:77], -v[24:25], v[32:33], v[28:29]
	v_fmac_f64_e32 v[68:69], v[22:23], v[32:33]
	v_fma_f64 v[74:75], -v[20:21], v[32:33], v[26:27]
	v_fmac_f64_e32 v[66:67], v[18:19], v[32:33]
	;; [unrolled: 2-line block ×4, first 2 shown]
	s_andn2_b64 exec, exec, s[10:11]
	s_cbranch_execnz .LBB56_37
; %bb.38:
	s_or_b64 exec, exec, s[10:11]
.LBB56_39:
	s_or_b64 exec, exec, s[8:9]
.LBB56_40:
	s_or_b64 exec, exec, s[2:3]
.LBB56_41:
	v_mov_b32_dpp v0, v76 row_shr:1 row_mask:0xf bank_mask:0xf
	v_mov_b32_dpp v1, v77 row_shr:1 row_mask:0xf bank_mask:0xf
	v_mov_b32_dpp v4, v68 row_shr:1 row_mask:0xf bank_mask:0xf
	v_mov_b32_dpp v5, v69 row_shr:1 row_mask:0xf bank_mask:0xf
	v_mov_b32_dpp v8, v74 row_shr:1 row_mask:0xf bank_mask:0xf
	v_mov_b32_dpp v9, v75 row_shr:1 row_mask:0xf bank_mask:0xf
	v_mov_b32_dpp v12, v66 row_shr:1 row_mask:0xf bank_mask:0xf
	v_mov_b32_dpp v13, v67 row_shr:1 row_mask:0xf bank_mask:0xf
	v_mov_b32_dpp v16, v72 row_shr:1 row_mask:0xf bank_mask:0xf
	v_mov_b32_dpp v17, v73 row_shr:1 row_mask:0xf bank_mask:0xf
	v_mov_b32_dpp v20, v64 row_shr:1 row_mask:0xf bank_mask:0xf
	v_mov_b32_dpp v21, v65 row_shr:1 row_mask:0xf bank_mask:0xf
	v_mov_b32_dpp v24, v70 row_shr:1 row_mask:0xf bank_mask:0xf
	v_mov_b32_dpp v25, v71 row_shr:1 row_mask:0xf bank_mask:0xf
	v_mov_b32_dpp v28, v62 row_shr:1 row_mask:0xf bank_mask:0xf
	v_mov_b32_dpp v29, v63 row_shr:1 row_mask:0xf bank_mask:0xf
	v_add_f64 v[0:1], v[76:77], v[0:1]
	v_add_f64 v[4:5], v[68:69], v[4:5]
	;; [unrolled: 1-line block ×8, first 2 shown]
	v_mov_b32_dpp v2, v0 row_shr:2 row_mask:0xf bank_mask:0xf
	v_mov_b32_dpp v3, v1 row_shr:2 row_mask:0xf bank_mask:0xf
	;; [unrolled: 1-line block ×16, first 2 shown]
	v_add_f64 v[0:1], v[0:1], v[2:3]
	v_add_f64 v[4:5], v[4:5], v[6:7]
	;; [unrolled: 1-line block ×8, first 2 shown]
	v_mov_b32_dpp v2, v0 row_shr:4 row_mask:0xf bank_mask:0xe
	v_mov_b32_dpp v3, v1 row_shr:4 row_mask:0xf bank_mask:0xe
	v_mov_b32_dpp v6, v4 row_shr:4 row_mask:0xf bank_mask:0xe
	v_mov_b32_dpp v7, v5 row_shr:4 row_mask:0xf bank_mask:0xe
	v_mov_b32_dpp v10, v8 row_shr:4 row_mask:0xf bank_mask:0xe
	v_mov_b32_dpp v11, v9 row_shr:4 row_mask:0xf bank_mask:0xe
	v_mov_b32_dpp v14, v12 row_shr:4 row_mask:0xf bank_mask:0xe
	v_mov_b32_dpp v15, v13 row_shr:4 row_mask:0xf bank_mask:0xe
	v_mov_b32_dpp v18, v16 row_shr:4 row_mask:0xf bank_mask:0xe
	v_mov_b32_dpp v19, v17 row_shr:4 row_mask:0xf bank_mask:0xe
	v_mov_b32_dpp v22, v20 row_shr:4 row_mask:0xf bank_mask:0xe
	v_mov_b32_dpp v23, v21 row_shr:4 row_mask:0xf bank_mask:0xe
	v_mov_b32_dpp v26, v24 row_shr:4 row_mask:0xf bank_mask:0xe
	v_mov_b32_dpp v27, v25 row_shr:4 row_mask:0xf bank_mask:0xe
	v_mov_b32_dpp v30, v28 row_shr:4 row_mask:0xf bank_mask:0xe
	v_mov_b32_dpp v31, v29 row_shr:4 row_mask:0xf bank_mask:0xe
	v_cmp_eq_u32_e32 vcc, 7, v54
	s_and_b64 exec, exec, vcc
	s_cbranch_execz .LBB56_12
; %bb.42:
	s_load_dwordx2 s[2:3], s[6:7], 0x68
	v_add_f64 v[32:33], v[0:1], v[2:3]
	v_add_f64 v[0:1], v[4:5], v[6:7]
	;; [unrolled: 1-line block ×8, first 2 shown]
	v_cmp_eq_f64_e32 vcc, 0, v[44:45]
	v_cmp_eq_f64_e64 s[0:1], 0, v[46:47]
	v_mul_f64 v[12:13], v[0:1], -v[50:51]
	v_mul_f64 v[14:15], v[48:49], v[0:1]
	v_mul_f64 v[8:9], v[2:3], -v[50:51]
	v_mul_f64 v[10:11], v[48:49], v[2:3]
	v_mul_f64 v[4:5], v[6:7], -v[50:51]
	v_mul_f64 v[6:7], v[48:49], v[6:7]
	v_mul_f64 v[0:1], v[16:17], -v[50:51]
	v_mul_f64 v[2:3], v[48:49], v[16:17]
	s_and_b64 s[0:1], vcc, s[0:1]
	v_fmac_f64_e32 v[12:13], v[48:49], v[32:33]
	v_fmac_f64_e32 v[14:15], v[50:51], v[32:33]
	v_lshlrev_b64 v[16:17], 6, v[52:53]
	v_fmac_f64_e32 v[8:9], v[48:49], v[34:35]
	v_fmac_f64_e32 v[10:11], v[50:51], v[34:35]
	;; [unrolled: 1-line block ×6, first 2 shown]
	s_and_saveexec_b64 s[4:5], s[0:1]
	s_xor_b64 s[0:1], exec, s[4:5]
	s_cbranch_execz .LBB56_44
; %bb.43:
	s_waitcnt lgkmcnt(0)
	v_mov_b32_e32 v18, s3
	v_add_co_u32_e32 v16, vcc, s2, v16
	v_addc_co_u32_e32 v17, vcc, v18, v17, vcc
	global_store_dwordx4 v[16:17], v[12:15], off
	global_store_dwordx4 v[16:17], v[8:11], off offset:16
	global_store_dwordx4 v[16:17], v[4:7], off offset:32
	;; [unrolled: 1-line block ×3, first 2 shown]
                                        ; implicit-def: $vgpr44_vgpr45
                                        ; implicit-def: $vgpr46_vgpr47
                                        ; implicit-def: $vgpr12_vgpr13
                                        ; implicit-def: $vgpr16_vgpr17
                                        ; implicit-def: $vgpr8_vgpr9
                                        ; implicit-def: $vgpr4_vgpr5
                                        ; implicit-def: $vgpr0_vgpr1
.LBB56_44:
	s_andn2_saveexec_b64 s[0:1], s[0:1]
	s_cbranch_execz .LBB56_12
; %bb.45:
	s_waitcnt lgkmcnt(0)
	v_mov_b32_e32 v18, s3
	v_add_co_u32_e32 v32, vcc, s2, v16
	v_addc_co_u32_e32 v33, vcc, v18, v17, vcc
	global_load_dwordx4 v[16:19], v[32:33], off
	global_load_dwordx4 v[20:23], v[32:33], off offset:16
	global_load_dwordx4 v[24:27], v[32:33], off offset:32
	;; [unrolled: 1-line block ×3, first 2 shown]
	s_waitcnt vmcnt(3)
	v_fmac_f64_e32 v[12:13], v[44:45], v[16:17]
	v_fmac_f64_e32 v[14:15], v[46:47], v[16:17]
	s_waitcnt vmcnt(2)
	v_fmac_f64_e32 v[8:9], v[44:45], v[20:21]
	v_fmac_f64_e32 v[10:11], v[46:47], v[20:21]
	;; [unrolled: 3-line block ×4, first 2 shown]
	v_fma_f64 v[12:13], -v[46:47], v[18:19], v[12:13]
	v_fmac_f64_e32 v[14:15], v[44:45], v[18:19]
	v_fma_f64 v[8:9], -v[46:47], v[22:23], v[8:9]
	v_fmac_f64_e32 v[10:11], v[44:45], v[22:23]
	;; [unrolled: 2-line block ×4, first 2 shown]
	global_store_dwordx4 v[32:33], v[12:15], off
	global_store_dwordx4 v[32:33], v[8:11], off offset:16
	global_store_dwordx4 v[32:33], v[4:7], off offset:32
	;; [unrolled: 1-line block ×3, first 2 shown]
	s_endpgm
	.section	.rodata,"a",@progbits
	.p2align	6, 0x0
	.amdhsa_kernel _ZN9rocsparseL18bsrxmvn_4x4_kernelILj128ELj8E21rocsparse_complex_numIdEllS2_S2_S2_EEvT3_20rocsparse_direction_NS_24const_host_device_scalarIT1_EES3_PKS3_PKT2_SC_S9_PKT4_PKT5_S7_PT6_21rocsparse_index_base_b
		.amdhsa_group_segment_fixed_size 2048
		.amdhsa_private_segment_fixed_size 0
		.amdhsa_kernarg_size 120
		.amdhsa_user_sgpr_count 8
		.amdhsa_user_sgpr_private_segment_buffer 1
		.amdhsa_user_sgpr_dispatch_ptr 1
		.amdhsa_user_sgpr_queue_ptr 0
		.amdhsa_user_sgpr_kernarg_segment_ptr 1
		.amdhsa_user_sgpr_dispatch_id 0
		.amdhsa_user_sgpr_flat_scratch_init 0
		.amdhsa_user_sgpr_kernarg_preload_length 0
		.amdhsa_user_sgpr_kernarg_preload_offset 0
		.amdhsa_user_sgpr_private_segment_size 0
		.amdhsa_uses_dynamic_stack 0
		.amdhsa_system_sgpr_private_segment_wavefront_offset 0
		.amdhsa_system_sgpr_workgroup_id_x 1
		.amdhsa_system_sgpr_workgroup_id_y 0
		.amdhsa_system_sgpr_workgroup_id_z 0
		.amdhsa_system_sgpr_workgroup_info 0
		.amdhsa_system_vgpr_workitem_id 2
		.amdhsa_next_free_vgpr 124
		.amdhsa_next_free_sgpr 22
		.amdhsa_accum_offset 124
		.amdhsa_reserve_vcc 1
		.amdhsa_reserve_flat_scratch 0
		.amdhsa_float_round_mode_32 0
		.amdhsa_float_round_mode_16_64 0
		.amdhsa_float_denorm_mode_32 3
		.amdhsa_float_denorm_mode_16_64 3
		.amdhsa_dx10_clamp 1
		.amdhsa_ieee_mode 1
		.amdhsa_fp16_overflow 0
		.amdhsa_tg_split 0
		.amdhsa_exception_fp_ieee_invalid_op 0
		.amdhsa_exception_fp_denorm_src 0
		.amdhsa_exception_fp_ieee_div_zero 0
		.amdhsa_exception_fp_ieee_overflow 0
		.amdhsa_exception_fp_ieee_underflow 0
		.amdhsa_exception_fp_ieee_inexact 0
		.amdhsa_exception_int_div_zero 0
	.end_amdhsa_kernel
	.section	.text._ZN9rocsparseL18bsrxmvn_4x4_kernelILj128ELj8E21rocsparse_complex_numIdEllS2_S2_S2_EEvT3_20rocsparse_direction_NS_24const_host_device_scalarIT1_EES3_PKS3_PKT2_SC_S9_PKT4_PKT5_S7_PT6_21rocsparse_index_base_b,"axG",@progbits,_ZN9rocsparseL18bsrxmvn_4x4_kernelILj128ELj8E21rocsparse_complex_numIdEllS2_S2_S2_EEvT3_20rocsparse_direction_NS_24const_host_device_scalarIT1_EES3_PKS3_PKT2_SC_S9_PKT4_PKT5_S7_PT6_21rocsparse_index_base_b,comdat
.Lfunc_end56:
	.size	_ZN9rocsparseL18bsrxmvn_4x4_kernelILj128ELj8E21rocsparse_complex_numIdEllS2_S2_S2_EEvT3_20rocsparse_direction_NS_24const_host_device_scalarIT1_EES3_PKS3_PKT2_SC_S9_PKT4_PKT5_S7_PT6_21rocsparse_index_base_b, .Lfunc_end56-_ZN9rocsparseL18bsrxmvn_4x4_kernelILj128ELj8E21rocsparse_complex_numIdEllS2_S2_S2_EEvT3_20rocsparse_direction_NS_24const_host_device_scalarIT1_EES3_PKS3_PKT2_SC_S9_PKT4_PKT5_S7_PT6_21rocsparse_index_base_b
                                        ; -- End function
	.section	.AMDGPU.csdata,"",@progbits
; Kernel info:
; codeLenInByte = 8264
; NumSgprs: 26
; NumVgprs: 124
; NumAgprs: 0
; TotalNumVgprs: 124
; ScratchSize: 0
; MemoryBound: 1
; FloatMode: 240
; IeeeMode: 1
; LDSByteSize: 2048 bytes/workgroup (compile time only)
; SGPRBlocks: 3
; VGPRBlocks: 15
; NumSGPRsForWavesPerEU: 26
; NumVGPRsForWavesPerEU: 124
; AccumOffset: 124
; Occupancy: 4
; WaveLimiterHint : 1
; COMPUTE_PGM_RSRC2:SCRATCH_EN: 0
; COMPUTE_PGM_RSRC2:USER_SGPR: 8
; COMPUTE_PGM_RSRC2:TRAP_HANDLER: 0
; COMPUTE_PGM_RSRC2:TGID_X_EN: 1
; COMPUTE_PGM_RSRC2:TGID_Y_EN: 0
; COMPUTE_PGM_RSRC2:TGID_Z_EN: 0
; COMPUTE_PGM_RSRC2:TIDIG_COMP_CNT: 2
; COMPUTE_PGM_RSRC3_GFX90A:ACCUM_OFFSET: 30
; COMPUTE_PGM_RSRC3_GFX90A:TG_SPLIT: 0
	.section	.text._ZN9rocsparseL18bsrxmvn_4x4_kernelILj128ELj16E21rocsparse_complex_numIdEllS2_S2_S2_EEvT3_20rocsparse_direction_NS_24const_host_device_scalarIT1_EES3_PKS3_PKT2_SC_S9_PKT4_PKT5_S7_PT6_21rocsparse_index_base_b,"axG",@progbits,_ZN9rocsparseL18bsrxmvn_4x4_kernelILj128ELj16E21rocsparse_complex_numIdEllS2_S2_S2_EEvT3_20rocsparse_direction_NS_24const_host_device_scalarIT1_EES3_PKS3_PKT2_SC_S9_PKT4_PKT5_S7_PT6_21rocsparse_index_base_b,comdat
	.globl	_ZN9rocsparseL18bsrxmvn_4x4_kernelILj128ELj16E21rocsparse_complex_numIdEllS2_S2_S2_EEvT3_20rocsparse_direction_NS_24const_host_device_scalarIT1_EES3_PKS3_PKT2_SC_S9_PKT4_PKT5_S7_PT6_21rocsparse_index_base_b ; -- Begin function _ZN9rocsparseL18bsrxmvn_4x4_kernelILj128ELj16E21rocsparse_complex_numIdEllS2_S2_S2_EEvT3_20rocsparse_direction_NS_24const_host_device_scalarIT1_EES3_PKS3_PKT2_SC_S9_PKT4_PKT5_S7_PT6_21rocsparse_index_base_b
	.p2align	8
	.type	_ZN9rocsparseL18bsrxmvn_4x4_kernelILj128ELj16E21rocsparse_complex_numIdEllS2_S2_S2_EEvT3_20rocsparse_direction_NS_24const_host_device_scalarIT1_EES3_PKS3_PKT2_SC_S9_PKT4_PKT5_S7_PT6_21rocsparse_index_base_b,@function
_ZN9rocsparseL18bsrxmvn_4x4_kernelILj128ELj16E21rocsparse_complex_numIdEllS2_S2_S2_EEvT3_20rocsparse_direction_NS_24const_host_device_scalarIT1_EES3_PKS3_PKT2_SC_S9_PKT4_PKT5_S7_PT6_21rocsparse_index_base_b: ; @_ZN9rocsparseL18bsrxmvn_4x4_kernelILj128ELj16E21rocsparse_complex_numIdEllS2_S2_S2_EEvT3_20rocsparse_direction_NS_24const_host_device_scalarIT1_EES3_PKS3_PKT2_SC_S9_PKT4_PKT5_S7_PT6_21rocsparse_index_base_b
; %bb.0:
	s_load_dwordx2 s[20:21], s[6:7], 0x70
	s_load_dwordx4 s[16:19], s[6:7], 0x10
	s_load_dwordx2 s[10:11], s[4:5], 0x4
	s_load_dwordx4 s[12:15], s[6:7], 0x58
	s_mov_b64 s[2:3], src_shared_base
	v_bfe_u32 v3, v0, 10, 10
	s_waitcnt lgkmcnt(0)
	s_bitcmp1_b32 s21, 0
	s_cselect_b64 s[0:1], -1, 0
	s_and_b64 vcc, s[0:1], exec
	s_cselect_b32 s2, s3, s17
	s_lshr_b32 s4, s10, 16
	v_and_b32_e32 v2, 0x3ff, v0
	s_mul_i32 s4, s4, s11
	v_mul_u32_u24_e32 v3, s11, v3
	v_mad_u32_u24 v3, s4, v2, v3
	v_bfe_u32 v0, v0, 20, 10
	v_add_lshl_u32 v0, v3, v0, 3
	v_mov_b32_e32 v1, s16
	v_add_u32_e32 v3, 0x400, v0
	v_pk_mov_b32 v[4:5], s[16:17], s[16:17] op_sel:[0,1]
	v_pk_mov_b32 v[6:7], s[12:13], s[12:13] op_sel:[0,1]
	ds_write2st64_b64 v0, v[6:7], v[4:5] offset1:2
	v_cndmask_b32_e64 v4, v1, v3, s[0:1]
	v_mov_b32_e32 v5, s2
	flat_load_dwordx2 v[52:53], v[4:5]
	s_xor_b64 s[4:5], s[0:1], -1
	v_pk_mov_b32 v[54:55], s[18:19], s[18:19] op_sel:[0,1]
	s_cbranch_vccnz .LBB57_2
; %bb.1:
	v_pk_mov_b32 v[4:5], s[16:17], s[16:17] op_sel:[0,1]
	flat_load_dwordx2 v[54:55], v[4:5] offset:8
.LBB57_2:
	s_and_b64 s[10:11], s[0:1], exec
	s_cselect_b32 s2, s3, s13
	v_mov_b32_e32 v1, s12
	v_cndmask_b32_e64 v0, v1, v0, s[0:1]
	v_mov_b32_e32 v1, s2
	flat_load_dwordx2 v[48:49], v[0:1]
	s_andn2_b64 vcc, exec, s[4:5]
	v_pk_mov_b32 v[50:51], s[14:15], s[14:15] op_sel:[0,1]
	s_cbranch_vccnz .LBB57_4
; %bb.3:
	v_pk_mov_b32 v[0:1], s[12:13], s[12:13] op_sel:[0,1]
	flat_load_dwordx2 v[50:51], v[0:1] offset:8
.LBB57_4:
	s_waitcnt vmcnt(0) lgkmcnt(0)
	v_cmp_eq_f64_e32 vcc, 0, v[52:53]
	v_cmp_eq_f64_e64 s[0:1], 0, v[54:55]
	s_and_b64 s[4:5], vcc, s[0:1]
	s_mov_b64 s[0:1], -1
	s_and_saveexec_b64 s[2:3], s[4:5]
; %bb.5:
	v_cmp_neq_f64_e32 vcc, 1.0, v[48:49]
	v_cmp_neq_f64_e64 s[0:1], 0, v[50:51]
	s_or_b64 s[0:1], vcc, s[0:1]
	s_orn2_b64 s[0:1], s[0:1], exec
; %bb.6:
	s_or_b64 exec, exec, s[2:3]
	s_and_saveexec_b64 s[2:3], s[0:1]
	s_cbranch_execz .LBB57_12
; %bb.7:
	s_load_dwordx2 s[2:3], s[6:7], 0x28
	v_lshrrev_b32_e32 v0, 4, v2
	v_lshl_or_b32 v0, s8, 3, v0
	v_mov_b32_e32 v1, 0
	s_mov_b64 s[0:1], 0
	s_waitcnt lgkmcnt(0)
	s_cmp_lg_u64 s[2:3], 0
	s_cbranch_scc0 .LBB57_13
; %bb.8:
	s_load_dwordx2 s[4:5], s[6:7], 0x20
                                        ; implicit-def: $vgpr56_vgpr57
	s_waitcnt lgkmcnt(0)
	v_cmp_gt_i64_e32 vcc, s[4:5], v[0:1]
	s_and_saveexec_b64 s[4:5], vcc
	s_xor_b64 s[4:5], exec, s[4:5]
                                        ; implicit-def: $sgpr16_sgpr17
	s_cbranch_execz .LBB57_10
; %bb.9:
	v_lshlrev_b64 v[4:5], 3, v[0:1]
	v_mov_b32_e32 v3, s3
	v_add_co_u32_e32 v4, vcc, s2, v4
	v_addc_co_u32_e32 v5, vcc, v3, v5, vcc
	global_load_dwordx2 v[4:5], v[4:5], off
	s_mov_b64 s[0:1], exec
	s_mov_b32 s17, 0
	s_waitcnt vmcnt(0)
	v_subrev_co_u32_e32 v56, vcc, s20, v4
	v_subbrev_co_u32_e32 v57, vcc, 0, v5, vcc
.LBB57_10:
	s_or_b64 exec, exec, s[4:5]
.LBB57_11:
	s_and_b64 exec, exec, s[0:1]
	s_cbranch_execnz .LBB57_17
.LBB57_12:
	s_endpgm
.LBB57_13:
                                        ; implicit-def: $vgpr56_vgpr57
                                        ; implicit-def: $sgpr16_sgpr17
	s_cbranch_execz .LBB57_11
; %bb.14:
	s_load_dwordx2 s[2:3], s[6:7], 0x0
                                        ; implicit-def: $vgpr56_vgpr57
	s_waitcnt lgkmcnt(0)
	v_cmp_gt_i64_e32 vcc, s[2:3], v[0:1]
	s_and_saveexec_b64 s[2:3], vcc
                                        ; implicit-def: $sgpr16_sgpr17
; %bb.15:
	s_mov_b32 s17, 0
	s_or_b64 s[0:1], s[0:1], exec
	v_pk_mov_b32 v[56:57], v[0:1], v[0:1] op_sel:[0,1]
; %bb.16:
	s_or_b64 exec, exec, s[2:3]
	s_and_b64 exec, exec, s[0:1]
	s_cbranch_execz .LBB57_12
.LBB57_17:
	s_load_dwordx8 s[8:15], s[6:7], 0x30
	v_lshlrev_b64 v[0:1], 3, v[56:57]
	v_and_b32_e32 v58, 15, v2
	v_mov_b32_e32 v2, s17
	s_waitcnt lgkmcnt(0)
	v_mov_b32_e32 v3, s9
	v_add_co_u32_e32 v4, vcc, s8, v0
	v_addc_co_u32_e32 v5, vcc, v3, v1, vcc
	v_add_co_u32_e32 v3, vcc, 8, v4
	global_load_dwordx2 v[16:17], v[4:5], off
	v_addc_co_u32_e32 v4, vcc, 0, v5, vcc
	v_mov_b32_e32 v5, s11
	v_add_co_u32_e32 v0, vcc, s10, v0
	s_cmp_eq_u64 s[10:11], 0
	v_addc_co_u32_e32 v1, vcc, v5, v1, vcc
	s_cselect_b64 vcc, -1, 0
	v_cndmask_b32_e32 v1, v1, v4, vcc
	v_cndmask_b32_e32 v0, v0, v3, vcc
	global_load_dwordx2 v[0:1], v[0:1], off
	s_load_dword s0, s[6:7], 0x8
	s_load_dwordx2 s[4:5], s[6:7], 0x50
	v_mov_b32_e32 v3, s15
	s_waitcnt lgkmcnt(0)
	s_cmp_eq_u32 s0, 1
	s_waitcnt vmcnt(1)
	v_subrev_co_u32_e32 v4, vcc, s20, v16
	v_subb_co_u32_e32 v5, vcc, v17, v2, vcc
	v_add_co_u32_e32 v62, vcc, v4, v58
	v_addc_co_u32_e32 v63, vcc, 0, v5, vcc
	s_waitcnt vmcnt(0)
	v_subrev_co_u32_e32 v64, vcc, s20, v0
	v_subb_co_u32_e32 v65, vcc, v1, v2, vcc
	v_lshlrev_b64 v[0:1], 8, v[62:63]
	v_add_co_u32_e32 v66, vcc, s14, v0
	v_addc_co_u32_e32 v67, vcc, v3, v1, vcc
	v_cmp_lt_i64_e64 s[0:1], v[62:63], v[64:65]
	s_cbranch_scc1 .LBB57_29
; %bb.18:
	v_pk_mov_b32 v[72:73], 0, 0
	s_mov_b64 s[8:9], 0
	v_pk_mov_b32 v[80:81], v[72:73], v[72:73] op_sel:[0,1]
	v_pk_mov_b32 v[74:75], v[72:73], v[72:73] op_sel:[0,1]
	;; [unrolled: 1-line block ×7, first 2 shown]
	s_and_saveexec_b64 s[10:11], s[0:1]
	s_cbranch_execz .LBB57_28
; %bb.19:
	v_or_b32_e32 v0, 16, v58
	v_mov_b32_e32 v1, s17
	v_subrev_co_u32_e32 v0, vcc, s20, v0
	v_subb_co_u32_e32 v1, vcc, 0, v1, vcc
	v_add_co_u32_e32 v0, vcc, v0, v16
	v_addc_co_u32_e32 v1, vcc, v1, v17, vcc
	v_cmp_gt_i64_e32 vcc, v[0:1], v[64:65]
	v_cndmask_b32_e32 v1, v65, v1, vcc
	v_cndmask_b32_e32 v0, v64, v0, vcc
	v_mov_b32_e32 v4, s17
	v_sub_co_u32_e32 v5, vcc, s20, v58
	v_not_b32_e32 v3, v16
	v_subbrev_co_u32_e32 v4, vcc, 0, v4, vcc
	v_not_b32_e32 v2, v17
	v_add_co_u32_e32 v3, vcc, v5, v3
	v_addc_co_u32_e32 v2, vcc, v4, v2, vcc
	v_add_co_u32_e32 v4, vcc, v3, v0
	v_lshrrev_b32_e32 v0, 4, v4
	v_add_u32_e32 v0, 1, v0
	v_addc_co_u32_e32 v5, vcc, v2, v1, vcc
	v_and_b32_e32 v0, 3, v0
	v_pk_mov_b32 v[70:71], 0, 0
	v_cmp_ne_u32_e32 vcc, 0, v0
	s_mov_b64 s[18:19], 0
	v_pk_mov_b32 v[78:79], v[70:71], v[70:71] op_sel:[0,1]
	v_pk_mov_b32 v[68:69], v[70:71], v[70:71] op_sel:[0,1]
	;; [unrolled: 1-line block ×9, first 2 shown]
	s_and_saveexec_b64 s[14:15], vcc
	s_cbranch_execz .LBB57_23
; %bb.20:
	v_lshlrev_b64 v[2:3], 3, v[62:63]
	v_mov_b32_e32 v1, s13
	v_add_co_u32_e32 v8, vcc, s12, v2
	v_pk_mov_b32 v[72:73], 0, 0
	v_mov_b32_e32 v7, 0
	v_addc_co_u32_e32 v9, vcc, v1, v3, vcc
	v_lshlrev_b32_e32 v6, 3, v0
	s_movk_i32 s16, 0x1000
	v_mov_b32_e32 v10, s17
	v_mov_b32_e32 v11, s5
	v_pk_mov_b32 v[20:21], v[62:63], v[62:63] op_sel:[0,1]
	v_pk_mov_b32 v[18:19], v[66:67], v[66:67] op_sel:[0,1]
	;; [unrolled: 1-line block ×9, first 2 shown]
.LBB57_21:                              ; =>This Inner Loop Header: Depth=1
	global_load_dwordx2 v[42:43], v[8:9], off
	global_load_dwordx4 v[0:3], v[18:19], off offset:16
	global_load_dwordx4 v[12:15], v[18:19], off
	global_load_dwordx4 v[22:25], v[18:19], off offset:80
	global_load_dwordx4 v[26:29], v[18:19], off offset:64
	;; [unrolled: 1-line block ×5, first 2 shown]
	v_add_co_u32_e64 v20, s[2:3], 16, v20
	v_addc_co_u32_e64 v21, s[2:3], 0, v21, s[2:3]
	v_add_co_u32_e64 v6, s[2:3], -8, v6
	v_addc_co_u32_e64 v7, s[2:3], -1, v7, s[2:3]
	v_cmp_eq_u64_e64 s[2:3], 0, v[6:7]
	s_or_b64 s[18:19], s[2:3], s[18:19]
	s_waitcnt vmcnt(7)
	v_subrev_co_u32_e32 v42, vcc, s20, v42
	v_subb_co_u32_e32 v43, vcc, v43, v10, vcc
	v_lshlrev_b64 v[42:43], 6, v[42:43]
	v_add_co_u32_e32 v46, vcc, s4, v42
	v_addc_co_u32_e32 v47, vcc, v11, v43, vcc
	global_load_dwordx4 v[42:45], v[46:47], off
	s_waitcnt vmcnt(0)
	v_fmac_f64_e32 v[80:81], v[12:13], v[42:43]
	v_fmac_f64_e32 v[72:73], v[14:15], v[42:43]
	;; [unrolled: 1-line block ×8, first 2 shown]
	v_fma_f64 v[80:81], -v[14:15], v[44:45], v[80:81]
	v_fmac_f64_e32 v[72:73], v[12:13], v[44:45]
	global_load_dwordx4 v[12:15], v[18:19], off offset:208
	v_fma_f64 v[78:79], -v[28:29], v[44:45], v[78:79]
	v_fmac_f64_e32 v[70:71], v[26:27], v[44:45]
	global_load_dwordx4 v[26:29], v[18:19], off offset:48
	;; [unrolled: 3-line block ×4, first 2 shown]
	global_load_dwordx4 v[42:45], v[46:47], off offset:16
	s_waitcnt vmcnt(0)
	v_fmac_f64_e32 v[80:81], v[0:1], v[42:43]
	v_fmac_f64_e32 v[72:73], v[2:3], v[42:43]
	;; [unrolled: 1-line block ×8, first 2 shown]
	v_fma_f64 v[80:81], -v[2:3], v[44:45], v[80:81]
	v_fmac_f64_e32 v[72:73], v[0:1], v[44:45]
	global_load_dwordx4 v[0:3], v[18:19], off offset:96
	v_fma_f64 v[78:79], -v[24:25], v[44:45], v[78:79]
	v_fmac_f64_e32 v[70:71], v[22:23], v[44:45]
	global_load_dwordx4 v[22:25], v[18:19], off offset:176
	;; [unrolled: 3-line block ×4, first 2 shown]
	global_load_dwordx4 v[42:45], v[46:47], off offset:32
	s_waitcnt vmcnt(0)
	v_fmac_f64_e32 v[80:81], v[34:35], v[42:43]
	v_fmac_f64_e32 v[72:73], v[36:37], v[42:43]
	;; [unrolled: 1-line block ×4, first 2 shown]
	v_fma_f64 v[80:81], -v[36:37], v[44:45], v[80:81]
	v_fmac_f64_e32 v[72:73], v[34:35], v[44:45]
	global_load_dwordx4 v[34:37], v[18:19], off offset:240
	v_fma_f64 v[78:79], -v[2:3], v[44:45], v[78:79]
	v_fmac_f64_e32 v[70:71], v[0:1], v[44:45]
	global_load_dwordx4 v[0:3], v[46:47], off offset:48
	v_add_co_u32_e32 v18, vcc, s16, v18
	v_fmac_f64_e32 v[76:77], v[30:31], v[42:43]
	v_fmac_f64_e32 v[68:69], v[32:33], v[42:43]
	;; [unrolled: 1-line block ×4, first 2 shown]
	v_addc_co_u32_e32 v19, vcc, 0, v19, vcc
	v_fma_f64 v[32:33], -v[32:33], v[44:45], v[76:77]
	v_fmac_f64_e32 v[68:69], v[30:31], v[44:45]
	v_fma_f64 v[14:15], -v[14:15], v[44:45], v[74:75]
	v_fmac_f64_e32 v[60:61], v[12:13], v[44:45]
	v_add_co_u32_e32 v8, vcc, 0x80, v8
	v_addc_co_u32_e32 v9, vcc, 0, v9, vcc
	s_waitcnt vmcnt(0)
	v_fmac_f64_e32 v[80:81], v[26:27], v[0:1]
	v_fmac_f64_e32 v[72:73], v[28:29], v[0:1]
	;; [unrolled: 1-line block ×8, first 2 shown]
	v_fma_f64 v[80:81], -v[28:29], v[2:3], v[80:81]
	v_fmac_f64_e32 v[72:73], v[26:27], v[2:3]
	v_fma_f64 v[78:79], -v[40:41], v[2:3], v[78:79]
	v_fmac_f64_e32 v[70:71], v[38:39], v[2:3]
	;; [unrolled: 2-line block ×4, first 2 shown]
	s_andn2_b64 exec, exec, s[18:19]
	s_cbranch_execnz .LBB57_21
; %bb.22:
	s_or_b64 exec, exec, s[18:19]
.LBB57_23:
	s_or_b64 exec, exec, s[14:15]
	v_cmp_lt_u64_e32 vcc, 47, v[4:5]
	s_and_saveexec_b64 s[14:15], vcc
	s_cbranch_execz .LBB57_27
; %bb.24:
	v_lshlrev_b64 v[0:1], 3, v[20:21]
	v_mov_b32_e32 v2, s13
	v_add_co_u32_e32 v0, vcc, s12, v0
	v_addc_co_u32_e32 v1, vcc, v1, v2, vcc
	v_add_co_u32_e32 v22, vcc, 0x100, v0
	v_addc_co_u32_e32 v23, vcc, 0, v1, vcc
	s_mov_b64 s[18:19], 0
	v_mov_b32_e32 v28, s17
	v_mov_b32_e32 v29, s5
	s_movk_i32 s16, 0x1000
	s_movk_i32 s21, 0x2000
	;; [unrolled: 1-line block ×3, first 2 shown]
.LBB57_25:                              ; =>This Inner Loop Header: Depth=1
	global_load_dwordx2 v[0:1], v[22:23], off offset:-256
	global_load_dwordx4 v[30:33], v[18:19], off offset:48
	global_load_dwordx4 v[24:27], v[18:19], off offset:32
	;; [unrolled: 1-line block ×3, first 2 shown]
	global_load_dwordx4 v[38:41], v[18:19], off
	s_waitcnt vmcnt(4)
	v_subrev_co_u32_e32 v0, vcc, s20, v0
	v_subb_co_u32_e32 v1, vcc, v1, v28, vcc
	v_lshlrev_b64 v[0:1], 6, v[0:1]
	v_add_co_u32_e32 v42, vcc, s4, v0
	v_addc_co_u32_e32 v43, vcc, v29, v1, vcc
	global_load_dwordx4 v[0:3], v[42:43], off offset:48
	global_load_dwordx4 v[4:7], v[42:43], off offset:32
	;; [unrolled: 1-line block ×3, first 2 shown]
	global_load_dwordx4 v[12:15], v[42:43], off
	v_add_co_u32_e32 v84, vcc, s16, v18
	v_addc_co_u32_e32 v85, vcc, 0, v19, vcc
	s_waitcnt vmcnt(0)
	v_fmac_f64_e32 v[80:81], v[38:39], v[12:13]
	v_fmac_f64_e32 v[72:73], v[40:41], v[12:13]
	v_fma_f64 v[42:43], -v[40:41], v[14:15], v[80:81]
	v_fmac_f64_e32 v[72:73], v[38:39], v[14:15]
	v_fmac_f64_e32 v[42:43], v[34:35], v[8:9]
	v_fmac_f64_e32 v[72:73], v[36:37], v[8:9]
	v_fma_f64 v[38:39], -v[36:37], v[10:11], v[42:43]
	v_fmac_f64_e32 v[72:73], v[34:35], v[10:11]
	v_fmac_f64_e32 v[38:39], v[24:25], v[4:5]
	v_fmac_f64_e32 v[72:73], v[26:27], v[4:5]
	v_fma_f64 v[34:35], -v[26:27], v[6:7], v[38:39]
	v_fmac_f64_e32 v[72:73], v[24:25], v[6:7]
	v_fmac_f64_e32 v[34:35], v[30:31], v[0:1]
	v_fmac_f64_e32 v[72:73], v[32:33], v[0:1]
	v_fma_f64 v[24:25], -v[32:33], v[2:3], v[34:35]
	v_fmac_f64_e32 v[72:73], v[30:31], v[2:3]
	global_load_dwordx4 v[30:33], v[18:19], off offset:112
	global_load_dwordx4 v[34:37], v[18:19], off offset:96
	global_load_dwordx4 v[38:41], v[18:19], off offset:80
	global_load_dwordx4 v[42:45], v[18:19], off offset:64
	s_waitcnt vmcnt(0)
	v_fmac_f64_e32 v[78:79], v[42:43], v[12:13]
	v_fmac_f64_e32 v[70:71], v[44:45], v[12:13]
	v_fma_f64 v[26:27], -v[44:45], v[14:15], v[78:79]
	v_fmac_f64_e32 v[70:71], v[42:43], v[14:15]
	v_fmac_f64_e32 v[26:27], v[38:39], v[8:9]
	v_fmac_f64_e32 v[70:71], v[40:41], v[8:9]
	v_fma_f64 v[26:27], -v[40:41], v[10:11], v[26:27]
	v_fmac_f64_e32 v[70:71], v[38:39], v[10:11]
	v_fmac_f64_e32 v[26:27], v[34:35], v[4:5]
	v_fmac_f64_e32 v[70:71], v[36:37], v[4:5]
	v_fma_f64 v[26:27], -v[36:37], v[6:7], v[26:27]
	v_fmac_f64_e32 v[70:71], v[34:35], v[6:7]
	v_fmac_f64_e32 v[26:27], v[30:31], v[0:1]
	v_fmac_f64_e32 v[70:71], v[32:33], v[0:1]
	v_fma_f64 v[26:27], -v[32:33], v[2:3], v[26:27]
	v_fmac_f64_e32 v[70:71], v[30:31], v[2:3]
	global_load_dwordx4 v[30:33], v[18:19], off offset:176
	global_load_dwordx4 v[34:37], v[18:19], off offset:160
	global_load_dwordx4 v[38:41], v[18:19], off offset:144
	global_load_dwordx4 v[42:45], v[18:19], off offset:128
	;; [unrolled: 21-line block ×3, first 2 shown]
	s_waitcnt vmcnt(0)
	v_fmac_f64_e32 v[74:75], v[42:43], v[12:13]
	v_fmac_f64_e32 v[60:61], v[44:45], v[12:13]
	v_fma_f64 v[74:75], -v[44:45], v[14:15], v[74:75]
	v_fmac_f64_e32 v[60:61], v[42:43], v[14:15]
	v_fmac_f64_e32 v[74:75], v[38:39], v[8:9]
	v_fmac_f64_e32 v[60:61], v[40:41], v[8:9]
	v_fma_f64 v[12:13], -v[40:41], v[10:11], v[74:75]
	v_fmac_f64_e32 v[60:61], v[38:39], v[10:11]
	;; [unrolled: 4-line block ×3, first 2 shown]
	v_fmac_f64_e32 v[8:9], v[30:31], v[0:1]
	v_fmac_f64_e32 v[60:61], v[32:33], v[0:1]
	global_load_dwordx2 v[0:1], v[22:23], off offset:-128
	v_fma_f64 v[82:83], -v[32:33], v[2:3], v[8:9]
	v_fmac_f64_e32 v[60:61], v[30:31], v[2:3]
	s_waitcnt vmcnt(0)
	v_subrev_co_u32_e32 v14, vcc, s20, v0
	v_subb_co_u32_e32 v15, vcc, v1, v28, vcc
	v_add_co_u32_e32 v0, vcc, s21, v18
	v_addc_co_u32_e32 v1, vcc, 0, v19, vcc
	v_lshlrev_b64 v[14:15], 6, v[14:15]
	v_add_co_u32_e32 v14, vcc, s4, v14
	v_addc_co_u32_e32 v15, vcc, v29, v15, vcc
	global_load_dwordx4 v[2:5], v[0:1], off offset:-4096
	global_load_dwordx4 v[6:9], v[84:85], off offset:48
	global_load_dwordx4 v[10:13], v[84:85], off offset:32
	;; [unrolled: 1-line block ×6, first 2 shown]
	global_load_dwordx4 v[74:77], v[14:15], off
	s_waitcnt vmcnt(0)
	v_fmac_f64_e32 v[24:25], v[2:3], v[74:75]
	v_fmac_f64_e32 v[72:73], v[4:5], v[74:75]
	v_fma_f64 v[14:15], -v[4:5], v[76:77], v[24:25]
	v_fmac_f64_e32 v[72:73], v[2:3], v[76:77]
	v_fmac_f64_e32 v[14:15], v[30:31], v[42:43]
	v_fmac_f64_e32 v[72:73], v[32:33], v[42:43]
	v_fma_f64 v[2:3], -v[32:33], v[44:45], v[14:15]
	v_fmac_f64_e32 v[72:73], v[30:31], v[44:45]
	;; [unrolled: 4-line block ×4, first 2 shown]
	global_load_dwordx4 v[6:9], v[84:85], off offset:112
	global_load_dwordx4 v[10:13], v[84:85], off offset:96
	;; [unrolled: 1-line block ×4, first 2 shown]
	s_waitcnt vmcnt(0)
	v_fmac_f64_e32 v[26:27], v[78:79], v[74:75]
	v_fma_f64 v[4:5], -v[80:81], v[76:77], v[26:27]
	v_fmac_f64_e32 v[70:71], v[80:81], v[74:75]
	v_fmac_f64_e32 v[70:71], v[78:79], v[76:77]
	v_fmac_f64_e32 v[4:5], v[30:31], v[42:43]
	v_fma_f64 v[4:5], -v[32:33], v[44:45], v[4:5]
	v_fmac_f64_e32 v[70:71], v[32:33], v[42:43]
	v_fmac_f64_e32 v[70:71], v[30:31], v[44:45]
	;; [unrolled: 4-line block ×3, first 2 shown]
	v_fmac_f64_e32 v[4:5], v[6:7], v[34:35]
	v_fma_f64 v[4:5], -v[8:9], v[36:37], v[4:5]
	v_fmac_f64_e32 v[70:71], v[8:9], v[34:35]
	global_load_dwordx4 v[8:11], v[84:85], off offset:176
	global_load_dwordx4 v[12:15], v[84:85], off offset:160
	;; [unrolled: 1-line block ×4, first 2 shown]
	v_fmac_f64_e32 v[70:71], v[6:7], v[36:37]
	s_waitcnt vmcnt(0)
	v_fmac_f64_e32 v[46:47], v[30:31], v[74:75]
	v_fma_f64 v[6:7], -v[32:33], v[76:77], v[46:47]
	v_fmac_f64_e32 v[68:69], v[32:33], v[74:75]
	v_fmac_f64_e32 v[68:69], v[30:31], v[76:77]
	v_fmac_f64_e32 v[6:7], v[24:25], v[42:43]
	v_fma_f64 v[6:7], -v[26:27], v[44:45], v[6:7]
	v_fmac_f64_e32 v[68:69], v[26:27], v[42:43]
	v_fmac_f64_e32 v[68:69], v[24:25], v[44:45]
	;; [unrolled: 4-line block ×3, first 2 shown]
	v_fmac_f64_e32 v[6:7], v[8:9], v[34:35]
	v_fma_f64 v[6:7], -v[10:11], v[36:37], v[6:7]
	v_fmac_f64_e32 v[68:69], v[10:11], v[34:35]
	global_load_dwordx4 v[10:13], v[84:85], off offset:240
	global_load_dwordx4 v[24:27], v[84:85], off offset:224
	global_load_dwordx4 v[30:33], v[84:85], off offset:208
	global_load_dwordx4 v[78:81], v[84:85], off offset:192
	v_fmac_f64_e32 v[68:69], v[8:9], v[36:37]
	s_waitcnt vmcnt(0)
	v_fmac_f64_e32 v[60:61], v[80:81], v[74:75]
	v_fmac_f64_e32 v[82:83], v[78:79], v[74:75]
	v_fmac_f64_e32 v[60:61], v[78:79], v[76:77]
	v_fma_f64 v[8:9], -v[80:81], v[76:77], v[82:83]
	v_fmac_f64_e32 v[60:61], v[32:33], v[42:43]
	v_fmac_f64_e32 v[8:9], v[30:31], v[42:43]
	v_fmac_f64_e32 v[60:61], v[30:31], v[44:45]
	v_fma_f64 v[8:9], -v[32:33], v[44:45], v[8:9]
	;; [unrolled: 4-line block ×3, first 2 shown]
	v_fmac_f64_e32 v[60:61], v[12:13], v[34:35]
	v_fmac_f64_e32 v[8:9], v[10:11], v[34:35]
	;; [unrolled: 1-line block ×3, first 2 shown]
	global_load_dwordx2 v[10:11], v[22:23], off
	v_fma_f64 v[8:9], -v[12:13], v[36:37], v[8:9]
	s_waitcnt vmcnt(0)
	v_subrev_co_u32_e32 v14, vcc, s20, v10
	v_subb_co_u32_e32 v15, vcc, v11, v28, vcc
	v_lshlrev_b64 v[14:15], 6, v[14:15]
	v_add_co_u32_e32 v14, vcc, s4, v14
	v_addc_co_u32_e32 v15, vcc, v29, v15, vcc
	global_load_dwordx4 v[10:13], v[0:1], off
	global_load_dwordx4 v[24:27], v[0:1], off offset:48
	global_load_dwordx4 v[30:33], v[0:1], off offset:32
	;; [unrolled: 1-line block ×6, first 2 shown]
	global_load_dwordx4 v[78:81], v[14:15], off
	s_waitcnt vmcnt(0)
	v_fmac_f64_e32 v[2:3], v[10:11], v[78:79]
	v_fmac_f64_e32 v[72:73], v[12:13], v[78:79]
	v_fma_f64 v[2:3], -v[12:13], v[80:81], v[2:3]
	v_fmac_f64_e32 v[72:73], v[10:11], v[80:81]
	v_fmac_f64_e32 v[2:3], v[34:35], v[74:75]
	v_fmac_f64_e32 v[72:73], v[36:37], v[74:75]
	v_fma_f64 v[2:3], -v[36:37], v[76:77], v[2:3]
	v_fmac_f64_e32 v[72:73], v[34:35], v[76:77]
	v_fmac_f64_e32 v[2:3], v[30:31], v[42:43]
	v_fmac_f64_e32 v[72:73], v[32:33], v[42:43]
	v_fma_f64 v[2:3], -v[32:33], v[44:45], v[2:3]
	v_fmac_f64_e32 v[72:73], v[30:31], v[44:45]
	v_fmac_f64_e32 v[2:3], v[24:25], v[38:39]
	v_fmac_f64_e32 v[72:73], v[26:27], v[38:39]
	v_fma_f64 v[2:3], -v[26:27], v[40:41], v[2:3]
	v_fmac_f64_e32 v[72:73], v[24:25], v[40:41]
	global_load_dwordx4 v[10:13], v[0:1], off offset:112
	global_load_dwordx4 v[24:27], v[0:1], off offset:96
	global_load_dwordx4 v[30:33], v[0:1], off offset:80
	global_load_dwordx4 v[34:37], v[0:1], off offset:64
	s_waitcnt vmcnt(0)
	v_fmac_f64_e32 v[4:5], v[34:35], v[78:79]
	v_fmac_f64_e32 v[70:71], v[36:37], v[78:79]
	v_fma_f64 v[4:5], -v[36:37], v[80:81], v[4:5]
	v_fmac_f64_e32 v[70:71], v[34:35], v[80:81]
	v_fmac_f64_e32 v[4:5], v[30:31], v[74:75]
	v_fmac_f64_e32 v[70:71], v[32:33], v[74:75]
	v_fma_f64 v[4:5], -v[32:33], v[76:77], v[4:5]
	v_fmac_f64_e32 v[70:71], v[30:31], v[76:77]
	v_fmac_f64_e32 v[4:5], v[24:25], v[42:43]
	v_fmac_f64_e32 v[70:71], v[26:27], v[42:43]
	v_fma_f64 v[4:5], -v[26:27], v[44:45], v[4:5]
	v_fmac_f64_e32 v[70:71], v[24:25], v[44:45]
	v_fmac_f64_e32 v[4:5], v[10:11], v[38:39]
	v_fmac_f64_e32 v[70:71], v[12:13], v[38:39]
	v_fma_f64 v[4:5], -v[12:13], v[40:41], v[4:5]
	v_fmac_f64_e32 v[70:71], v[10:11], v[40:41]
	global_load_dwordx4 v[10:13], v[0:1], off offset:176
	global_load_dwordx4 v[24:27], v[0:1], off offset:160
	global_load_dwordx4 v[30:33], v[0:1], off offset:144
	global_load_dwordx4 v[34:37], v[0:1], off offset:128
	;; [unrolled: 21-line block ×3, first 2 shown]
	s_waitcnt vmcnt(0)
	v_fmac_f64_e32 v[8:9], v[34:35], v[78:79]
	v_fma_f64 v[0:1], -v[36:37], v[80:81], v[8:9]
	global_load_dwordx2 v[8:9], v[22:23], off offset:128
	v_fmac_f64_e32 v[60:61], v[36:37], v[78:79]
	v_fmac_f64_e32 v[60:61], v[34:35], v[80:81]
	;; [unrolled: 1-line block ×4, first 2 shown]
	v_fma_f64 v[0:1], -v[32:33], v[76:77], v[0:1]
	v_fmac_f64_e32 v[60:61], v[30:31], v[76:77]
	v_fmac_f64_e32 v[0:1], v[24:25], v[42:43]
	;; [unrolled: 1-line block ×3, first 2 shown]
	v_fma_f64 v[0:1], -v[26:27], v[44:45], v[0:1]
	v_fmac_f64_e32 v[60:61], v[24:25], v[44:45]
	v_fmac_f64_e32 v[0:1], v[10:11], v[38:39]
	;; [unrolled: 1-line block ×3, first 2 shown]
	v_fma_f64 v[0:1], -v[12:13], v[40:41], v[0:1]
	v_fmac_f64_e32 v[60:61], v[10:11], v[40:41]
	s_waitcnt vmcnt(0)
	v_subrev_co_u32_e32 v34, vcc, s20, v8
	v_subb_co_u32_e32 v35, vcc, v9, v28, vcc
	v_add_co_u32_e32 v46, vcc, s22, v18
	v_addc_co_u32_e32 v47, vcc, 0, v19, vcc
	v_lshlrev_b64 v[34:35], 6, v[34:35]
	v_add_co_u32_e32 v74, vcc, s4, v34
	v_addc_co_u32_e32 v75, vcc, v29, v35, vcc
	global_load_dwordx4 v[8:11], v[46:47], off
	global_load_dwordx4 v[12:15], v[46:47], off offset:48
	global_load_dwordx4 v[24:27], v[46:47], off offset:32
	;; [unrolled: 1-line block ×6, first 2 shown]
	global_load_dwordx4 v[82:85], v[74:75], off
	v_add_co_u32_e32 v20, vcc, 64, v20
	v_addc_co_u32_e32 v21, vcc, 0, v21, vcc
	v_add_co_u32_e32 v22, vcc, 0x200, v22
	v_addc_co_u32_e32 v23, vcc, 0, v23, vcc
	v_cmp_ge_i64_e64 s[2:3], v[20:21], v[64:65]
	v_add_co_u32_e32 v18, vcc, 0x4000, v18
	v_addc_co_u32_e32 v19, vcc, 0, v19, vcc
	s_or_b64 s[18:19], s[2:3], s[18:19]
	s_waitcnt vmcnt(0)
	v_fmac_f64_e32 v[2:3], v[8:9], v[82:83]
	v_fmac_f64_e32 v[72:73], v[10:11], v[82:83]
	v_fma_f64 v[2:3], -v[10:11], v[84:85], v[2:3]
	v_fmac_f64_e32 v[72:73], v[8:9], v[84:85]
	v_fmac_f64_e32 v[2:3], v[30:31], v[42:43]
	v_fmac_f64_e32 v[72:73], v[32:33], v[42:43]
	v_fma_f64 v[2:3], -v[32:33], v[44:45], v[2:3]
	v_fmac_f64_e32 v[72:73], v[30:31], v[44:45]
	v_fmac_f64_e32 v[2:3], v[24:25], v[38:39]
	v_fmac_f64_e32 v[72:73], v[26:27], v[38:39]
	v_fma_f64 v[2:3], -v[26:27], v[40:41], v[2:3]
	v_fmac_f64_e32 v[72:73], v[24:25], v[40:41]
	v_fmac_f64_e32 v[2:3], v[12:13], v[34:35]
	v_fmac_f64_e32 v[72:73], v[14:15], v[34:35]
	v_fma_f64 v[80:81], -v[14:15], v[36:37], v[2:3]
	v_fmac_f64_e32 v[72:73], v[12:13], v[36:37]
	global_load_dwordx4 v[8:11], v[46:47], off offset:112
	global_load_dwordx4 v[12:15], v[46:47], off offset:96
	global_load_dwordx4 v[24:27], v[46:47], off offset:80
	global_load_dwordx4 v[30:33], v[46:47], off offset:64
	s_waitcnt vmcnt(0)
	v_fmac_f64_e32 v[4:5], v[30:31], v[82:83]
	v_fmac_f64_e32 v[70:71], v[32:33], v[82:83]
	v_fma_f64 v[2:3], -v[32:33], v[84:85], v[4:5]
	v_fmac_f64_e32 v[70:71], v[30:31], v[84:85]
	v_fmac_f64_e32 v[2:3], v[24:25], v[42:43]
	v_fmac_f64_e32 v[70:71], v[26:27], v[42:43]
	v_fma_f64 v[2:3], -v[26:27], v[44:45], v[2:3]
	v_fmac_f64_e32 v[70:71], v[24:25], v[44:45]
	v_fmac_f64_e32 v[2:3], v[12:13], v[38:39]
	v_fmac_f64_e32 v[70:71], v[14:15], v[38:39]
	v_fma_f64 v[2:3], -v[14:15], v[40:41], v[2:3]
	v_fmac_f64_e32 v[70:71], v[12:13], v[40:41]
	v_fmac_f64_e32 v[2:3], v[8:9], v[34:35]
	v_fmac_f64_e32 v[70:71], v[10:11], v[34:35]
	v_fma_f64 v[78:79], -v[10:11], v[36:37], v[2:3]
	v_fmac_f64_e32 v[70:71], v[8:9], v[36:37]
	global_load_dwordx4 v[2:5], v[46:47], off offset:176
	global_load_dwordx4 v[8:11], v[46:47], off offset:160
	global_load_dwordx4 v[12:15], v[46:47], off offset:144
	global_load_dwordx4 v[24:27], v[46:47], off offset:128
	s_waitcnt vmcnt(0)
	v_fmac_f64_e32 v[6:7], v[24:25], v[82:83]
	v_fmac_f64_e32 v[68:69], v[26:27], v[82:83]
	v_fma_f64 v[6:7], -v[26:27], v[84:85], v[6:7]
	v_fmac_f64_e32 v[68:69], v[24:25], v[84:85]
	v_fmac_f64_e32 v[6:7], v[12:13], v[42:43]
	v_fmac_f64_e32 v[68:69], v[14:15], v[42:43]
	v_fma_f64 v[6:7], -v[14:15], v[44:45], v[6:7]
	v_fmac_f64_e32 v[68:69], v[12:13], v[44:45]
	v_fmac_f64_e32 v[6:7], v[8:9], v[38:39]
	v_fmac_f64_e32 v[68:69], v[10:11], v[38:39]
	v_fma_f64 v[6:7], -v[10:11], v[40:41], v[6:7]
	v_fmac_f64_e32 v[68:69], v[8:9], v[40:41]
	v_fmac_f64_e32 v[6:7], v[2:3], v[34:35]
	v_fmac_f64_e32 v[68:69], v[4:5], v[34:35]
	v_fma_f64 v[76:77], -v[4:5], v[36:37], v[6:7]
	v_fmac_f64_e32 v[68:69], v[2:3], v[36:37]
	global_load_dwordx4 v[2:5], v[46:47], off offset:240
	global_load_dwordx4 v[6:9], v[46:47], off offset:224
	global_load_dwordx4 v[10:13], v[46:47], off offset:208
	global_load_dwordx4 v[24:27], v[46:47], off offset:192
	s_waitcnt vmcnt(0)
	v_fmac_f64_e32 v[0:1], v[24:25], v[82:83]
	v_fmac_f64_e32 v[60:61], v[26:27], v[82:83]
	v_fma_f64 v[0:1], -v[26:27], v[84:85], v[0:1]
	v_fmac_f64_e32 v[60:61], v[24:25], v[84:85]
	v_fmac_f64_e32 v[0:1], v[10:11], v[42:43]
	v_fmac_f64_e32 v[60:61], v[12:13], v[42:43]
	v_fma_f64 v[0:1], -v[12:13], v[44:45], v[0:1]
	v_fmac_f64_e32 v[60:61], v[10:11], v[44:45]
	;; [unrolled: 4-line block ×4, first 2 shown]
	s_andn2_b64 exec, exec, s[18:19]
	s_cbranch_execnz .LBB57_25
; %bb.26:
	s_or_b64 exec, exec, s[18:19]
.LBB57_27:
	s_or_b64 exec, exec, s[14:15]
.LBB57_28:
	s_or_b64 exec, exec, s[10:11]
	s_andn2_b64 vcc, exec, s[8:9]
	s_cbranch_vccz .LBB57_30
	s_branch .LBB57_41
.LBB57_29:
                                        ; implicit-def: $vgpr72_vgpr73
                                        ; implicit-def: $vgpr80_vgpr81
                                        ; implicit-def: $vgpr74_vgpr75
                                        ; implicit-def: $vgpr60_vgpr61
                                        ; implicit-def: $vgpr76_vgpr77
                                        ; implicit-def: $vgpr68_vgpr69
                                        ; implicit-def: $vgpr78_vgpr79
                                        ; implicit-def: $vgpr70_vgpr71
.LBB57_30:
	v_pk_mov_b32 v[72:73], 0, 0
	v_pk_mov_b32 v[80:81], v[72:73], v[72:73] op_sel:[0,1]
	v_pk_mov_b32 v[74:75], v[72:73], v[72:73] op_sel:[0,1]
	;; [unrolled: 1-line block ×7, first 2 shown]
	s_and_saveexec_b64 s[2:3], s[0:1]
	s_cbranch_execz .LBB57_40
; %bb.31:
	v_or_b32_e32 v0, 16, v58
	v_mov_b32_e32 v1, s17
	v_subrev_co_u32_e32 v0, vcc, s20, v0
	v_subb_co_u32_e32 v1, vcc, 0, v1, vcc
	v_add_co_u32_e32 v0, vcc, v0, v16
	v_addc_co_u32_e32 v1, vcc, v1, v17, vcc
	v_cmp_gt_i64_e32 vcc, v[0:1], v[64:65]
	v_cndmask_b32_e32 v1, v65, v1, vcc
	v_cndmask_b32_e32 v0, v64, v0, vcc
	v_mov_b32_e32 v4, s17
	v_sub_co_u32_e32 v5, vcc, s20, v58
	v_not_b32_e32 v3, v16
	v_subbrev_co_u32_e32 v4, vcc, 0, v4, vcc
	v_not_b32_e32 v2, v17
	v_add_co_u32_e32 v3, vcc, v5, v3
	v_addc_co_u32_e32 v2, vcc, v4, v2, vcc
	v_add_co_u32_e32 v82, vcc, v3, v0
	v_lshrrev_b32_e32 v0, 4, v82
	v_add_u32_e32 v0, 1, v0
	v_addc_co_u32_e32 v83, vcc, v2, v1, vcc
	v_and_b32_e32 v0, 3, v0
	v_pk_mov_b32 v[70:71], 0, 0
	v_cmp_ne_u32_e32 vcc, 0, v0
	s_mov_b64 s[10:11], 0
	v_pk_mov_b32 v[78:79], v[70:71], v[70:71] op_sel:[0,1]
	v_pk_mov_b32 v[68:69], v[70:71], v[70:71] op_sel:[0,1]
	;; [unrolled: 1-line block ×7, first 2 shown]
	s_and_saveexec_b64 s[8:9], vcc
	s_cbranch_execz .LBB57_35
; %bb.32:
	v_lshlrev_b64 v[2:3], 3, v[62:63]
	v_mov_b32_e32 v1, s13
	v_add_co_u32_e32 v86, vcc, s12, v2
	v_pk_mov_b32 v[72:73], 0, 0
	v_mov_b32_e32 v85, 0
	v_addc_co_u32_e32 v87, vcc, v1, v3, vcc
	v_lshlrev_b32_e32 v84, 3, v0
	s_movk_i32 s14, 0x1000
	v_mov_b32_e32 v59, s17
	v_mov_b32_e32 v90, s5
	v_pk_mov_b32 v[80:81], v[72:73], v[72:73] op_sel:[0,1]
	v_pk_mov_b32 v[74:75], v[72:73], v[72:73] op_sel:[0,1]
	v_pk_mov_b32 v[60:61], v[72:73], v[72:73] op_sel:[0,1]
	v_pk_mov_b32 v[76:77], v[72:73], v[72:73] op_sel:[0,1]
	v_pk_mov_b32 v[68:69], v[72:73], v[72:73] op_sel:[0,1]
	v_pk_mov_b32 v[78:79], v[72:73], v[72:73] op_sel:[0,1]
	v_pk_mov_b32 v[70:71], v[72:73], v[72:73] op_sel:[0,1]
.LBB57_33:                              ; =>This Inner Loop Header: Depth=1
	global_load_dwordx2 v[88:89], v[86:87], off
	global_load_dwordx4 v[0:3], v[66:67], off offset:48
	global_load_dwordx4 v[4:7], v[66:67], off offset:32
	;; [unrolled: 1-line block ×3, first 2 shown]
	global_load_dwordx4 v[12:15], v[66:67], off
	global_load_dwordx4 v[16:19], v[66:67], off offset:112
	global_load_dwordx4 v[20:23], v[66:67], off offset:96
	;; [unrolled: 1-line block ×12, first 2 shown]
	v_add_co_u32_e32 v66, vcc, s14, v66
	s_mov_b64 s[0:1], vcc
	v_addc_co_u32_e64 v67, s[0:1], 0, v67, s[0:1]
	s_waitcnt vmcnt(16)
	v_subrev_co_u32_e32 v88, vcc, s20, v88
	v_subb_co_u32_e32 v89, vcc, v89, v59, vcc
	v_lshlrev_b64 v[88:89], 6, v[88:89]
	v_add_co_u32_e32 v88, vcc, s4, v88
	v_addc_co_u32_e32 v89, vcc, v90, v89, vcc
	global_load_dwordx4 v[108:111], v[88:89], off
	global_load_dwordx4 v[112:115], v[88:89], off offset:16
	global_load_dwordx4 v[116:119], v[88:89], off offset:32
	;; [unrolled: 1-line block ×3, first 2 shown]
	v_add_co_u32_e32 v62, vcc, 16, v62
	v_addc_co_u32_e32 v63, vcc, 0, v63, vcc
	v_add_co_u32_e32 v84, vcc, -8, v84
	v_addc_co_u32_e32 v85, vcc, -1, v85, vcc
	v_add_co_u32_e32 v86, vcc, 0x80, v86
	v_cmp_eq_u64_e64 s[0:1], 0, v[84:85]
	v_addc_co_u32_e32 v87, vcc, 0, v87, vcc
	s_or_b64 s[10:11], s[0:1], s[10:11]
	s_waitcnt vmcnt(3)
	v_fmac_f64_e32 v[80:81], v[12:13], v[108:109]
	v_fmac_f64_e32 v[72:73], v[14:15], v[108:109]
	v_fmac_f64_e32 v[78:79], v[8:9], v[108:109]
	v_fmac_f64_e32 v[70:71], v[10:11], v[108:109]
	v_fmac_f64_e32 v[76:77], v[4:5], v[108:109]
	v_fmac_f64_e32 v[68:69], v[6:7], v[108:109]
	v_fmac_f64_e32 v[74:75], v[0:1], v[108:109]
	v_fmac_f64_e32 v[60:61], v[2:3], v[108:109]
	v_fma_f64 v[14:15], -v[14:15], v[110:111], v[80:81]
	v_fmac_f64_e32 v[72:73], v[12:13], v[110:111]
	v_fma_f64 v[10:11], -v[10:11], v[110:111], v[78:79]
	v_fmac_f64_e32 v[70:71], v[8:9], v[110:111]
	v_fma_f64 v[6:7], -v[6:7], v[110:111], v[76:77]
	v_fmac_f64_e32 v[68:69], v[4:5], v[110:111]
	v_fma_f64 v[2:3], -v[2:3], v[110:111], v[74:75]
	v_fmac_f64_e32 v[60:61], v[0:1], v[110:111]
	s_waitcnt vmcnt(2)
	v_fmac_f64_e32 v[14:15], v[28:29], v[112:113]
	v_fmac_f64_e32 v[72:73], v[30:31], v[112:113]
	v_fmac_f64_e32 v[10:11], v[24:25], v[112:113]
	v_fmac_f64_e32 v[70:71], v[26:27], v[112:113]
	v_fmac_f64_e32 v[6:7], v[20:21], v[112:113]
	v_fmac_f64_e32 v[68:69], v[22:23], v[112:113]
	v_fmac_f64_e32 v[2:3], v[16:17], v[112:113]
	v_fmac_f64_e32 v[60:61], v[18:19], v[112:113]
	v_fma_f64 v[0:1], -v[30:31], v[114:115], v[14:15]
	v_fmac_f64_e32 v[72:73], v[28:29], v[114:115]
	v_fma_f64 v[4:5], -v[26:27], v[114:115], v[10:11]
	v_fmac_f64_e32 v[70:71], v[24:25], v[114:115]
	v_fma_f64 v[6:7], -v[22:23], v[114:115], v[6:7]
	v_fmac_f64_e32 v[68:69], v[20:21], v[114:115]
	v_fma_f64 v[2:3], -v[18:19], v[114:115], v[2:3]
	v_fmac_f64_e32 v[60:61], v[16:17], v[114:115]
	;; [unrolled: 17-line block ×4, first 2 shown]
	s_andn2_b64 exec, exec, s[10:11]
	s_cbranch_execnz .LBB57_33
; %bb.34:
	s_or_b64 exec, exec, s[10:11]
.LBB57_35:
	s_or_b64 exec, exec, s[8:9]
	v_cmp_lt_u64_e32 vcc, 47, v[82:83]
	s_and_saveexec_b64 s[8:9], vcc
	s_cbranch_execz .LBB57_39
; %bb.36:
	v_lshlrev_b64 v[0:1], 3, v[62:63]
	v_mov_b32_e32 v2, s13
	v_add_co_u32_e32 v0, vcc, s12, v0
	v_addc_co_u32_e32 v1, vcc, v1, v2, vcc
	v_add_co_u32_e32 v8, vcc, 0x100, v0
	v_addc_co_u32_e32 v9, vcc, 0, v1, vcc
	s_mov_b64 s[10:11], 0
	v_mov_b32_e32 v12, s17
	v_mov_b32_e32 v13, s5
	s_movk_i32 s5, 0x1000
	s_movk_i32 s12, 0x2000
	;; [unrolled: 1-line block ×3, first 2 shown]
.LBB57_37:                              ; =>This Inner Loop Header: Depth=1
	global_load_dwordx2 v[0:1], v[8:9], off offset:-256
	global_load_dwordx4 v[14:17], v[66:67], off offset:48
	global_load_dwordx4 v[18:21], v[66:67], off offset:32
	;; [unrolled: 1-line block ×3, first 2 shown]
	global_load_dwordx4 v[26:29], v[66:67], off
	s_waitcnt vmcnt(4)
	v_subrev_co_u32_e32 v0, vcc, s20, v0
	v_subb_co_u32_e32 v1, vcc, v1, v12, vcc
	v_lshlrev_b64 v[0:1], 6, v[0:1]
	v_add_co_u32_e32 v10, vcc, s4, v0
	v_addc_co_u32_e32 v11, vcc, v13, v1, vcc
	global_load_dwordx4 v[0:3], v[10:11], off offset:48
	global_load_dwordx4 v[4:7], v[10:11], off offset:32
	global_load_dwordx4 v[30:33], v[10:11], off offset:16
	global_load_dwordx4 v[34:37], v[10:11], off
	s_waitcnt vmcnt(0)
	v_fmac_f64_e32 v[80:81], v[26:27], v[34:35]
	v_fmac_f64_e32 v[72:73], v[28:29], v[34:35]
	v_fmac_f64_e32 v[78:79], v[22:23], v[34:35]
	v_fmac_f64_e32 v[70:71], v[24:25], v[34:35]
	v_fmac_f64_e32 v[76:77], v[18:19], v[34:35]
	v_fmac_f64_e32 v[68:69], v[20:21], v[34:35]
	v_fmac_f64_e32 v[74:75], v[14:15], v[34:35]
	v_fmac_f64_e32 v[60:61], v[16:17], v[34:35]
	v_fma_f64 v[10:11], -v[28:29], v[36:37], v[80:81]
	v_fmac_f64_e32 v[72:73], v[26:27], v[36:37]
	v_fma_f64 v[38:39], -v[24:25], v[36:37], v[78:79]
	v_fmac_f64_e32 v[70:71], v[22:23], v[36:37]
	;; [unrolled: 2-line block ×4, first 2 shown]
	global_load_dwordx4 v[14:17], v[66:67], off offset:112
	global_load_dwordx4 v[18:21], v[66:67], off offset:96
	;; [unrolled: 1-line block ×4, first 2 shown]
	v_add_co_u32_e32 v74, vcc, s5, v66
	v_addc_co_u32_e32 v75, vcc, 0, v67, vcc
	s_waitcnt vmcnt(3)
	v_fmac_f64_e32 v[42:43], v[14:15], v[30:31]
	s_waitcnt vmcnt(2)
	v_fmac_f64_e32 v[40:41], v[18:19], v[30:31]
	;; [unrolled: 2-line block ×4, first 2 shown]
	v_fmac_f64_e32 v[72:73], v[28:29], v[30:31]
	v_fmac_f64_e32 v[70:71], v[24:25], v[30:31]
	;; [unrolled: 1-line block ×4, first 2 shown]
	v_fma_f64 v[10:11], -v[28:29], v[32:33], v[10:11]
	v_fmac_f64_e32 v[72:73], v[26:27], v[32:33]
	v_fma_f64 v[34:35], -v[24:25], v[32:33], v[38:39]
	v_fmac_f64_e32 v[70:71], v[22:23], v[32:33]
	;; [unrolled: 2-line block ×4, first 2 shown]
	global_load_dwordx4 v[14:17], v[66:67], off offset:176
	global_load_dwordx4 v[18:21], v[66:67], off offset:160
	global_load_dwordx4 v[22:25], v[66:67], off offset:144
	global_load_dwordx4 v[26:29], v[66:67], off offset:128
	s_waitcnt vmcnt(3)
	v_fmac_f64_e32 v[38:39], v[14:15], v[4:5]
	s_waitcnt vmcnt(2)
	v_fmac_f64_e32 v[36:37], v[18:19], v[4:5]
	;; [unrolled: 2-line block ×4, first 2 shown]
	v_fmac_f64_e32 v[72:73], v[28:29], v[4:5]
	v_fmac_f64_e32 v[70:71], v[24:25], v[4:5]
	;; [unrolled: 1-line block ×4, first 2 shown]
	v_fma_f64 v[10:11], -v[28:29], v[6:7], v[10:11]
	v_fmac_f64_e32 v[72:73], v[26:27], v[6:7]
	v_fma_f64 v[26:27], -v[24:25], v[6:7], v[34:35]
	v_fmac_f64_e32 v[70:71], v[22:23], v[6:7]
	;; [unrolled: 2-line block ×4, first 2 shown]
	global_load_dwordx4 v[4:7], v[66:67], off offset:240
	global_load_dwordx4 v[14:17], v[66:67], off offset:224
	;; [unrolled: 1-line block ×4, first 2 shown]
	s_waitcnt vmcnt(3)
	v_fmac_f64_e32 v[30:31], v[4:5], v[0:1]
	s_waitcnt vmcnt(2)
	v_fmac_f64_e32 v[28:29], v[14:15], v[0:1]
	;; [unrolled: 2-line block ×4, first 2 shown]
	v_fmac_f64_e32 v[72:73], v[24:25], v[0:1]
	v_fmac_f64_e32 v[70:71], v[20:21], v[0:1]
	;; [unrolled: 1-line block ×4, first 2 shown]
	global_load_dwordx2 v[0:1], v[8:9], off offset:-128
	v_fma_f64 v[46:47], -v[6:7], v[2:3], v[30:31]
	v_fma_f64 v[10:11], -v[24:25], v[2:3], v[10:11]
	v_fmac_f64_e32 v[72:73], v[22:23], v[2:3]
	v_fma_f64 v[42:43], -v[20:21], v[2:3], v[26:27]
	v_fmac_f64_e32 v[70:71], v[18:19], v[2:3]
	;; [unrolled: 2-line block ×3, first 2 shown]
	v_fmac_f64_e32 v[60:61], v[4:5], v[2:3]
	s_waitcnt vmcnt(0)
	v_subrev_co_u32_e32 v6, vcc, s20, v0
	v_subb_co_u32_e32 v7, vcc, v1, v12, vcc
	v_add_co_u32_e32 v0, vcc, s12, v66
	v_addc_co_u32_e32 v1, vcc, 0, v67, vcc
	v_lshlrev_b64 v[6:7], 6, v[6:7]
	v_add_co_u32_e32 v6, vcc, s4, v6
	v_addc_co_u32_e32 v7, vcc, v13, v7, vcc
	global_load_dwordx4 v[2:5], v[0:1], off offset:-4096
	global_load_dwordx4 v[14:17], v[74:75], off offset:48
	global_load_dwordx4 v[18:21], v[74:75], off offset:32
	;; [unrolled: 1-line block ×6, first 2 shown]
	global_load_dwordx4 v[38:41], v[6:7], off
	s_waitcnt vmcnt(0)
	v_fmac_f64_e32 v[10:11], v[2:3], v[38:39]
	v_fmac_f64_e32 v[72:73], v[4:5], v[38:39]
	;; [unrolled: 1-line block ×8, first 2 shown]
	v_fma_f64 v[6:7], -v[4:5], v[40:41], v[10:11]
	v_fmac_f64_e32 v[72:73], v[2:3], v[40:41]
	v_fma_f64 v[10:11], -v[24:25], v[40:41], v[42:43]
	v_fmac_f64_e32 v[70:71], v[22:23], v[40:41]
	;; [unrolled: 2-line block ×4, first 2 shown]
	global_load_dwordx4 v[2:5], v[74:75], off offset:112
	global_load_dwordx4 v[14:17], v[74:75], off offset:96
	;; [unrolled: 1-line block ×4, first 2 shown]
	s_waitcnt vmcnt(3)
	v_fmac_f64_e32 v[44:45], v[2:3], v[34:35]
	s_waitcnt vmcnt(2)
	v_fmac_f64_e32 v[42:43], v[14:15], v[34:35]
	;; [unrolled: 2-line block ×4, first 2 shown]
	v_fmac_f64_e32 v[72:73], v[24:25], v[34:35]
	v_fmac_f64_e32 v[70:71], v[20:21], v[34:35]
	;; [unrolled: 1-line block ×4, first 2 shown]
	v_fma_f64 v[6:7], -v[24:25], v[36:37], v[6:7]
	v_fmac_f64_e32 v[72:73], v[22:23], v[36:37]
	v_fma_f64 v[10:11], -v[20:21], v[36:37], v[10:11]
	v_fmac_f64_e32 v[70:71], v[18:19], v[36:37]
	v_fma_f64 v[38:39], -v[16:17], v[36:37], v[42:43]
	v_fmac_f64_e32 v[68:69], v[14:15], v[36:37]
	v_fma_f64 v[40:41], -v[4:5], v[36:37], v[44:45]
	v_fmac_f64_e32 v[60:61], v[2:3], v[36:37]
	global_load_dwordx4 v[2:5], v[74:75], off offset:176
	global_load_dwordx4 v[14:17], v[74:75], off offset:160
	;; [unrolled: 1-line block ×4, first 2 shown]
	s_waitcnt vmcnt(3)
	v_fmac_f64_e32 v[40:41], v[2:3], v[30:31]
	s_waitcnt vmcnt(2)
	v_fmac_f64_e32 v[38:39], v[14:15], v[30:31]
	;; [unrolled: 2-line block ×4, first 2 shown]
	v_fmac_f64_e32 v[72:73], v[24:25], v[30:31]
	v_fmac_f64_e32 v[70:71], v[20:21], v[30:31]
	;; [unrolled: 1-line block ×3, first 2 shown]
	v_fma_f64 v[34:35], -v[24:25], v[32:33], v[6:7]
	v_fmac_f64_e32 v[72:73], v[22:23], v[32:33]
	v_fma_f64 v[10:11], -v[20:21], v[32:33], v[10:11]
	v_fmac_f64_e32 v[70:71], v[18:19], v[32:33]
	;; [unrolled: 2-line block ×4, first 2 shown]
	global_load_dwordx4 v[14:17], v[74:75], off offset:240
	global_load_dwordx4 v[18:21], v[74:75], off offset:224
	;; [unrolled: 1-line block ×4, first 2 shown]
	v_fmac_f64_e32 v[60:61], v[2:3], v[32:33]
	s_waitcnt vmcnt(3)
	v_fmac_f64_e32 v[60:61], v[16:17], v[26:27]
	v_fmac_f64_e32 v[38:39], v[14:15], v[26:27]
	;; [unrolled: 1-line block ×3, first 2 shown]
	global_load_dwordx2 v[14:15], v[8:9], off
	s_waitcnt vmcnt(1)
	v_fmac_f64_e32 v[34:35], v[4:5], v[26:27]
	v_fmac_f64_e32 v[72:73], v[6:7], v[26:27]
	v_fmac_f64_e32 v[10:11], v[22:23], v[26:27]
	v_fmac_f64_e32 v[70:71], v[24:25], v[26:27]
	v_fmac_f64_e32 v[36:37], v[18:19], v[26:27]
	v_fmac_f64_e32 v[68:69], v[20:21], v[26:27]
	v_fma_f64 v[2:3], -v[6:7], v[28:29], v[34:35]
	v_fmac_f64_e32 v[72:73], v[4:5], v[28:29]
	v_fma_f64 v[4:5], -v[24:25], v[28:29], v[10:11]
	v_fmac_f64_e32 v[70:71], v[22:23], v[28:29]
	;; [unrolled: 2-line block ×3, first 2 shown]
	v_fma_f64 v[10:11], -v[16:17], v[28:29], v[38:39]
	s_waitcnt vmcnt(0)
	v_subrev_co_u32_e32 v30, vcc, s20, v14
	v_subb_co_u32_e32 v31, vcc, v15, v12, vcc
	v_lshlrev_b64 v[30:31], 6, v[30:31]
	v_add_co_u32_e32 v46, vcc, s4, v30
	v_addc_co_u32_e32 v47, vcc, v13, v31, vcc
	global_load_dwordx4 v[14:17], v[0:1], off
	global_load_dwordx4 v[18:21], v[0:1], off offset:48
	global_load_dwordx4 v[22:25], v[0:1], off offset:32
	;; [unrolled: 1-line block ×6, first 2 shown]
	global_load_dwordx4 v[42:45], v[46:47], off
	s_waitcnt vmcnt(0)
	v_fmac_f64_e32 v[2:3], v[14:15], v[42:43]
	v_fmac_f64_e32 v[72:73], v[16:17], v[42:43]
	;; [unrolled: 1-line block ×7, first 2 shown]
	v_fma_f64 v[46:47], -v[16:17], v[44:45], v[2:3]
	v_fmac_f64_e32 v[72:73], v[14:15], v[44:45]
	v_fma_f64 v[74:75], -v[28:29], v[44:45], v[4:5]
	v_fma_f64 v[6:7], -v[24:25], v[44:45], v[6:7]
	v_fmac_f64_e32 v[68:69], v[22:23], v[44:45]
	v_fma_f64 v[10:11], -v[20:21], v[44:45], v[10:11]
	v_fmac_f64_e32 v[60:61], v[18:19], v[44:45]
	global_load_dwordx4 v[2:5], v[0:1], off offset:112
	global_load_dwordx4 v[14:17], v[0:1], off offset:96
	;; [unrolled: 1-line block ×4, first 2 shown]
	v_fmac_f64_e32 v[70:71], v[28:29], v[42:43]
	v_fmac_f64_e32 v[70:71], v[26:27], v[44:45]
	s_waitcnt vmcnt(3)
	v_fmac_f64_e32 v[10:11], v[2:3], v[38:39]
	s_waitcnt vmcnt(2)
	v_fmac_f64_e32 v[6:7], v[14:15], v[38:39]
	s_waitcnt vmcnt(1)
	v_fmac_f64_e32 v[74:75], v[18:19], v[38:39]
	s_waitcnt vmcnt(0)
	v_fmac_f64_e32 v[46:47], v[22:23], v[38:39]
	v_fmac_f64_e32 v[72:73], v[24:25], v[38:39]
	;; [unrolled: 1-line block ×5, first 2 shown]
	v_fma_f64 v[26:27], -v[24:25], v[40:41], v[46:47]
	v_fmac_f64_e32 v[72:73], v[22:23], v[40:41]
	v_fma_f64 v[28:29], -v[20:21], v[40:41], v[74:75]
	v_fmac_f64_e32 v[70:71], v[18:19], v[40:41]
	;; [unrolled: 2-line block ×4, first 2 shown]
	global_load_dwordx4 v[2:5], v[0:1], off offset:176
	global_load_dwordx4 v[14:17], v[0:1], off offset:160
	;; [unrolled: 1-line block ×4, first 2 shown]
	s_waitcnt vmcnt(3)
	v_fmac_f64_e32 v[10:11], v[2:3], v[34:35]
	s_waitcnt vmcnt(2)
	v_fmac_f64_e32 v[6:7], v[14:15], v[34:35]
	;; [unrolled: 2-line block ×4, first 2 shown]
	v_fmac_f64_e32 v[72:73], v[24:25], v[34:35]
	v_fmac_f64_e32 v[70:71], v[20:21], v[34:35]
	;; [unrolled: 1-line block ×3, first 2 shown]
	v_fma_f64 v[26:27], -v[24:25], v[36:37], v[26:27]
	v_fmac_f64_e32 v[72:73], v[22:23], v[36:37]
	v_fma_f64 v[28:29], -v[20:21], v[36:37], v[28:29]
	v_fmac_f64_e32 v[70:71], v[18:19], v[36:37]
	;; [unrolled: 2-line block ×4, first 2 shown]
	global_load_dwordx4 v[14:17], v[0:1], off offset:240
	global_load_dwordx4 v[18:21], v[0:1], off offset:224
	;; [unrolled: 1-line block ×4, first 2 shown]
	v_fmac_f64_e32 v[60:61], v[2:3], v[36:37]
	s_waitcnt vmcnt(3)
	v_fmac_f64_e32 v[10:11], v[14:15], v[30:31]
	s_waitcnt vmcnt(2)
	;; [unrolled: 2-line block ×3, first 2 shown]
	v_fmac_f64_e32 v[28:29], v[4:5], v[30:31]
	v_fma_f64 v[2:3], -v[6:7], v[32:33], v[28:29]
	v_fmac_f64_e32 v[70:71], v[6:7], v[30:31]
	v_fma_f64 v[6:7], -v[16:17], v[32:33], v[10:11]
	global_load_dwordx2 v[10:11], v[8:9], off offset:128
	s_waitcnt vmcnt(1)
	v_fmac_f64_e32 v[26:27], v[22:23], v[30:31]
	v_fmac_f64_e32 v[72:73], v[24:25], v[30:31]
	;; [unrolled: 1-line block ×4, first 2 shown]
	v_fma_f64 v[0:1], -v[24:25], v[32:33], v[26:27]
	v_fmac_f64_e32 v[72:73], v[22:23], v[32:33]
	v_fmac_f64_e32 v[70:71], v[4:5], v[32:33]
	v_fma_f64 v[4:5], -v[20:21], v[32:33], v[38:39]
	v_fmac_f64_e32 v[68:69], v[18:19], v[32:33]
	v_fmac_f64_e32 v[60:61], v[14:15], v[32:33]
	s_waitcnt vmcnt(0)
	v_subrev_co_u32_e32 v10, vcc, s20, v10
	v_subb_co_u32_e32 v11, vcc, v11, v12, vcc
	v_add_co_u32_e32 v46, vcc, s13, v66
	v_addc_co_u32_e32 v47, vcc, 0, v67, vcc
	v_lshlrev_b64 v[10:11], 6, v[10:11]
	v_add_co_u32_e32 v10, vcc, s4, v10
	v_addc_co_u32_e32 v11, vcc, v13, v11, vcc
	global_load_dwordx4 v[14:17], v[46:47], off
	global_load_dwordx4 v[18:21], v[46:47], off offset:48
	global_load_dwordx4 v[22:25], v[46:47], off offset:32
	global_load_dwordx4 v[26:29], v[46:47], off offset:16
	global_load_dwordx4 v[30:33], v[10:11], off offset:48
	global_load_dwordx4 v[34:37], v[10:11], off offset:32
	global_load_dwordx4 v[38:41], v[10:11], off offset:16
	global_load_dwordx4 v[42:45], v[10:11], off
	v_add_co_u32_e32 v62, vcc, 64, v62
	v_addc_co_u32_e32 v63, vcc, 0, v63, vcc
	v_add_co_u32_e32 v8, vcc, 0x200, v8
	v_addc_co_u32_e32 v9, vcc, 0, v9, vcc
	v_cmp_ge_i64_e64 s[0:1], v[62:63], v[64:65]
	v_add_co_u32_e32 v66, vcc, 0x4000, v66
	v_addc_co_u32_e32 v67, vcc, 0, v67, vcc
	s_or_b64 s[10:11], s[0:1], s[10:11]
	s_waitcnt vmcnt(0)
	v_fmac_f64_e32 v[0:1], v[14:15], v[42:43]
	v_fmac_f64_e32 v[72:73], v[16:17], v[42:43]
	;; [unrolled: 1-line block ×8, first 2 shown]
	v_fma_f64 v[10:11], -v[16:17], v[44:45], v[0:1]
	v_fmac_f64_e32 v[72:73], v[14:15], v[44:45]
	v_fma_f64 v[74:75], -v[28:29], v[44:45], v[2:3]
	v_fmac_f64_e32 v[70:71], v[26:27], v[44:45]
	v_fma_f64 v[26:27], -v[24:25], v[44:45], v[4:5]
	v_fmac_f64_e32 v[68:69], v[22:23], v[44:45]
	v_fma_f64 v[22:23], -v[20:21], v[44:45], v[6:7]
	v_fmac_f64_e32 v[60:61], v[18:19], v[44:45]
	global_load_dwordx4 v[0:3], v[46:47], off offset:112
	global_load_dwordx4 v[4:7], v[46:47], off offset:96
	global_load_dwordx4 v[14:17], v[46:47], off offset:80
	global_load_dwordx4 v[18:21], v[46:47], off offset:64
	s_waitcnt vmcnt(3)
	v_fmac_f64_e32 v[22:23], v[0:1], v[38:39]
	s_waitcnt vmcnt(2)
	v_fmac_f64_e32 v[26:27], v[4:5], v[38:39]
	s_waitcnt vmcnt(1)
	v_fmac_f64_e32 v[74:75], v[14:15], v[38:39]
	s_waitcnt vmcnt(0)
	v_fmac_f64_e32 v[10:11], v[18:19], v[38:39]
	v_fmac_f64_e32 v[72:73], v[20:21], v[38:39]
	v_fmac_f64_e32 v[70:71], v[16:17], v[38:39]
	v_fmac_f64_e32 v[68:69], v[6:7], v[38:39]
	v_fmac_f64_e32 v[60:61], v[2:3], v[38:39]
	v_fma_f64 v[10:11], -v[20:21], v[40:41], v[10:11]
	v_fmac_f64_e32 v[72:73], v[18:19], v[40:41]
	v_fma_f64 v[24:25], -v[16:17], v[40:41], v[74:75]
	v_fmac_f64_e32 v[70:71], v[14:15], v[40:41]
	v_fma_f64 v[26:27], -v[6:7], v[40:41], v[26:27]
	v_fmac_f64_e32 v[68:69], v[4:5], v[40:41]
	v_fma_f64 v[22:23], -v[2:3], v[40:41], v[22:23]
	v_fmac_f64_e32 v[60:61], v[0:1], v[40:41]
	global_load_dwordx4 v[0:3], v[46:47], off offset:176
	global_load_dwordx4 v[4:7], v[46:47], off offset:160
	global_load_dwordx4 v[14:17], v[46:47], off offset:144
	global_load_dwordx4 v[18:21], v[46:47], off offset:128
	s_waitcnt vmcnt(3)
	v_fmac_f64_e32 v[22:23], v[0:1], v[34:35]
	s_waitcnt vmcnt(2)
	v_fmac_f64_e32 v[26:27], v[4:5], v[34:35]
	s_waitcnt vmcnt(1)
	v_fmac_f64_e32 v[24:25], v[14:15], v[34:35]
	s_waitcnt vmcnt(0)
	v_fmac_f64_e32 v[10:11], v[18:19], v[34:35]
	v_fmac_f64_e32 v[72:73], v[20:21], v[34:35]
	v_fmac_f64_e32 v[70:71], v[16:17], v[34:35]
	v_fmac_f64_e32 v[68:69], v[6:7], v[34:35]
	v_fmac_f64_e32 v[60:61], v[2:3], v[34:35]
	;; [unrolled: 24-line block ×3, first 2 shown]
	v_fma_f64 v[80:81], -v[20:21], v[32:33], v[10:11]
	v_fmac_f64_e32 v[72:73], v[18:19], v[32:33]
	v_fma_f64 v[78:79], -v[16:17], v[32:33], v[24:25]
	v_fmac_f64_e32 v[70:71], v[14:15], v[32:33]
	;; [unrolled: 2-line block ×4, first 2 shown]
	s_andn2_b64 exec, exec, s[10:11]
	s_cbranch_execnz .LBB57_37
; %bb.38:
	s_or_b64 exec, exec, s[10:11]
.LBB57_39:
	s_or_b64 exec, exec, s[8:9]
.LBB57_40:
	s_or_b64 exec, exec, s[2:3]
.LBB57_41:
	v_mov_b32_dpp v0, v80 row_shr:1 row_mask:0xf bank_mask:0xf
	v_mov_b32_dpp v1, v81 row_shr:1 row_mask:0xf bank_mask:0xf
	v_mov_b32_dpp v4, v72 row_shr:1 row_mask:0xf bank_mask:0xf
	v_mov_b32_dpp v5, v73 row_shr:1 row_mask:0xf bank_mask:0xf
	v_mov_b32_dpp v8, v78 row_shr:1 row_mask:0xf bank_mask:0xf
	v_mov_b32_dpp v9, v79 row_shr:1 row_mask:0xf bank_mask:0xf
	v_mov_b32_dpp v12, v70 row_shr:1 row_mask:0xf bank_mask:0xf
	v_mov_b32_dpp v13, v71 row_shr:1 row_mask:0xf bank_mask:0xf
	v_mov_b32_dpp v16, v76 row_shr:1 row_mask:0xf bank_mask:0xf
	v_mov_b32_dpp v17, v77 row_shr:1 row_mask:0xf bank_mask:0xf
	v_mov_b32_dpp v20, v68 row_shr:1 row_mask:0xf bank_mask:0xf
	v_mov_b32_dpp v21, v69 row_shr:1 row_mask:0xf bank_mask:0xf
	v_mov_b32_dpp v24, v74 row_shr:1 row_mask:0xf bank_mask:0xf
	v_mov_b32_dpp v25, v75 row_shr:1 row_mask:0xf bank_mask:0xf
	v_mov_b32_dpp v28, v60 row_shr:1 row_mask:0xf bank_mask:0xf
	v_mov_b32_dpp v29, v61 row_shr:1 row_mask:0xf bank_mask:0xf
	v_add_f64 v[0:1], v[80:81], v[0:1]
	v_add_f64 v[4:5], v[72:73], v[4:5]
	v_add_f64 v[8:9], v[78:79], v[8:9]
	v_add_f64 v[12:13], v[70:71], v[12:13]
	v_add_f64 v[16:17], v[76:77], v[16:17]
	v_add_f64 v[20:21], v[68:69], v[20:21]
	v_add_f64 v[24:25], v[74:75], v[24:25]
	v_add_f64 v[28:29], v[60:61], v[28:29]
	v_mov_b32_dpp v2, v0 row_shr:2 row_mask:0xf bank_mask:0xf
	v_mov_b32_dpp v3, v1 row_shr:2 row_mask:0xf bank_mask:0xf
	v_mov_b32_dpp v6, v4 row_shr:2 row_mask:0xf bank_mask:0xf
	v_mov_b32_dpp v7, v5 row_shr:2 row_mask:0xf bank_mask:0xf
	v_mov_b32_dpp v10, v8 row_shr:2 row_mask:0xf bank_mask:0xf
	v_mov_b32_dpp v11, v9 row_shr:2 row_mask:0xf bank_mask:0xf
	v_mov_b32_dpp v14, v12 row_shr:2 row_mask:0xf bank_mask:0xf
	v_mov_b32_dpp v15, v13 row_shr:2 row_mask:0xf bank_mask:0xf
	v_mov_b32_dpp v18, v16 row_shr:2 row_mask:0xf bank_mask:0xf
	v_mov_b32_dpp v19, v17 row_shr:2 row_mask:0xf bank_mask:0xf
	v_mov_b32_dpp v22, v20 row_shr:2 row_mask:0xf bank_mask:0xf
	v_mov_b32_dpp v23, v21 row_shr:2 row_mask:0xf bank_mask:0xf
	v_mov_b32_dpp v26, v24 row_shr:2 row_mask:0xf bank_mask:0xf
	v_mov_b32_dpp v27, v25 row_shr:2 row_mask:0xf bank_mask:0xf
	v_mov_b32_dpp v30, v28 row_shr:2 row_mask:0xf bank_mask:0xf
	v_mov_b32_dpp v31, v29 row_shr:2 row_mask:0xf bank_mask:0xf
	v_add_f64 v[0:1], v[0:1], v[2:3]
	v_add_f64 v[4:5], v[4:5], v[6:7]
	v_add_f64 v[8:9], v[8:9], v[10:11]
	v_add_f64 v[12:13], v[12:13], v[14:15]
	v_add_f64 v[16:17], v[16:17], v[18:19]
	v_add_f64 v[20:21], v[20:21], v[22:23]
	v_add_f64 v[24:25], v[24:25], v[26:27]
	v_add_f64 v[28:29], v[28:29], v[30:31]
	;; [unrolled: 24-line block ×3, first 2 shown]
	v_mov_b32_dpp v2, v0 row_shr:8 row_mask:0xf bank_mask:0xc
	v_mov_b32_dpp v3, v1 row_shr:8 row_mask:0xf bank_mask:0xc
	;; [unrolled: 1-line block ×16, first 2 shown]
	v_cmp_eq_u32_e32 vcc, 15, v58
	s_and_b64 exec, exec, vcc
	s_cbranch_execz .LBB57_12
; %bb.42:
	s_load_dwordx2 s[2:3], s[6:7], 0x68
	v_add_f64 v[32:33], v[0:1], v[2:3]
	v_add_f64 v[0:1], v[4:5], v[6:7]
	;; [unrolled: 1-line block ×8, first 2 shown]
	v_cmp_eq_f64_e32 vcc, 0, v[48:49]
	v_cmp_eq_f64_e64 s[0:1], 0, v[50:51]
	v_mul_f64 v[12:13], v[0:1], -v[54:55]
	v_mul_f64 v[14:15], v[52:53], v[0:1]
	v_mul_f64 v[8:9], v[2:3], -v[54:55]
	v_mul_f64 v[10:11], v[52:53], v[2:3]
	v_mul_f64 v[4:5], v[6:7], -v[54:55]
	v_mul_f64 v[6:7], v[52:53], v[6:7]
	v_mul_f64 v[0:1], v[16:17], -v[54:55]
	v_mul_f64 v[2:3], v[52:53], v[16:17]
	s_and_b64 s[0:1], vcc, s[0:1]
	v_fmac_f64_e32 v[12:13], v[52:53], v[32:33]
	v_fmac_f64_e32 v[14:15], v[54:55], v[32:33]
	v_lshlrev_b64 v[16:17], 6, v[56:57]
	v_fmac_f64_e32 v[8:9], v[52:53], v[34:35]
	v_fmac_f64_e32 v[10:11], v[54:55], v[34:35]
	;; [unrolled: 1-line block ×6, first 2 shown]
	s_and_saveexec_b64 s[4:5], s[0:1]
	s_xor_b64 s[0:1], exec, s[4:5]
	s_cbranch_execz .LBB57_44
; %bb.43:
	s_waitcnt lgkmcnt(0)
	v_mov_b32_e32 v18, s3
	v_add_co_u32_e32 v16, vcc, s2, v16
	v_addc_co_u32_e32 v17, vcc, v18, v17, vcc
	global_store_dwordx4 v[16:17], v[12:15], off
	global_store_dwordx4 v[16:17], v[8:11], off offset:16
	global_store_dwordx4 v[16:17], v[4:7], off offset:32
	global_store_dwordx4 v[16:17], v[0:3], off offset:48
                                        ; implicit-def: $vgpr48_vgpr49
                                        ; implicit-def: $vgpr50_vgpr51
                                        ; implicit-def: $vgpr12_vgpr13
                                        ; implicit-def: $vgpr16_vgpr17
                                        ; implicit-def: $vgpr8_vgpr9
                                        ; implicit-def: $vgpr4_vgpr5
                                        ; implicit-def: $vgpr0_vgpr1
.LBB57_44:
	s_andn2_saveexec_b64 s[0:1], s[0:1]
	s_cbranch_execz .LBB57_12
; %bb.45:
	s_waitcnt lgkmcnt(0)
	v_mov_b32_e32 v18, s3
	v_add_co_u32_e32 v32, vcc, s2, v16
	v_addc_co_u32_e32 v33, vcc, v18, v17, vcc
	global_load_dwordx4 v[16:19], v[32:33], off
	global_load_dwordx4 v[20:23], v[32:33], off offset:16
	global_load_dwordx4 v[24:27], v[32:33], off offset:32
	;; [unrolled: 1-line block ×3, first 2 shown]
	s_waitcnt vmcnt(3)
	v_fmac_f64_e32 v[12:13], v[48:49], v[16:17]
	v_fmac_f64_e32 v[14:15], v[50:51], v[16:17]
	s_waitcnt vmcnt(2)
	v_fmac_f64_e32 v[8:9], v[48:49], v[20:21]
	v_fmac_f64_e32 v[10:11], v[50:51], v[20:21]
	;; [unrolled: 3-line block ×4, first 2 shown]
	v_fma_f64 v[12:13], -v[50:51], v[18:19], v[12:13]
	v_fmac_f64_e32 v[14:15], v[48:49], v[18:19]
	v_fma_f64 v[8:9], -v[50:51], v[22:23], v[8:9]
	v_fmac_f64_e32 v[10:11], v[48:49], v[22:23]
	;; [unrolled: 2-line block ×4, first 2 shown]
	global_store_dwordx4 v[32:33], v[12:15], off
	global_store_dwordx4 v[32:33], v[8:11], off offset:16
	global_store_dwordx4 v[32:33], v[4:7], off offset:32
	;; [unrolled: 1-line block ×3, first 2 shown]
	s_endpgm
	.section	.rodata,"a",@progbits
	.p2align	6, 0x0
	.amdhsa_kernel _ZN9rocsparseL18bsrxmvn_4x4_kernelILj128ELj16E21rocsparse_complex_numIdEllS2_S2_S2_EEvT3_20rocsparse_direction_NS_24const_host_device_scalarIT1_EES3_PKS3_PKT2_SC_S9_PKT4_PKT5_S7_PT6_21rocsparse_index_base_b
		.amdhsa_group_segment_fixed_size 2048
		.amdhsa_private_segment_fixed_size 0
		.amdhsa_kernarg_size 120
		.amdhsa_user_sgpr_count 8
		.amdhsa_user_sgpr_private_segment_buffer 1
		.amdhsa_user_sgpr_dispatch_ptr 1
		.amdhsa_user_sgpr_queue_ptr 0
		.amdhsa_user_sgpr_kernarg_segment_ptr 1
		.amdhsa_user_sgpr_dispatch_id 0
		.amdhsa_user_sgpr_flat_scratch_init 0
		.amdhsa_user_sgpr_kernarg_preload_length 0
		.amdhsa_user_sgpr_kernarg_preload_offset 0
		.amdhsa_user_sgpr_private_segment_size 0
		.amdhsa_uses_dynamic_stack 0
		.amdhsa_system_sgpr_private_segment_wavefront_offset 0
		.amdhsa_system_sgpr_workgroup_id_x 1
		.amdhsa_system_sgpr_workgroup_id_y 0
		.amdhsa_system_sgpr_workgroup_id_z 0
		.amdhsa_system_sgpr_workgroup_info 0
		.amdhsa_system_vgpr_workitem_id 2
		.amdhsa_next_free_vgpr 124
		.amdhsa_next_free_sgpr 23
		.amdhsa_accum_offset 124
		.amdhsa_reserve_vcc 1
		.amdhsa_reserve_flat_scratch 0
		.amdhsa_float_round_mode_32 0
		.amdhsa_float_round_mode_16_64 0
		.amdhsa_float_denorm_mode_32 3
		.amdhsa_float_denorm_mode_16_64 3
		.amdhsa_dx10_clamp 1
		.amdhsa_ieee_mode 1
		.amdhsa_fp16_overflow 0
		.amdhsa_tg_split 0
		.amdhsa_exception_fp_ieee_invalid_op 0
		.amdhsa_exception_fp_denorm_src 0
		.amdhsa_exception_fp_ieee_div_zero 0
		.amdhsa_exception_fp_ieee_overflow 0
		.amdhsa_exception_fp_ieee_underflow 0
		.amdhsa_exception_fp_ieee_inexact 0
		.amdhsa_exception_int_div_zero 0
	.end_amdhsa_kernel
	.section	.text._ZN9rocsparseL18bsrxmvn_4x4_kernelILj128ELj16E21rocsparse_complex_numIdEllS2_S2_S2_EEvT3_20rocsparse_direction_NS_24const_host_device_scalarIT1_EES3_PKS3_PKT2_SC_S9_PKT4_PKT5_S7_PT6_21rocsparse_index_base_b,"axG",@progbits,_ZN9rocsparseL18bsrxmvn_4x4_kernelILj128ELj16E21rocsparse_complex_numIdEllS2_S2_S2_EEvT3_20rocsparse_direction_NS_24const_host_device_scalarIT1_EES3_PKS3_PKT2_SC_S9_PKT4_PKT5_S7_PT6_21rocsparse_index_base_b,comdat
.Lfunc_end57:
	.size	_ZN9rocsparseL18bsrxmvn_4x4_kernelILj128ELj16E21rocsparse_complex_numIdEllS2_S2_S2_EEvT3_20rocsparse_direction_NS_24const_host_device_scalarIT1_EES3_PKS3_PKT2_SC_S9_PKT4_PKT5_S7_PT6_21rocsparse_index_base_b, .Lfunc_end57-_ZN9rocsparseL18bsrxmvn_4x4_kernelILj128ELj16E21rocsparse_complex_numIdEllS2_S2_S2_EEvT3_20rocsparse_direction_NS_24const_host_device_scalarIT1_EES3_PKS3_PKT2_SC_S9_PKT4_PKT5_S7_PT6_21rocsparse_index_base_b
                                        ; -- End function
	.section	.AMDGPU.csdata,"",@progbits
; Kernel info:
; codeLenInByte = 8488
; NumSgprs: 27
; NumVgprs: 124
; NumAgprs: 0
; TotalNumVgprs: 124
; ScratchSize: 0
; MemoryBound: 1
; FloatMode: 240
; IeeeMode: 1
; LDSByteSize: 2048 bytes/workgroup (compile time only)
; SGPRBlocks: 3
; VGPRBlocks: 15
; NumSGPRsForWavesPerEU: 27
; NumVGPRsForWavesPerEU: 124
; AccumOffset: 124
; Occupancy: 4
; WaveLimiterHint : 1
; COMPUTE_PGM_RSRC2:SCRATCH_EN: 0
; COMPUTE_PGM_RSRC2:USER_SGPR: 8
; COMPUTE_PGM_RSRC2:TRAP_HANDLER: 0
; COMPUTE_PGM_RSRC2:TGID_X_EN: 1
; COMPUTE_PGM_RSRC2:TGID_Y_EN: 0
; COMPUTE_PGM_RSRC2:TGID_Z_EN: 0
; COMPUTE_PGM_RSRC2:TIDIG_COMP_CNT: 2
; COMPUTE_PGM_RSRC3_GFX90A:ACCUM_OFFSET: 30
; COMPUTE_PGM_RSRC3_GFX90A:TG_SPLIT: 0
	.section	.text._ZN9rocsparseL18bsrxmvn_4x4_kernelILj128ELj32E21rocsparse_complex_numIdEllS2_S2_S2_EEvT3_20rocsparse_direction_NS_24const_host_device_scalarIT1_EES3_PKS3_PKT2_SC_S9_PKT4_PKT5_S7_PT6_21rocsparse_index_base_b,"axG",@progbits,_ZN9rocsparseL18bsrxmvn_4x4_kernelILj128ELj32E21rocsparse_complex_numIdEllS2_S2_S2_EEvT3_20rocsparse_direction_NS_24const_host_device_scalarIT1_EES3_PKS3_PKT2_SC_S9_PKT4_PKT5_S7_PT6_21rocsparse_index_base_b,comdat
	.globl	_ZN9rocsparseL18bsrxmvn_4x4_kernelILj128ELj32E21rocsparse_complex_numIdEllS2_S2_S2_EEvT3_20rocsparse_direction_NS_24const_host_device_scalarIT1_EES3_PKS3_PKT2_SC_S9_PKT4_PKT5_S7_PT6_21rocsparse_index_base_b ; -- Begin function _ZN9rocsparseL18bsrxmvn_4x4_kernelILj128ELj32E21rocsparse_complex_numIdEllS2_S2_S2_EEvT3_20rocsparse_direction_NS_24const_host_device_scalarIT1_EES3_PKS3_PKT2_SC_S9_PKT4_PKT5_S7_PT6_21rocsparse_index_base_b
	.p2align	8
	.type	_ZN9rocsparseL18bsrxmvn_4x4_kernelILj128ELj32E21rocsparse_complex_numIdEllS2_S2_S2_EEvT3_20rocsparse_direction_NS_24const_host_device_scalarIT1_EES3_PKS3_PKT2_SC_S9_PKT4_PKT5_S7_PT6_21rocsparse_index_base_b,@function
_ZN9rocsparseL18bsrxmvn_4x4_kernelILj128ELj32E21rocsparse_complex_numIdEllS2_S2_S2_EEvT3_20rocsparse_direction_NS_24const_host_device_scalarIT1_EES3_PKS3_PKT2_SC_S9_PKT4_PKT5_S7_PT6_21rocsparse_index_base_b: ; @_ZN9rocsparseL18bsrxmvn_4x4_kernelILj128ELj32E21rocsparse_complex_numIdEllS2_S2_S2_EEvT3_20rocsparse_direction_NS_24const_host_device_scalarIT1_EES3_PKS3_PKT2_SC_S9_PKT4_PKT5_S7_PT6_21rocsparse_index_base_b
; %bb.0:
	s_load_dwordx2 s[20:21], s[6:7], 0x70
	s_load_dwordx4 s[16:19], s[6:7], 0x10
	s_load_dwordx2 s[10:11], s[4:5], 0x4
	s_load_dwordx4 s[12:15], s[6:7], 0x58
	s_mov_b64 s[2:3], src_shared_base
	v_bfe_u32 v3, v0, 10, 10
	s_waitcnt lgkmcnt(0)
	s_bitcmp1_b32 s21, 0
	s_cselect_b64 s[0:1], -1, 0
	s_and_b64 vcc, s[0:1], exec
	s_cselect_b32 s2, s3, s17
	s_lshr_b32 s4, s10, 16
	v_and_b32_e32 v2, 0x3ff, v0
	s_mul_i32 s4, s4, s11
	v_mul_u32_u24_e32 v3, s11, v3
	v_mad_u32_u24 v3, s4, v2, v3
	v_bfe_u32 v0, v0, 20, 10
	v_add_lshl_u32 v0, v3, v0, 3
	v_mov_b32_e32 v1, s16
	v_add_u32_e32 v3, 0x400, v0
	v_pk_mov_b32 v[4:5], s[16:17], s[16:17] op_sel:[0,1]
	v_pk_mov_b32 v[6:7], s[12:13], s[12:13] op_sel:[0,1]
	ds_write2st64_b64 v0, v[6:7], v[4:5] offset1:2
	v_cndmask_b32_e64 v4, v1, v3, s[0:1]
	v_mov_b32_e32 v5, s2
	flat_load_dwordx2 v[52:53], v[4:5]
	s_xor_b64 s[4:5], s[0:1], -1
	v_pk_mov_b32 v[54:55], s[18:19], s[18:19] op_sel:[0,1]
	s_cbranch_vccnz .LBB58_2
; %bb.1:
	v_pk_mov_b32 v[4:5], s[16:17], s[16:17] op_sel:[0,1]
	flat_load_dwordx2 v[54:55], v[4:5] offset:8
.LBB58_2:
	s_and_b64 s[10:11], s[0:1], exec
	s_cselect_b32 s2, s3, s13
	v_mov_b32_e32 v1, s12
	v_cndmask_b32_e64 v0, v1, v0, s[0:1]
	v_mov_b32_e32 v1, s2
	flat_load_dwordx2 v[48:49], v[0:1]
	s_andn2_b64 vcc, exec, s[4:5]
	v_pk_mov_b32 v[50:51], s[14:15], s[14:15] op_sel:[0,1]
	s_cbranch_vccnz .LBB58_4
; %bb.3:
	v_pk_mov_b32 v[0:1], s[12:13], s[12:13] op_sel:[0,1]
	flat_load_dwordx2 v[50:51], v[0:1] offset:8
.LBB58_4:
	s_waitcnt vmcnt(0) lgkmcnt(0)
	v_cmp_eq_f64_e32 vcc, 0, v[52:53]
	v_cmp_eq_f64_e64 s[0:1], 0, v[54:55]
	s_and_b64 s[4:5], vcc, s[0:1]
	s_mov_b64 s[0:1], -1
	s_and_saveexec_b64 s[2:3], s[4:5]
; %bb.5:
	v_cmp_neq_f64_e32 vcc, 1.0, v[48:49]
	v_cmp_neq_f64_e64 s[0:1], 0, v[50:51]
	s_or_b64 s[0:1], vcc, s[0:1]
	s_orn2_b64 s[0:1], s[0:1], exec
; %bb.6:
	s_or_b64 exec, exec, s[2:3]
	s_and_saveexec_b64 s[2:3], s[0:1]
	s_cbranch_execz .LBB58_12
; %bb.7:
	s_load_dwordx2 s[2:3], s[6:7], 0x28
	v_lshrrev_b32_e32 v0, 5, v2
	v_lshl_or_b32 v0, s8, 2, v0
	v_mov_b32_e32 v1, 0
	s_mov_b64 s[0:1], 0
	s_waitcnt lgkmcnt(0)
	s_cmp_lg_u64 s[2:3], 0
	s_cbranch_scc0 .LBB58_13
; %bb.8:
	s_load_dwordx2 s[4:5], s[6:7], 0x20
                                        ; implicit-def: $vgpr56_vgpr57
	s_waitcnt lgkmcnt(0)
	v_cmp_gt_i64_e32 vcc, s[4:5], v[0:1]
	s_and_saveexec_b64 s[4:5], vcc
	s_xor_b64 s[4:5], exec, s[4:5]
                                        ; implicit-def: $sgpr16_sgpr17
	s_cbranch_execz .LBB58_10
; %bb.9:
	v_lshlrev_b64 v[4:5], 3, v[0:1]
	v_mov_b32_e32 v3, s3
	v_add_co_u32_e32 v4, vcc, s2, v4
	v_addc_co_u32_e32 v5, vcc, v3, v5, vcc
	global_load_dwordx2 v[4:5], v[4:5], off
	s_mov_b64 s[0:1], exec
	s_mov_b32 s17, 0
	s_waitcnt vmcnt(0)
	v_subrev_co_u32_e32 v56, vcc, s20, v4
	v_subbrev_co_u32_e32 v57, vcc, 0, v5, vcc
.LBB58_10:
	s_or_b64 exec, exec, s[4:5]
.LBB58_11:
	s_and_b64 exec, exec, s[0:1]
	s_cbranch_execnz .LBB58_17
.LBB58_12:
	s_endpgm
.LBB58_13:
                                        ; implicit-def: $vgpr56_vgpr57
                                        ; implicit-def: $sgpr16_sgpr17
	s_cbranch_execz .LBB58_11
; %bb.14:
	s_load_dwordx2 s[2:3], s[6:7], 0x0
                                        ; implicit-def: $vgpr56_vgpr57
	s_waitcnt lgkmcnt(0)
	v_cmp_gt_i64_e32 vcc, s[2:3], v[0:1]
	s_and_saveexec_b64 s[2:3], vcc
                                        ; implicit-def: $sgpr16_sgpr17
; %bb.15:
	s_mov_b32 s17, 0
	s_or_b64 s[0:1], s[0:1], exec
	v_pk_mov_b32 v[56:57], v[0:1], v[0:1] op_sel:[0,1]
; %bb.16:
	s_or_b64 exec, exec, s[2:3]
	s_and_b64 exec, exec, s[0:1]
	s_cbranch_execz .LBB58_12
.LBB58_17:
	s_load_dwordx8 s[8:15], s[6:7], 0x30
	v_lshlrev_b64 v[0:1], 3, v[56:57]
	v_and_b32_e32 v58, 31, v2
	v_mov_b32_e32 v2, s17
	s_waitcnt lgkmcnt(0)
	v_mov_b32_e32 v3, s9
	v_add_co_u32_e32 v4, vcc, s8, v0
	v_addc_co_u32_e32 v5, vcc, v3, v1, vcc
	v_add_co_u32_e32 v3, vcc, 8, v4
	global_load_dwordx2 v[16:17], v[4:5], off
	v_addc_co_u32_e32 v4, vcc, 0, v5, vcc
	v_mov_b32_e32 v5, s11
	v_add_co_u32_e32 v0, vcc, s10, v0
	s_cmp_eq_u64 s[10:11], 0
	v_addc_co_u32_e32 v1, vcc, v5, v1, vcc
	s_cselect_b64 vcc, -1, 0
	v_cndmask_b32_e32 v1, v1, v4, vcc
	v_cndmask_b32_e32 v0, v0, v3, vcc
	global_load_dwordx2 v[0:1], v[0:1], off
	s_load_dword s0, s[6:7], 0x8
	s_load_dwordx2 s[4:5], s[6:7], 0x50
	v_mov_b32_e32 v3, s15
	s_waitcnt lgkmcnt(0)
	s_cmp_eq_u32 s0, 1
	s_waitcnt vmcnt(1)
	v_subrev_co_u32_e32 v4, vcc, s20, v16
	v_subb_co_u32_e32 v5, vcc, v17, v2, vcc
	v_add_co_u32_e32 v64, vcc, v4, v58
	v_addc_co_u32_e32 v65, vcc, 0, v5, vcc
	s_waitcnt vmcnt(0)
	v_subrev_co_u32_e32 v66, vcc, s20, v0
	v_subb_co_u32_e32 v67, vcc, v1, v2, vcc
	v_lshlrev_b64 v[0:1], 8, v[64:65]
	v_add_co_u32_e32 v68, vcc, s14, v0
	v_addc_co_u32_e32 v69, vcc, v3, v1, vcc
	v_cmp_lt_i64_e64 s[0:1], v[64:65], v[66:67]
	s_cbranch_scc1 .LBB58_29
; %bb.18:
	v_pk_mov_b32 v[72:73], 0, 0
	s_mov_b64 s[8:9], 0
	v_pk_mov_b32 v[80:81], v[72:73], v[72:73] op_sel:[0,1]
	v_pk_mov_b32 v[74:75], v[72:73], v[72:73] op_sel:[0,1]
	;; [unrolled: 1-line block ×7, first 2 shown]
	s_and_saveexec_b64 s[10:11], s[0:1]
	s_cbranch_execz .LBB58_28
; %bb.19:
	v_or_b32_e32 v0, 32, v58
	v_mov_b32_e32 v1, s17
	v_subrev_co_u32_e32 v0, vcc, s20, v0
	v_subb_co_u32_e32 v1, vcc, 0, v1, vcc
	v_add_co_u32_e32 v0, vcc, v0, v16
	v_addc_co_u32_e32 v1, vcc, v1, v17, vcc
	v_cmp_gt_i64_e32 vcc, v[0:1], v[66:67]
	v_cndmask_b32_e32 v1, v67, v1, vcc
	v_cndmask_b32_e32 v0, v66, v0, vcc
	v_mov_b32_e32 v4, s17
	v_sub_co_u32_e32 v5, vcc, s20, v58
	v_not_b32_e32 v3, v16
	v_subbrev_co_u32_e32 v4, vcc, 0, v4, vcc
	v_not_b32_e32 v2, v17
	v_add_co_u32_e32 v3, vcc, v5, v3
	v_addc_co_u32_e32 v2, vcc, v4, v2, vcc
	v_add_co_u32_e32 v4, vcc, v3, v0
	v_lshrrev_b32_e32 v0, 5, v4
	v_add_u32_e32 v0, 1, v0
	v_addc_co_u32_e32 v5, vcc, v2, v1, vcc
	v_and_b32_e32 v0, 3, v0
	v_pk_mov_b32 v[70:71], 0, 0
	v_cmp_ne_u32_e32 vcc, 0, v0
	s_mov_b64 s[18:19], 0
	v_pk_mov_b32 v[78:79], v[70:71], v[70:71] op_sel:[0,1]
	v_pk_mov_b32 v[62:63], v[70:71], v[70:71] op_sel:[0,1]
	;; [unrolled: 1-line block ×9, first 2 shown]
	s_and_saveexec_b64 s[14:15], vcc
	s_cbranch_execz .LBB58_23
; %bb.20:
	v_lshlrev_b64 v[2:3], 3, v[64:65]
	v_mov_b32_e32 v1, s13
	v_add_co_u32_e32 v8, vcc, s12, v2
	v_pk_mov_b32 v[72:73], 0, 0
	v_mov_b32_e32 v7, 0
	v_addc_co_u32_e32 v9, vcc, v1, v3, vcc
	v_lshlrev_b32_e32 v6, 3, v0
	s_movk_i32 s16, 0x2000
	v_mov_b32_e32 v10, s17
	v_mov_b32_e32 v11, s5
	v_pk_mov_b32 v[20:21], v[64:65], v[64:65] op_sel:[0,1]
	v_pk_mov_b32 v[18:19], v[68:69], v[68:69] op_sel:[0,1]
	;; [unrolled: 1-line block ×9, first 2 shown]
.LBB58_21:                              ; =>This Inner Loop Header: Depth=1
	global_load_dwordx2 v[42:43], v[8:9], off
	global_load_dwordx4 v[0:3], v[18:19], off offset:16
	global_load_dwordx4 v[12:15], v[18:19], off
	global_load_dwordx4 v[22:25], v[18:19], off offset:80
	global_load_dwordx4 v[26:29], v[18:19], off offset:64
	;; [unrolled: 1-line block ×5, first 2 shown]
	v_add_co_u32_e64 v20, s[2:3], 32, v20
	v_addc_co_u32_e64 v21, s[2:3], 0, v21, s[2:3]
	v_add_co_u32_e64 v6, s[2:3], -8, v6
	v_addc_co_u32_e64 v7, s[2:3], -1, v7, s[2:3]
	v_cmp_eq_u64_e64 s[2:3], 0, v[6:7]
	s_or_b64 s[18:19], s[2:3], s[18:19]
	s_waitcnt vmcnt(7)
	v_subrev_co_u32_e32 v42, vcc, s20, v42
	v_subb_co_u32_e32 v43, vcc, v43, v10, vcc
	v_lshlrev_b64 v[42:43], 6, v[42:43]
	v_add_co_u32_e32 v46, vcc, s4, v42
	v_addc_co_u32_e32 v47, vcc, v11, v43, vcc
	global_load_dwordx4 v[42:45], v[46:47], off
	s_waitcnt vmcnt(0)
	v_fmac_f64_e32 v[80:81], v[12:13], v[42:43]
	v_fmac_f64_e32 v[72:73], v[14:15], v[42:43]
	v_fmac_f64_e32 v[78:79], v[26:27], v[42:43]
	v_fmac_f64_e32 v[70:71], v[28:29], v[42:43]
	v_fmac_f64_e32 v[76:77], v[34:35], v[42:43]
	v_fmac_f64_e32 v[62:63], v[36:37], v[42:43]
	v_fmac_f64_e32 v[74:75], v[38:39], v[42:43]
	v_fmac_f64_e32 v[60:61], v[40:41], v[42:43]
	v_fma_f64 v[80:81], -v[14:15], v[44:45], v[80:81]
	v_fmac_f64_e32 v[72:73], v[12:13], v[44:45]
	global_load_dwordx4 v[12:15], v[18:19], off offset:208
	v_fma_f64 v[78:79], -v[28:29], v[44:45], v[78:79]
	v_fmac_f64_e32 v[70:71], v[26:27], v[44:45]
	global_load_dwordx4 v[26:29], v[18:19], off offset:48
	;; [unrolled: 3-line block ×4, first 2 shown]
	global_load_dwordx4 v[42:45], v[46:47], off offset:16
	s_waitcnt vmcnt(0)
	v_fmac_f64_e32 v[80:81], v[0:1], v[42:43]
	v_fmac_f64_e32 v[72:73], v[2:3], v[42:43]
	;; [unrolled: 1-line block ×8, first 2 shown]
	v_fma_f64 v[80:81], -v[2:3], v[44:45], v[80:81]
	v_fmac_f64_e32 v[72:73], v[0:1], v[44:45]
	global_load_dwordx4 v[0:3], v[18:19], off offset:96
	v_fma_f64 v[78:79], -v[24:25], v[44:45], v[78:79]
	v_fmac_f64_e32 v[70:71], v[22:23], v[44:45]
	global_load_dwordx4 v[22:25], v[18:19], off offset:176
	;; [unrolled: 3-line block ×4, first 2 shown]
	global_load_dwordx4 v[42:45], v[46:47], off offset:32
	s_waitcnt vmcnt(0)
	v_fmac_f64_e32 v[80:81], v[34:35], v[42:43]
	v_fmac_f64_e32 v[72:73], v[36:37], v[42:43]
	;; [unrolled: 1-line block ×4, first 2 shown]
	v_fma_f64 v[80:81], -v[36:37], v[44:45], v[80:81]
	v_fmac_f64_e32 v[72:73], v[34:35], v[44:45]
	global_load_dwordx4 v[34:37], v[18:19], off offset:240
	v_fma_f64 v[78:79], -v[2:3], v[44:45], v[78:79]
	v_fmac_f64_e32 v[70:71], v[0:1], v[44:45]
	global_load_dwordx4 v[0:3], v[46:47], off offset:48
	v_add_co_u32_e32 v18, vcc, s16, v18
	v_fmac_f64_e32 v[76:77], v[30:31], v[42:43]
	v_fmac_f64_e32 v[62:63], v[32:33], v[42:43]
	;; [unrolled: 1-line block ×4, first 2 shown]
	v_addc_co_u32_e32 v19, vcc, 0, v19, vcc
	v_fma_f64 v[32:33], -v[32:33], v[44:45], v[76:77]
	v_fmac_f64_e32 v[62:63], v[30:31], v[44:45]
	v_fma_f64 v[14:15], -v[14:15], v[44:45], v[74:75]
	v_fmac_f64_e32 v[60:61], v[12:13], v[44:45]
	v_add_co_u32_e32 v8, vcc, 0x100, v8
	v_addc_co_u32_e32 v9, vcc, 0, v9, vcc
	s_waitcnt vmcnt(0)
	v_fmac_f64_e32 v[80:81], v[26:27], v[0:1]
	v_fmac_f64_e32 v[72:73], v[28:29], v[0:1]
	;; [unrolled: 1-line block ×8, first 2 shown]
	v_fma_f64 v[80:81], -v[28:29], v[2:3], v[80:81]
	v_fmac_f64_e32 v[72:73], v[26:27], v[2:3]
	v_fma_f64 v[78:79], -v[40:41], v[2:3], v[78:79]
	v_fmac_f64_e32 v[70:71], v[38:39], v[2:3]
	;; [unrolled: 2-line block ×4, first 2 shown]
	s_andn2_b64 exec, exec, s[18:19]
	s_cbranch_execnz .LBB58_21
; %bb.22:
	s_or_b64 exec, exec, s[18:19]
.LBB58_23:
	s_or_b64 exec, exec, s[14:15]
	s_mov_b64 s[2:3], 0x5f
	v_cmp_lt_u64_e32 vcc, s[2:3], v[4:5]
	s_and_saveexec_b64 s[14:15], vcc
	s_cbranch_execz .LBB58_27
; %bb.24:
	v_lshlrev_b64 v[0:1], 3, v[20:21]
	v_mov_b32_e32 v2, s13
	v_add_co_u32_e32 v0, vcc, s12, v0
	v_addc_co_u32_e32 v1, vcc, v1, v2, vcc
	v_add_co_u32_e32 v22, vcc, 0x200, v0
	v_addc_co_u32_e32 v23, vcc, 0, v1, vcc
	s_mov_b64 s[18:19], 0
	v_mov_b32_e32 v28, s17
	v_mov_b32_e32 v29, s5
	s_movk_i32 s16, 0x2000
	s_movk_i32 s21, 0x4000
	;; [unrolled: 1-line block ×3, first 2 shown]
.LBB58_25:                              ; =>This Inner Loop Header: Depth=1
	global_load_dwordx2 v[0:1], v[22:23], off offset:-512
	global_load_dwordx4 v[30:33], v[18:19], off offset:48
	global_load_dwordx4 v[24:27], v[18:19], off offset:32
	;; [unrolled: 1-line block ×3, first 2 shown]
	global_load_dwordx4 v[38:41], v[18:19], off
	s_waitcnt vmcnt(4)
	v_subrev_co_u32_e32 v0, vcc, s20, v0
	v_subb_co_u32_e32 v1, vcc, v1, v28, vcc
	v_lshlrev_b64 v[0:1], 6, v[0:1]
	v_add_co_u32_e32 v42, vcc, s4, v0
	v_addc_co_u32_e32 v43, vcc, v29, v1, vcc
	global_load_dwordx4 v[0:3], v[42:43], off offset:48
	global_load_dwordx4 v[4:7], v[42:43], off offset:32
	;; [unrolled: 1-line block ×3, first 2 shown]
	global_load_dwordx4 v[12:15], v[42:43], off
	s_waitcnt vmcnt(0)
	v_fmac_f64_e32 v[80:81], v[38:39], v[12:13]
	v_fmac_f64_e32 v[72:73], v[40:41], v[12:13]
	v_fma_f64 v[42:43], -v[40:41], v[14:15], v[80:81]
	v_fmac_f64_e32 v[72:73], v[38:39], v[14:15]
	v_fmac_f64_e32 v[42:43], v[34:35], v[8:9]
	v_fmac_f64_e32 v[72:73], v[36:37], v[8:9]
	v_fma_f64 v[38:39], -v[36:37], v[10:11], v[42:43]
	v_fmac_f64_e32 v[72:73], v[34:35], v[10:11]
	;; [unrolled: 4-line block ×4, first 2 shown]
	global_load_dwordx4 v[30:33], v[18:19], off offset:112
	global_load_dwordx4 v[34:37], v[18:19], off offset:96
	;; [unrolled: 1-line block ×4, first 2 shown]
	v_add_co_u32_e32 v80, vcc, s16, v18
	v_addc_co_u32_e32 v81, vcc, 0, v19, vcc
	s_waitcnt vmcnt(0)
	v_fmac_f64_e32 v[78:79], v[42:43], v[12:13]
	v_fmac_f64_e32 v[70:71], v[44:45], v[12:13]
	v_fma_f64 v[26:27], -v[44:45], v[14:15], v[78:79]
	v_fmac_f64_e32 v[70:71], v[42:43], v[14:15]
	v_fmac_f64_e32 v[26:27], v[38:39], v[8:9]
	v_fmac_f64_e32 v[70:71], v[40:41], v[8:9]
	v_fma_f64 v[26:27], -v[40:41], v[10:11], v[26:27]
	v_fmac_f64_e32 v[70:71], v[38:39], v[10:11]
	;; [unrolled: 4-line block ×4, first 2 shown]
	global_load_dwordx4 v[30:33], v[18:19], off offset:176
	global_load_dwordx4 v[34:37], v[18:19], off offset:160
	;; [unrolled: 1-line block ×4, first 2 shown]
	s_waitcnt vmcnt(0)
	v_fmac_f64_e32 v[76:77], v[42:43], v[12:13]
	v_fmac_f64_e32 v[62:63], v[44:45], v[12:13]
	v_fma_f64 v[46:47], -v[44:45], v[14:15], v[76:77]
	v_fmac_f64_e32 v[62:63], v[42:43], v[14:15]
	v_fmac_f64_e32 v[46:47], v[38:39], v[8:9]
	v_fmac_f64_e32 v[62:63], v[40:41], v[8:9]
	v_fma_f64 v[42:43], -v[40:41], v[10:11], v[46:47]
	v_fmac_f64_e32 v[62:63], v[38:39], v[10:11]
	;; [unrolled: 4-line block ×4, first 2 shown]
	global_load_dwordx4 v[30:33], v[18:19], off offset:240
	global_load_dwordx4 v[34:37], v[18:19], off offset:224
	;; [unrolled: 1-line block ×4, first 2 shown]
	s_waitcnt vmcnt(0)
	v_fmac_f64_e32 v[74:75], v[42:43], v[12:13]
	v_fmac_f64_e32 v[60:61], v[44:45], v[12:13]
	v_fma_f64 v[74:75], -v[44:45], v[14:15], v[74:75]
	v_fmac_f64_e32 v[60:61], v[42:43], v[14:15]
	v_fmac_f64_e32 v[74:75], v[38:39], v[8:9]
	v_fmac_f64_e32 v[60:61], v[40:41], v[8:9]
	v_fma_f64 v[12:13], -v[40:41], v[10:11], v[74:75]
	v_fmac_f64_e32 v[60:61], v[38:39], v[10:11]
	;; [unrolled: 4-line block ×3, first 2 shown]
	v_fmac_f64_e32 v[8:9], v[30:31], v[0:1]
	v_fmac_f64_e32 v[60:61], v[32:33], v[0:1]
	global_load_dwordx2 v[0:1], v[22:23], off offset:-256
	v_fmac_f64_e32 v[60:61], v[30:31], v[2:3]
	v_fma_f64 v[78:79], -v[32:33], v[2:3], v[8:9]
	s_waitcnt vmcnt(0)
	v_subrev_co_u32_e32 v30, vcc, s20, v0
	v_subb_co_u32_e32 v31, vcc, v1, v28, vcc
	v_lshlrev_b64 v[30:31], 6, v[30:31]
	v_add_co_u32_e32 v74, vcc, s4, v30
	v_addc_co_u32_e32 v75, vcc, v29, v31, vcc
	global_load_dwordx4 v[0:3], v[80:81], off
	global_load_dwordx4 v[4:7], v[80:81], off offset:48
	global_load_dwordx4 v[8:11], v[80:81], off offset:32
	;; [unrolled: 1-line block ×6, first 2 shown]
	global_load_dwordx4 v[42:45], v[74:75], off
	s_waitcnt vmcnt(0)
	v_fmac_f64_e32 v[24:25], v[0:1], v[42:43]
	v_fmac_f64_e32 v[72:73], v[2:3], v[42:43]
	v_fma_f64 v[24:25], -v[2:3], v[44:45], v[24:25]
	v_fmac_f64_e32 v[72:73], v[0:1], v[44:45]
	v_fmac_f64_e32 v[24:25], v[12:13], v[38:39]
	v_fmac_f64_e32 v[72:73], v[14:15], v[38:39]
	v_fma_f64 v[0:1], -v[14:15], v[40:41], v[24:25]
	v_fmac_f64_e32 v[72:73], v[12:13], v[40:41]
	;; [unrolled: 4-line block ×4, first 2 shown]
	global_load_dwordx4 v[4:7], v[80:81], off offset:112
	global_load_dwordx4 v[8:11], v[80:81], off offset:96
	;; [unrolled: 1-line block ×4, first 2 shown]
	s_waitcnt vmcnt(0)
	v_fmac_f64_e32 v[26:27], v[74:75], v[42:43]
	v_fma_f64 v[2:3], -v[76:77], v[44:45], v[26:27]
	v_fmac_f64_e32 v[70:71], v[76:77], v[42:43]
	v_fmac_f64_e32 v[70:71], v[74:75], v[44:45]
	v_fmac_f64_e32 v[2:3], v[12:13], v[38:39]
	v_fma_f64 v[2:3], -v[14:15], v[40:41], v[2:3]
	v_fmac_f64_e32 v[70:71], v[14:15], v[38:39]
	v_fmac_f64_e32 v[70:71], v[12:13], v[40:41]
	;; [unrolled: 4-line block ×3, first 2 shown]
	v_fmac_f64_e32 v[2:3], v[4:5], v[30:31]
	v_fma_f64 v[2:3], -v[6:7], v[32:33], v[2:3]
	v_fmac_f64_e32 v[70:71], v[6:7], v[30:31]
	global_load_dwordx4 v[6:9], v[80:81], off offset:176
	global_load_dwordx4 v[10:13], v[80:81], off offset:160
	;; [unrolled: 1-line block ×4, first 2 shown]
	v_fmac_f64_e32 v[70:71], v[4:5], v[32:33]
	s_waitcnt vmcnt(0)
	v_fmac_f64_e32 v[46:47], v[74:75], v[42:43]
	v_fma_f64 v[4:5], -v[76:77], v[44:45], v[46:47]
	v_fmac_f64_e32 v[62:63], v[76:77], v[42:43]
	v_fmac_f64_e32 v[62:63], v[74:75], v[44:45]
	v_fmac_f64_e32 v[4:5], v[24:25], v[38:39]
	v_fma_f64 v[4:5], -v[26:27], v[40:41], v[4:5]
	v_fmac_f64_e32 v[62:63], v[26:27], v[38:39]
	v_fmac_f64_e32 v[62:63], v[24:25], v[40:41]
	;; [unrolled: 4-line block ×3, first 2 shown]
	v_fmac_f64_e32 v[4:5], v[6:7], v[30:31]
	v_fma_f64 v[4:5], -v[8:9], v[32:33], v[4:5]
	v_fmac_f64_e32 v[62:63], v[8:9], v[30:31]
	global_load_dwordx4 v[8:11], v[80:81], off offset:240
	global_load_dwordx4 v[12:15], v[80:81], off offset:224
	;; [unrolled: 1-line block ×4, first 2 shown]
	v_fmac_f64_e32 v[62:63], v[6:7], v[32:33]
	s_waitcnt vmcnt(0)
	v_fmac_f64_e32 v[60:61], v[76:77], v[42:43]
	v_fmac_f64_e32 v[78:79], v[74:75], v[42:43]
	v_fmac_f64_e32 v[60:61], v[74:75], v[44:45]
	v_fma_f64 v[6:7], -v[76:77], v[44:45], v[78:79]
	v_fmac_f64_e32 v[60:61], v[26:27], v[38:39]
	v_fmac_f64_e32 v[6:7], v[24:25], v[38:39]
	v_fmac_f64_e32 v[60:61], v[24:25], v[40:41]
	v_fma_f64 v[6:7], -v[26:27], v[40:41], v[6:7]
	;; [unrolled: 4-line block ×3, first 2 shown]
	v_fmac_f64_e32 v[60:61], v[10:11], v[30:31]
	v_fmac_f64_e32 v[6:7], v[8:9], v[30:31]
	v_fmac_f64_e32 v[60:61], v[8:9], v[32:33]
	global_load_dwordx2 v[8:9], v[22:23], off
	v_fma_f64 v[6:7], -v[10:11], v[32:33], v[6:7]
	s_waitcnt vmcnt(0)
	v_subrev_co_u32_e32 v8, vcc, s20, v8
	v_subb_co_u32_e32 v9, vcc, v9, v28, vcc
	v_add_co_u32_e32 v46, vcc, s21, v18
	v_addc_co_u32_e32 v47, vcc, 0, v19, vcc
	v_lshlrev_b64 v[8:9], 6, v[8:9]
	v_add_co_u32_e32 v8, vcc, s4, v8
	v_addc_co_u32_e32 v9, vcc, v29, v9, vcc
	global_load_dwordx4 v[10:13], v[46:47], off
	global_load_dwordx4 v[24:27], v[46:47], off offset:48
	global_load_dwordx4 v[30:33], v[46:47], off offset:32
	;; [unrolled: 1-line block ×6, first 2 shown]
	global_load_dwordx4 v[78:81], v[8:9], off
	s_waitcnt vmcnt(0)
	v_fmac_f64_e32 v[0:1], v[10:11], v[78:79]
	v_fmac_f64_e32 v[72:73], v[12:13], v[78:79]
	v_fma_f64 v[0:1], -v[12:13], v[80:81], v[0:1]
	v_fmac_f64_e32 v[72:73], v[10:11], v[80:81]
	v_fmac_f64_e32 v[0:1], v[34:35], v[74:75]
	v_fmac_f64_e32 v[72:73], v[36:37], v[74:75]
	v_fma_f64 v[0:1], -v[36:37], v[76:77], v[0:1]
	v_fmac_f64_e32 v[72:73], v[34:35], v[76:77]
	v_fmac_f64_e32 v[0:1], v[30:31], v[42:43]
	v_fmac_f64_e32 v[72:73], v[32:33], v[42:43]
	v_fma_f64 v[0:1], -v[32:33], v[44:45], v[0:1]
	v_fmac_f64_e32 v[72:73], v[30:31], v[44:45]
	v_fmac_f64_e32 v[0:1], v[24:25], v[38:39]
	v_fmac_f64_e32 v[72:73], v[26:27], v[38:39]
	v_fma_f64 v[0:1], -v[26:27], v[40:41], v[0:1]
	v_fmac_f64_e32 v[72:73], v[24:25], v[40:41]
	global_load_dwordx4 v[8:11], v[46:47], off offset:112
	global_load_dwordx4 v[12:15], v[46:47], off offset:96
	global_load_dwordx4 v[24:27], v[46:47], off offset:80
	global_load_dwordx4 v[30:33], v[46:47], off offset:64
	s_waitcnt vmcnt(0)
	v_fmac_f64_e32 v[2:3], v[30:31], v[78:79]
	v_fmac_f64_e32 v[70:71], v[32:33], v[78:79]
	v_fma_f64 v[2:3], -v[32:33], v[80:81], v[2:3]
	v_fmac_f64_e32 v[70:71], v[30:31], v[80:81]
	v_fmac_f64_e32 v[2:3], v[24:25], v[74:75]
	v_fmac_f64_e32 v[70:71], v[26:27], v[74:75]
	v_fma_f64 v[2:3], -v[26:27], v[76:77], v[2:3]
	v_fmac_f64_e32 v[70:71], v[24:25], v[76:77]
	v_fmac_f64_e32 v[2:3], v[12:13], v[42:43]
	v_fmac_f64_e32 v[70:71], v[14:15], v[42:43]
	v_fma_f64 v[2:3], -v[14:15], v[44:45], v[2:3]
	v_fmac_f64_e32 v[70:71], v[12:13], v[44:45]
	v_fmac_f64_e32 v[2:3], v[8:9], v[38:39]
	v_fmac_f64_e32 v[70:71], v[10:11], v[38:39]
	v_fma_f64 v[2:3], -v[10:11], v[40:41], v[2:3]
	v_fmac_f64_e32 v[70:71], v[8:9], v[40:41]
	global_load_dwordx4 v[8:11], v[46:47], off offset:176
	global_load_dwordx4 v[12:15], v[46:47], off offset:160
	global_load_dwordx4 v[24:27], v[46:47], off offset:144
	global_load_dwordx4 v[30:33], v[46:47], off offset:128
	;; [unrolled: 21-line block ×3, first 2 shown]
	s_waitcnt vmcnt(0)
	v_fmac_f64_e32 v[60:61], v[32:33], v[78:79]
	v_fmac_f64_e32 v[6:7], v[30:31], v[78:79]
	v_fmac_f64_e32 v[60:61], v[30:31], v[80:81]
	v_fma_f64 v[6:7], -v[32:33], v[80:81], v[6:7]
	v_fmac_f64_e32 v[60:61], v[26:27], v[74:75]
	v_fmac_f64_e32 v[6:7], v[24:25], v[74:75]
	v_fmac_f64_e32 v[60:61], v[24:25], v[76:77]
	v_fma_f64 v[6:7], -v[26:27], v[76:77], v[6:7]
	;; [unrolled: 4-line block ×3, first 2 shown]
	v_fmac_f64_e32 v[60:61], v[10:11], v[38:39]
	v_fmac_f64_e32 v[6:7], v[8:9], v[38:39]
	v_fmac_f64_e32 v[60:61], v[8:9], v[40:41]
	global_load_dwordx2 v[8:9], v[22:23], off offset:256
	v_fma_f64 v[6:7], -v[10:11], v[40:41], v[6:7]
	s_waitcnt vmcnt(0)
	v_subrev_co_u32_e32 v34, vcc, s20, v8
	v_subb_co_u32_e32 v35, vcc, v9, v28, vcc
	v_add_co_u32_e32 v46, vcc, s22, v18
	v_addc_co_u32_e32 v47, vcc, 0, v19, vcc
	v_lshlrev_b64 v[34:35], 6, v[34:35]
	v_add_co_u32_e32 v74, vcc, s4, v34
	v_addc_co_u32_e32 v75, vcc, v29, v35, vcc
	global_load_dwordx4 v[8:11], v[46:47], off
	global_load_dwordx4 v[12:15], v[46:47], off offset:48
	global_load_dwordx4 v[24:27], v[46:47], off offset:32
	;; [unrolled: 1-line block ×6, first 2 shown]
	global_load_dwordx4 v[82:85], v[74:75], off
	v_add_co_u32_e32 v20, vcc, 0x80, v20
	v_addc_co_u32_e32 v21, vcc, 0, v21, vcc
	v_add_co_u32_e32 v22, vcc, 0x400, v22
	v_addc_co_u32_e32 v23, vcc, 0, v23, vcc
	v_cmp_ge_i64_e64 s[2:3], v[20:21], v[66:67]
	v_add_co_u32_e32 v18, vcc, 0x8000, v18
	v_addc_co_u32_e32 v19, vcc, 0, v19, vcc
	s_or_b64 s[18:19], s[2:3], s[18:19]
	s_waitcnt vmcnt(0)
	v_fmac_f64_e32 v[0:1], v[8:9], v[82:83]
	v_fmac_f64_e32 v[72:73], v[10:11], v[82:83]
	v_fma_f64 v[0:1], -v[10:11], v[84:85], v[0:1]
	v_fmac_f64_e32 v[72:73], v[8:9], v[84:85]
	v_fmac_f64_e32 v[0:1], v[30:31], v[42:43]
	v_fmac_f64_e32 v[72:73], v[32:33], v[42:43]
	v_fma_f64 v[0:1], -v[32:33], v[44:45], v[0:1]
	v_fmac_f64_e32 v[72:73], v[30:31], v[44:45]
	v_fmac_f64_e32 v[0:1], v[24:25], v[38:39]
	v_fmac_f64_e32 v[72:73], v[26:27], v[38:39]
	v_fma_f64 v[0:1], -v[26:27], v[40:41], v[0:1]
	v_fmac_f64_e32 v[72:73], v[24:25], v[40:41]
	v_fmac_f64_e32 v[0:1], v[12:13], v[34:35]
	v_fmac_f64_e32 v[72:73], v[14:15], v[34:35]
	v_fma_f64 v[80:81], -v[14:15], v[36:37], v[0:1]
	v_fmac_f64_e32 v[72:73], v[12:13], v[36:37]
	global_load_dwordx4 v[8:11], v[46:47], off offset:112
	global_load_dwordx4 v[12:15], v[46:47], off offset:96
	global_load_dwordx4 v[24:27], v[46:47], off offset:80
	global_load_dwordx4 v[30:33], v[46:47], off offset:64
	s_waitcnt vmcnt(0)
	v_fmac_f64_e32 v[2:3], v[30:31], v[82:83]
	v_fmac_f64_e32 v[70:71], v[32:33], v[82:83]
	v_fma_f64 v[0:1], -v[32:33], v[84:85], v[2:3]
	v_fmac_f64_e32 v[70:71], v[30:31], v[84:85]
	v_fmac_f64_e32 v[0:1], v[24:25], v[42:43]
	v_fmac_f64_e32 v[70:71], v[26:27], v[42:43]
	v_fma_f64 v[0:1], -v[26:27], v[44:45], v[0:1]
	v_fmac_f64_e32 v[70:71], v[24:25], v[44:45]
	v_fmac_f64_e32 v[0:1], v[12:13], v[38:39]
	v_fmac_f64_e32 v[70:71], v[14:15], v[38:39]
	v_fma_f64 v[0:1], -v[14:15], v[40:41], v[0:1]
	v_fmac_f64_e32 v[70:71], v[12:13], v[40:41]
	v_fmac_f64_e32 v[0:1], v[8:9], v[34:35]
	v_fmac_f64_e32 v[70:71], v[10:11], v[34:35]
	v_fma_f64 v[78:79], -v[10:11], v[36:37], v[0:1]
	v_fmac_f64_e32 v[70:71], v[8:9], v[36:37]
	global_load_dwordx4 v[0:3], v[46:47], off offset:176
	global_load_dwordx4 v[8:11], v[46:47], off offset:160
	global_load_dwordx4 v[12:15], v[46:47], off offset:144
	global_load_dwordx4 v[24:27], v[46:47], off offset:128
	;; [unrolled: 21-line block ×3, first 2 shown]
	s_waitcnt vmcnt(0)
	v_fmac_f64_e32 v[6:7], v[24:25], v[82:83]
	v_fmac_f64_e32 v[60:61], v[26:27], v[82:83]
	v_fma_f64 v[4:5], -v[26:27], v[84:85], v[6:7]
	v_fmac_f64_e32 v[60:61], v[24:25], v[84:85]
	v_fmac_f64_e32 v[4:5], v[12:13], v[42:43]
	v_fmac_f64_e32 v[60:61], v[14:15], v[42:43]
	v_fma_f64 v[4:5], -v[14:15], v[44:45], v[4:5]
	v_fmac_f64_e32 v[60:61], v[12:13], v[44:45]
	;; [unrolled: 4-line block ×4, first 2 shown]
	s_andn2_b64 exec, exec, s[18:19]
	s_cbranch_execnz .LBB58_25
; %bb.26:
	s_or_b64 exec, exec, s[18:19]
.LBB58_27:
	s_or_b64 exec, exec, s[14:15]
.LBB58_28:
	s_or_b64 exec, exec, s[10:11]
	s_andn2_b64 vcc, exec, s[8:9]
	s_cbranch_vccz .LBB58_30
	s_branch .LBB58_41
.LBB58_29:
                                        ; implicit-def: $vgpr72_vgpr73
                                        ; implicit-def: $vgpr80_vgpr81
                                        ; implicit-def: $vgpr74_vgpr75
                                        ; implicit-def: $vgpr60_vgpr61
                                        ; implicit-def: $vgpr76_vgpr77
                                        ; implicit-def: $vgpr62_vgpr63
                                        ; implicit-def: $vgpr78_vgpr79
                                        ; implicit-def: $vgpr70_vgpr71
.LBB58_30:
	v_pk_mov_b32 v[72:73], 0, 0
	v_pk_mov_b32 v[80:81], v[72:73], v[72:73] op_sel:[0,1]
	v_pk_mov_b32 v[74:75], v[72:73], v[72:73] op_sel:[0,1]
	;; [unrolled: 1-line block ×7, first 2 shown]
	s_and_saveexec_b64 s[2:3], s[0:1]
	s_cbranch_execz .LBB58_40
; %bb.31:
	v_or_b32_e32 v0, 32, v58
	v_mov_b32_e32 v1, s17
	v_subrev_co_u32_e32 v0, vcc, s20, v0
	v_subb_co_u32_e32 v1, vcc, 0, v1, vcc
	v_add_co_u32_e32 v0, vcc, v0, v16
	v_addc_co_u32_e32 v1, vcc, v1, v17, vcc
	v_cmp_gt_i64_e32 vcc, v[0:1], v[66:67]
	v_cndmask_b32_e32 v1, v67, v1, vcc
	v_cndmask_b32_e32 v0, v66, v0, vcc
	v_mov_b32_e32 v4, s17
	v_sub_co_u32_e32 v5, vcc, s20, v58
	v_not_b32_e32 v3, v16
	v_subbrev_co_u32_e32 v4, vcc, 0, v4, vcc
	v_not_b32_e32 v2, v17
	v_add_co_u32_e32 v3, vcc, v5, v3
	v_addc_co_u32_e32 v2, vcc, v4, v2, vcc
	v_add_co_u32_e32 v82, vcc, v3, v0
	v_lshrrev_b32_e32 v0, 5, v82
	v_add_u32_e32 v0, 1, v0
	v_addc_co_u32_e32 v83, vcc, v2, v1, vcc
	v_and_b32_e32 v0, 3, v0
	v_pk_mov_b32 v[70:71], 0, 0
	v_cmp_ne_u32_e32 vcc, 0, v0
	s_mov_b64 s[10:11], 0
	v_pk_mov_b32 v[78:79], v[70:71], v[70:71] op_sel:[0,1]
	v_pk_mov_b32 v[62:63], v[70:71], v[70:71] op_sel:[0,1]
	;; [unrolled: 1-line block ×7, first 2 shown]
	s_and_saveexec_b64 s[8:9], vcc
	s_cbranch_execz .LBB58_35
; %bb.32:
	v_lshlrev_b64 v[2:3], 3, v[64:65]
	v_mov_b32_e32 v1, s13
	v_add_co_u32_e32 v86, vcc, s12, v2
	v_pk_mov_b32 v[72:73], 0, 0
	v_mov_b32_e32 v85, 0
	v_addc_co_u32_e32 v87, vcc, v1, v3, vcc
	v_lshlrev_b32_e32 v84, 3, v0
	s_movk_i32 s14, 0x2000
	v_mov_b32_e32 v59, s17
	v_mov_b32_e32 v90, s5
	v_pk_mov_b32 v[80:81], v[72:73], v[72:73] op_sel:[0,1]
	v_pk_mov_b32 v[74:75], v[72:73], v[72:73] op_sel:[0,1]
	v_pk_mov_b32 v[60:61], v[72:73], v[72:73] op_sel:[0,1]
	v_pk_mov_b32 v[76:77], v[72:73], v[72:73] op_sel:[0,1]
	v_pk_mov_b32 v[62:63], v[72:73], v[72:73] op_sel:[0,1]
	v_pk_mov_b32 v[78:79], v[72:73], v[72:73] op_sel:[0,1]
	v_pk_mov_b32 v[70:71], v[72:73], v[72:73] op_sel:[0,1]
.LBB58_33:                              ; =>This Inner Loop Header: Depth=1
	global_load_dwordx2 v[88:89], v[86:87], off
	global_load_dwordx4 v[0:3], v[68:69], off offset:48
	global_load_dwordx4 v[4:7], v[68:69], off offset:32
	;; [unrolled: 1-line block ×3, first 2 shown]
	global_load_dwordx4 v[12:15], v[68:69], off
	global_load_dwordx4 v[16:19], v[68:69], off offset:112
	global_load_dwordx4 v[20:23], v[68:69], off offset:96
	;; [unrolled: 1-line block ×12, first 2 shown]
	v_add_co_u32_e32 v68, vcc, s14, v68
	s_mov_b64 s[0:1], vcc
	v_addc_co_u32_e64 v69, s[0:1], 0, v69, s[0:1]
	s_waitcnt vmcnt(16)
	v_subrev_co_u32_e32 v88, vcc, s20, v88
	v_subb_co_u32_e32 v89, vcc, v89, v59, vcc
	v_lshlrev_b64 v[88:89], 6, v[88:89]
	v_add_co_u32_e32 v88, vcc, s4, v88
	v_addc_co_u32_e32 v89, vcc, v90, v89, vcc
	global_load_dwordx4 v[108:111], v[88:89], off
	global_load_dwordx4 v[112:115], v[88:89], off offset:16
	global_load_dwordx4 v[116:119], v[88:89], off offset:32
	;; [unrolled: 1-line block ×3, first 2 shown]
	v_add_co_u32_e32 v64, vcc, 32, v64
	v_addc_co_u32_e32 v65, vcc, 0, v65, vcc
	v_add_co_u32_e32 v84, vcc, -8, v84
	v_addc_co_u32_e32 v85, vcc, -1, v85, vcc
	v_add_co_u32_e32 v86, vcc, 0x100, v86
	v_cmp_eq_u64_e64 s[0:1], 0, v[84:85]
	v_addc_co_u32_e32 v87, vcc, 0, v87, vcc
	s_or_b64 s[10:11], s[0:1], s[10:11]
	s_waitcnt vmcnt(3)
	v_fmac_f64_e32 v[80:81], v[12:13], v[108:109]
	v_fmac_f64_e32 v[72:73], v[14:15], v[108:109]
	v_fmac_f64_e32 v[78:79], v[8:9], v[108:109]
	v_fmac_f64_e32 v[70:71], v[10:11], v[108:109]
	v_fmac_f64_e32 v[76:77], v[4:5], v[108:109]
	v_fmac_f64_e32 v[62:63], v[6:7], v[108:109]
	v_fmac_f64_e32 v[74:75], v[0:1], v[108:109]
	v_fmac_f64_e32 v[60:61], v[2:3], v[108:109]
	v_fma_f64 v[14:15], -v[14:15], v[110:111], v[80:81]
	v_fmac_f64_e32 v[72:73], v[12:13], v[110:111]
	v_fma_f64 v[10:11], -v[10:11], v[110:111], v[78:79]
	v_fmac_f64_e32 v[70:71], v[8:9], v[110:111]
	v_fma_f64 v[6:7], -v[6:7], v[110:111], v[76:77]
	v_fmac_f64_e32 v[62:63], v[4:5], v[110:111]
	v_fma_f64 v[2:3], -v[2:3], v[110:111], v[74:75]
	v_fmac_f64_e32 v[60:61], v[0:1], v[110:111]
	s_waitcnt vmcnt(2)
	v_fmac_f64_e32 v[14:15], v[28:29], v[112:113]
	v_fmac_f64_e32 v[72:73], v[30:31], v[112:113]
	v_fmac_f64_e32 v[10:11], v[24:25], v[112:113]
	v_fmac_f64_e32 v[70:71], v[26:27], v[112:113]
	v_fmac_f64_e32 v[6:7], v[20:21], v[112:113]
	v_fmac_f64_e32 v[62:63], v[22:23], v[112:113]
	v_fmac_f64_e32 v[2:3], v[16:17], v[112:113]
	v_fmac_f64_e32 v[60:61], v[18:19], v[112:113]
	v_fma_f64 v[0:1], -v[30:31], v[114:115], v[14:15]
	v_fmac_f64_e32 v[72:73], v[28:29], v[114:115]
	v_fma_f64 v[4:5], -v[26:27], v[114:115], v[10:11]
	v_fmac_f64_e32 v[70:71], v[24:25], v[114:115]
	v_fma_f64 v[6:7], -v[22:23], v[114:115], v[6:7]
	v_fmac_f64_e32 v[62:63], v[20:21], v[114:115]
	v_fma_f64 v[2:3], -v[18:19], v[114:115], v[2:3]
	v_fmac_f64_e32 v[60:61], v[16:17], v[114:115]
	;; [unrolled: 17-line block ×4, first 2 shown]
	s_andn2_b64 exec, exec, s[10:11]
	s_cbranch_execnz .LBB58_33
; %bb.34:
	s_or_b64 exec, exec, s[10:11]
.LBB58_35:
	s_or_b64 exec, exec, s[8:9]
	s_mov_b64 s[0:1], 0x5f
	v_cmp_lt_u64_e32 vcc, s[0:1], v[82:83]
	s_and_saveexec_b64 s[8:9], vcc
	s_cbranch_execz .LBB58_39
; %bb.36:
	v_lshlrev_b64 v[0:1], 3, v[64:65]
	v_mov_b32_e32 v2, s13
	v_add_co_u32_e32 v0, vcc, s12, v0
	v_addc_co_u32_e32 v1, vcc, v1, v2, vcc
	v_add_co_u32_e32 v8, vcc, 0x200, v0
	v_addc_co_u32_e32 v9, vcc, 0, v1, vcc
	s_mov_b64 s[10:11], 0
	v_mov_b32_e32 v12, s17
	v_mov_b32_e32 v13, s5
	s_movk_i32 s5, 0x2000
	s_movk_i32 s12, 0x4000
	;; [unrolled: 1-line block ×3, first 2 shown]
.LBB58_37:                              ; =>This Inner Loop Header: Depth=1
	global_load_dwordx2 v[0:1], v[8:9], off offset:-512
	global_load_dwordx4 v[14:17], v[68:69], off offset:48
	global_load_dwordx4 v[18:21], v[68:69], off offset:32
	;; [unrolled: 1-line block ×3, first 2 shown]
	global_load_dwordx4 v[26:29], v[68:69], off
	s_waitcnt vmcnt(4)
	v_subrev_co_u32_e32 v0, vcc, s20, v0
	v_subb_co_u32_e32 v1, vcc, v1, v12, vcc
	v_lshlrev_b64 v[0:1], 6, v[0:1]
	v_add_co_u32_e32 v10, vcc, s4, v0
	v_addc_co_u32_e32 v11, vcc, v13, v1, vcc
	global_load_dwordx4 v[0:3], v[10:11], off offset:48
	global_load_dwordx4 v[4:7], v[10:11], off offset:32
	;; [unrolled: 1-line block ×3, first 2 shown]
	global_load_dwordx4 v[34:37], v[10:11], off
	v_add_co_u32_e32 v44, vcc, s5, v68
	v_addc_co_u32_e32 v45, vcc, 0, v69, vcc
	s_waitcnt vmcnt(0)
	v_fmac_f64_e32 v[80:81], v[26:27], v[34:35]
	v_fmac_f64_e32 v[72:73], v[28:29], v[34:35]
	;; [unrolled: 1-line block ×8, first 2 shown]
	v_fma_f64 v[10:11], -v[28:29], v[36:37], v[80:81]
	v_fmac_f64_e32 v[72:73], v[26:27], v[36:37]
	v_fma_f64 v[38:39], -v[24:25], v[36:37], v[78:79]
	v_fmac_f64_e32 v[70:71], v[22:23], v[36:37]
	v_fma_f64 v[40:41], -v[20:21], v[36:37], v[76:77]
	v_fmac_f64_e32 v[62:63], v[18:19], v[36:37]
	v_fma_f64 v[42:43], -v[16:17], v[36:37], v[74:75]
	v_fmac_f64_e32 v[60:61], v[14:15], v[36:37]
	global_load_dwordx4 v[14:17], v[68:69], off offset:112
	global_load_dwordx4 v[18:21], v[68:69], off offset:96
	global_load_dwordx4 v[22:25], v[68:69], off offset:80
	global_load_dwordx4 v[26:29], v[68:69], off offset:64
	s_waitcnt vmcnt(3)
	v_fmac_f64_e32 v[42:43], v[14:15], v[30:31]
	s_waitcnt vmcnt(2)
	v_fmac_f64_e32 v[40:41], v[18:19], v[30:31]
	s_waitcnt vmcnt(1)
	v_fmac_f64_e32 v[38:39], v[22:23], v[30:31]
	s_waitcnt vmcnt(0)
	v_fmac_f64_e32 v[10:11], v[26:27], v[30:31]
	v_fmac_f64_e32 v[72:73], v[28:29], v[30:31]
	v_fmac_f64_e32 v[70:71], v[24:25], v[30:31]
	v_fmac_f64_e32 v[62:63], v[20:21], v[30:31]
	v_fmac_f64_e32 v[60:61], v[16:17], v[30:31]
	v_fma_f64 v[10:11], -v[28:29], v[32:33], v[10:11]
	v_fmac_f64_e32 v[72:73], v[26:27], v[32:33]
	v_fma_f64 v[34:35], -v[24:25], v[32:33], v[38:39]
	v_fmac_f64_e32 v[70:71], v[22:23], v[32:33]
	v_fma_f64 v[36:37], -v[20:21], v[32:33], v[40:41]
	v_fmac_f64_e32 v[62:63], v[18:19], v[32:33]
	v_fma_f64 v[38:39], -v[16:17], v[32:33], v[42:43]
	v_fmac_f64_e32 v[60:61], v[14:15], v[32:33]
	global_load_dwordx4 v[14:17], v[68:69], off offset:176
	global_load_dwordx4 v[18:21], v[68:69], off offset:160
	global_load_dwordx4 v[22:25], v[68:69], off offset:144
	global_load_dwordx4 v[26:29], v[68:69], off offset:128
	s_waitcnt vmcnt(3)
	v_fmac_f64_e32 v[38:39], v[14:15], v[4:5]
	s_waitcnt vmcnt(2)
	v_fmac_f64_e32 v[36:37], v[18:19], v[4:5]
	s_waitcnt vmcnt(1)
	v_fmac_f64_e32 v[34:35], v[22:23], v[4:5]
	s_waitcnt vmcnt(0)
	v_fmac_f64_e32 v[10:11], v[26:27], v[4:5]
	v_fmac_f64_e32 v[72:73], v[28:29], v[4:5]
	v_fmac_f64_e32 v[70:71], v[24:25], v[4:5]
	v_fmac_f64_e32 v[62:63], v[20:21], v[4:5]
	v_fmac_f64_e32 v[60:61], v[16:17], v[4:5]
	;; [unrolled: 24-line block ×3, first 2 shown]
	global_load_dwordx2 v[0:1], v[8:9], off offset:-256
	v_fmac_f64_e32 v[72:73], v[22:23], v[2:3]
	v_fma_f64 v[10:11], -v[24:25], v[2:3], v[10:11]
	v_fma_f64 v[38:39], -v[20:21], v[2:3], v[26:27]
	v_fmac_f64_e32 v[70:71], v[18:19], v[2:3]
	v_fma_f64 v[40:41], -v[16:17], v[2:3], v[28:29]
	v_fmac_f64_e32 v[62:63], v[14:15], v[2:3]
	;; [unrolled: 2-line block ×3, first 2 shown]
	s_waitcnt vmcnt(0)
	v_subrev_co_u32_e32 v22, vcc, s20, v0
	v_subb_co_u32_e32 v23, vcc, v1, v12, vcc
	v_lshlrev_b64 v[22:23], 6, v[22:23]
	v_add_co_u32_e32 v46, vcc, s4, v22
	v_addc_co_u32_e32 v47, vcc, v13, v23, vcc
	global_load_dwordx4 v[0:3], v[44:45], off
	global_load_dwordx4 v[4:7], v[44:45], off offset:48
	global_load_dwordx4 v[14:17], v[44:45], off offset:32
	;; [unrolled: 1-line block ×6, first 2 shown]
	global_load_dwordx4 v[34:37], v[46:47], off
	s_waitcnt vmcnt(0)
	v_fmac_f64_e32 v[10:11], v[0:1], v[34:35]
	v_fmac_f64_e32 v[72:73], v[2:3], v[34:35]
	;; [unrolled: 1-line block ×8, first 2 shown]
	v_fma_f64 v[10:11], -v[2:3], v[36:37], v[10:11]
	v_fmac_f64_e32 v[72:73], v[0:1], v[36:37]
	v_fma_f64 v[38:39], -v[20:21], v[36:37], v[38:39]
	v_fmac_f64_e32 v[70:71], v[18:19], v[36:37]
	;; [unrolled: 2-line block ×4, first 2 shown]
	global_load_dwordx4 v[0:3], v[44:45], off offset:112
	global_load_dwordx4 v[4:7], v[44:45], off offset:96
	;; [unrolled: 1-line block ×4, first 2 shown]
	s_waitcnt vmcnt(3)
	v_fmac_f64_e32 v[42:43], v[0:1], v[30:31]
	s_waitcnt vmcnt(2)
	v_fmac_f64_e32 v[40:41], v[4:5], v[30:31]
	;; [unrolled: 2-line block ×4, first 2 shown]
	v_fmac_f64_e32 v[72:73], v[20:21], v[30:31]
	v_fmac_f64_e32 v[70:71], v[16:17], v[30:31]
	;; [unrolled: 1-line block ×4, first 2 shown]
	v_fma_f64 v[10:11], -v[20:21], v[32:33], v[10:11]
	v_fmac_f64_e32 v[72:73], v[18:19], v[32:33]
	v_fma_f64 v[34:35], -v[16:17], v[32:33], v[38:39]
	v_fmac_f64_e32 v[70:71], v[14:15], v[32:33]
	;; [unrolled: 2-line block ×4, first 2 shown]
	global_load_dwordx4 v[0:3], v[44:45], off offset:176
	global_load_dwordx4 v[4:7], v[44:45], off offset:160
	;; [unrolled: 1-line block ×4, first 2 shown]
	s_waitcnt vmcnt(3)
	v_fmac_f64_e32 v[38:39], v[0:1], v[26:27]
	s_waitcnt vmcnt(2)
	v_fmac_f64_e32 v[36:37], v[4:5], v[26:27]
	;; [unrolled: 2-line block ×4, first 2 shown]
	v_fmac_f64_e32 v[72:73], v[20:21], v[26:27]
	v_fmac_f64_e32 v[70:71], v[16:17], v[26:27]
	;; [unrolled: 1-line block ×4, first 2 shown]
	v_fma_f64 v[10:11], -v[20:21], v[28:29], v[10:11]
	v_fmac_f64_e32 v[72:73], v[18:19], v[28:29]
	v_fma_f64 v[30:31], -v[16:17], v[28:29], v[34:35]
	v_fmac_f64_e32 v[70:71], v[14:15], v[28:29]
	;; [unrolled: 2-line block ×4, first 2 shown]
	global_load_dwordx4 v[14:17], v[44:45], off offset:240
	global_load_dwordx4 v[18:21], v[44:45], off offset:224
	global_load_dwordx4 v[4:7], v[44:45], off offset:208
	global_load_dwordx4 v[26:29], v[44:45], off offset:192
	s_waitcnt vmcnt(3)
	v_fmac_f64_e32 v[34:35], v[14:15], v[22:23]
	s_waitcnt vmcnt(2)
	v_fmac_f64_e32 v[32:33], v[18:19], v[22:23]
	;; [unrolled: 2-line block ×4, first 2 shown]
	v_fma_f64 v[0:1], -v[28:29], v[24:25], v[10:11]
	global_load_dwordx2 v[10:11], v[8:9], off
	v_fmac_f64_e32 v[72:73], v[28:29], v[22:23]
	v_fmac_f64_e32 v[70:71], v[6:7], v[22:23]
	;; [unrolled: 1-line block ×5, first 2 shown]
	v_fma_f64 v[2:3], -v[6:7], v[24:25], v[30:31]
	v_fmac_f64_e32 v[70:71], v[4:5], v[24:25]
	v_fma_f64 v[4:5], -v[20:21], v[24:25], v[32:33]
	v_fmac_f64_e32 v[62:63], v[18:19], v[24:25]
	;; [unrolled: 2-line block ×3, first 2 shown]
	s_waitcnt vmcnt(0)
	v_subrev_co_u32_e32 v10, vcc, s20, v10
	v_subb_co_u32_e32 v11, vcc, v11, v12, vcc
	v_add_co_u32_e32 v46, vcc, s12, v68
	v_addc_co_u32_e32 v47, vcc, 0, v69, vcc
	v_lshlrev_b64 v[10:11], 6, v[10:11]
	v_add_co_u32_e32 v10, vcc, s4, v10
	v_addc_co_u32_e32 v11, vcc, v13, v11, vcc
	global_load_dwordx4 v[14:17], v[46:47], off
	global_load_dwordx4 v[18:21], v[46:47], off offset:48
	global_load_dwordx4 v[22:25], v[46:47], off offset:32
	;; [unrolled: 1-line block ×6, first 2 shown]
	global_load_dwordx4 v[42:45], v[10:11], off
	s_waitcnt vmcnt(0)
	v_fmac_f64_e32 v[0:1], v[14:15], v[42:43]
	v_fmac_f64_e32 v[72:73], v[16:17], v[42:43]
	;; [unrolled: 1-line block ×8, first 2 shown]
	v_fma_f64 v[10:11], -v[16:17], v[44:45], v[0:1]
	v_fmac_f64_e32 v[72:73], v[14:15], v[44:45]
	v_fma_f64 v[74:75], -v[28:29], v[44:45], v[2:3]
	v_fmac_f64_e32 v[70:71], v[26:27], v[44:45]
	v_fma_f64 v[26:27], -v[24:25], v[44:45], v[4:5]
	v_fmac_f64_e32 v[62:63], v[22:23], v[44:45]
	v_fma_f64 v[22:23], -v[20:21], v[44:45], v[6:7]
	v_fmac_f64_e32 v[60:61], v[18:19], v[44:45]
	global_load_dwordx4 v[0:3], v[46:47], off offset:112
	global_load_dwordx4 v[4:7], v[46:47], off offset:96
	;; [unrolled: 1-line block ×4, first 2 shown]
	s_waitcnt vmcnt(3)
	v_fmac_f64_e32 v[22:23], v[0:1], v[38:39]
	s_waitcnt vmcnt(2)
	v_fmac_f64_e32 v[26:27], v[4:5], v[38:39]
	s_waitcnt vmcnt(1)
	v_fmac_f64_e32 v[74:75], v[14:15], v[38:39]
	s_waitcnt vmcnt(0)
	v_fmac_f64_e32 v[10:11], v[18:19], v[38:39]
	v_fmac_f64_e32 v[72:73], v[20:21], v[38:39]
	v_fmac_f64_e32 v[70:71], v[16:17], v[38:39]
	;; [unrolled: 1-line block ×4, first 2 shown]
	v_fma_f64 v[10:11], -v[20:21], v[40:41], v[10:11]
	v_fmac_f64_e32 v[72:73], v[18:19], v[40:41]
	v_fma_f64 v[24:25], -v[16:17], v[40:41], v[74:75]
	v_fmac_f64_e32 v[70:71], v[14:15], v[40:41]
	;; [unrolled: 2-line block ×4, first 2 shown]
	global_load_dwordx4 v[0:3], v[46:47], off offset:176
	global_load_dwordx4 v[4:7], v[46:47], off offset:160
	;; [unrolled: 1-line block ×4, first 2 shown]
	s_waitcnt vmcnt(3)
	v_fmac_f64_e32 v[22:23], v[0:1], v[34:35]
	s_waitcnt vmcnt(2)
	v_fmac_f64_e32 v[26:27], v[4:5], v[34:35]
	;; [unrolled: 2-line block ×4, first 2 shown]
	v_fmac_f64_e32 v[72:73], v[20:21], v[34:35]
	v_fmac_f64_e32 v[70:71], v[16:17], v[34:35]
	;; [unrolled: 1-line block ×3, first 2 shown]
	v_fma_f64 v[10:11], -v[20:21], v[36:37], v[10:11]
	v_fmac_f64_e32 v[72:73], v[18:19], v[36:37]
	v_fma_f64 v[28:29], -v[16:17], v[36:37], v[24:25]
	v_fmac_f64_e32 v[70:71], v[14:15], v[36:37]
	;; [unrolled: 2-line block ×3, first 2 shown]
	v_fma_f64 v[38:39], -v[2:3], v[36:37], v[22:23]
	global_load_dwordx4 v[14:17], v[46:47], off offset:240
	global_load_dwordx4 v[18:21], v[46:47], off offset:224
	;; [unrolled: 1-line block ×4, first 2 shown]
	v_fmac_f64_e32 v[60:61], v[2:3], v[34:35]
	v_fmac_f64_e32 v[60:61], v[0:1], v[36:37]
	s_waitcnt vmcnt(3)
	v_fmac_f64_e32 v[38:39], v[14:15], v[30:31]
	s_waitcnt vmcnt(2)
	;; [unrolled: 2-line block ×4, first 2 shown]
	v_fmac_f64_e32 v[10:11], v[22:23], v[30:31]
	v_fma_f64 v[0:1], -v[24:25], v[32:33], v[10:11]
	global_load_dwordx2 v[10:11], v[8:9], off offset:256
	v_fmac_f64_e32 v[72:73], v[24:25], v[30:31]
	v_fmac_f64_e32 v[70:71], v[6:7], v[30:31]
	;; [unrolled: 1-line block ×5, first 2 shown]
	v_fma_f64 v[2:3], -v[6:7], v[32:33], v[28:29]
	v_fmac_f64_e32 v[70:71], v[4:5], v[32:33]
	v_fma_f64 v[4:5], -v[20:21], v[32:33], v[26:27]
	v_fmac_f64_e32 v[62:63], v[18:19], v[32:33]
	;; [unrolled: 2-line block ×3, first 2 shown]
	s_waitcnt vmcnt(0)
	v_subrev_co_u32_e32 v10, vcc, s20, v10
	v_subb_co_u32_e32 v11, vcc, v11, v12, vcc
	v_add_co_u32_e32 v46, vcc, s13, v68
	v_addc_co_u32_e32 v47, vcc, 0, v69, vcc
	v_lshlrev_b64 v[10:11], 6, v[10:11]
	v_add_co_u32_e32 v10, vcc, s4, v10
	v_addc_co_u32_e32 v11, vcc, v13, v11, vcc
	global_load_dwordx4 v[14:17], v[46:47], off
	global_load_dwordx4 v[18:21], v[46:47], off offset:48
	global_load_dwordx4 v[22:25], v[46:47], off offset:32
	;; [unrolled: 1-line block ×6, first 2 shown]
	global_load_dwordx4 v[42:45], v[10:11], off
	v_add_co_u32_e32 v64, vcc, 0x80, v64
	v_addc_co_u32_e32 v65, vcc, 0, v65, vcc
	v_add_co_u32_e32 v8, vcc, 0x400, v8
	v_addc_co_u32_e32 v9, vcc, 0, v9, vcc
	v_cmp_ge_i64_e64 s[0:1], v[64:65], v[66:67]
	v_add_co_u32_e32 v68, vcc, 0x8000, v68
	v_addc_co_u32_e32 v69, vcc, 0, v69, vcc
	s_or_b64 s[10:11], s[0:1], s[10:11]
	s_waitcnt vmcnt(0)
	v_fmac_f64_e32 v[0:1], v[14:15], v[42:43]
	v_fmac_f64_e32 v[72:73], v[16:17], v[42:43]
	;; [unrolled: 1-line block ×8, first 2 shown]
	v_fma_f64 v[10:11], -v[16:17], v[44:45], v[0:1]
	v_fmac_f64_e32 v[72:73], v[14:15], v[44:45]
	v_fma_f64 v[74:75], -v[28:29], v[44:45], v[2:3]
	v_fmac_f64_e32 v[70:71], v[26:27], v[44:45]
	v_fma_f64 v[26:27], -v[24:25], v[44:45], v[4:5]
	v_fmac_f64_e32 v[62:63], v[22:23], v[44:45]
	v_fma_f64 v[22:23], -v[20:21], v[44:45], v[6:7]
	v_fmac_f64_e32 v[60:61], v[18:19], v[44:45]
	global_load_dwordx4 v[0:3], v[46:47], off offset:112
	global_load_dwordx4 v[4:7], v[46:47], off offset:96
	global_load_dwordx4 v[14:17], v[46:47], off offset:80
	global_load_dwordx4 v[18:21], v[46:47], off offset:64
	s_waitcnt vmcnt(3)
	v_fmac_f64_e32 v[22:23], v[0:1], v[38:39]
	s_waitcnt vmcnt(2)
	v_fmac_f64_e32 v[26:27], v[4:5], v[38:39]
	s_waitcnt vmcnt(1)
	v_fmac_f64_e32 v[74:75], v[14:15], v[38:39]
	s_waitcnt vmcnt(0)
	v_fmac_f64_e32 v[10:11], v[18:19], v[38:39]
	v_fmac_f64_e32 v[72:73], v[20:21], v[38:39]
	v_fmac_f64_e32 v[70:71], v[16:17], v[38:39]
	v_fmac_f64_e32 v[62:63], v[6:7], v[38:39]
	v_fmac_f64_e32 v[60:61], v[2:3], v[38:39]
	v_fma_f64 v[10:11], -v[20:21], v[40:41], v[10:11]
	v_fmac_f64_e32 v[72:73], v[18:19], v[40:41]
	v_fma_f64 v[24:25], -v[16:17], v[40:41], v[74:75]
	v_fmac_f64_e32 v[70:71], v[14:15], v[40:41]
	v_fma_f64 v[26:27], -v[6:7], v[40:41], v[26:27]
	v_fmac_f64_e32 v[62:63], v[4:5], v[40:41]
	v_fma_f64 v[22:23], -v[2:3], v[40:41], v[22:23]
	v_fmac_f64_e32 v[60:61], v[0:1], v[40:41]
	global_load_dwordx4 v[0:3], v[46:47], off offset:176
	global_load_dwordx4 v[4:7], v[46:47], off offset:160
	global_load_dwordx4 v[14:17], v[46:47], off offset:144
	global_load_dwordx4 v[18:21], v[46:47], off offset:128
	s_waitcnt vmcnt(3)
	v_fmac_f64_e32 v[22:23], v[0:1], v[34:35]
	s_waitcnt vmcnt(2)
	v_fmac_f64_e32 v[26:27], v[4:5], v[34:35]
	s_waitcnt vmcnt(1)
	v_fmac_f64_e32 v[24:25], v[14:15], v[34:35]
	s_waitcnt vmcnt(0)
	v_fmac_f64_e32 v[10:11], v[18:19], v[34:35]
	v_fmac_f64_e32 v[72:73], v[20:21], v[34:35]
	v_fmac_f64_e32 v[70:71], v[16:17], v[34:35]
	v_fmac_f64_e32 v[62:63], v[6:7], v[34:35]
	v_fmac_f64_e32 v[60:61], v[2:3], v[34:35]
	;; [unrolled: 24-line block ×3, first 2 shown]
	v_fma_f64 v[80:81], -v[20:21], v[32:33], v[10:11]
	v_fmac_f64_e32 v[72:73], v[18:19], v[32:33]
	v_fma_f64 v[78:79], -v[16:17], v[32:33], v[24:25]
	v_fmac_f64_e32 v[70:71], v[14:15], v[32:33]
	;; [unrolled: 2-line block ×4, first 2 shown]
	s_andn2_b64 exec, exec, s[10:11]
	s_cbranch_execnz .LBB58_37
; %bb.38:
	s_or_b64 exec, exec, s[10:11]
.LBB58_39:
	s_or_b64 exec, exec, s[8:9]
.LBB58_40:
	s_or_b64 exec, exec, s[2:3]
.LBB58_41:
	v_mov_b32_dpp v0, v80 row_shr:1 row_mask:0xf bank_mask:0xf
	v_mov_b32_dpp v1, v81 row_shr:1 row_mask:0xf bank_mask:0xf
	v_mov_b32_dpp v4, v72 row_shr:1 row_mask:0xf bank_mask:0xf
	v_mov_b32_dpp v5, v73 row_shr:1 row_mask:0xf bank_mask:0xf
	v_mov_b32_dpp v8, v78 row_shr:1 row_mask:0xf bank_mask:0xf
	v_mov_b32_dpp v9, v79 row_shr:1 row_mask:0xf bank_mask:0xf
	v_mov_b32_dpp v12, v70 row_shr:1 row_mask:0xf bank_mask:0xf
	v_mov_b32_dpp v13, v71 row_shr:1 row_mask:0xf bank_mask:0xf
	v_mov_b32_dpp v16, v76 row_shr:1 row_mask:0xf bank_mask:0xf
	v_mov_b32_dpp v17, v77 row_shr:1 row_mask:0xf bank_mask:0xf
	v_mov_b32_dpp v20, v62 row_shr:1 row_mask:0xf bank_mask:0xf
	v_mov_b32_dpp v21, v63 row_shr:1 row_mask:0xf bank_mask:0xf
	v_mov_b32_dpp v24, v74 row_shr:1 row_mask:0xf bank_mask:0xf
	v_mov_b32_dpp v25, v75 row_shr:1 row_mask:0xf bank_mask:0xf
	v_mov_b32_dpp v28, v60 row_shr:1 row_mask:0xf bank_mask:0xf
	v_mov_b32_dpp v29, v61 row_shr:1 row_mask:0xf bank_mask:0xf
	v_add_f64 v[0:1], v[80:81], v[0:1]
	v_add_f64 v[4:5], v[72:73], v[4:5]
	v_add_f64 v[8:9], v[78:79], v[8:9]
	v_add_f64 v[12:13], v[70:71], v[12:13]
	v_add_f64 v[16:17], v[76:77], v[16:17]
	v_add_f64 v[20:21], v[62:63], v[20:21]
	v_add_f64 v[24:25], v[74:75], v[24:25]
	v_add_f64 v[28:29], v[60:61], v[28:29]
	v_mov_b32_dpp v2, v0 row_shr:2 row_mask:0xf bank_mask:0xf
	v_mov_b32_dpp v3, v1 row_shr:2 row_mask:0xf bank_mask:0xf
	v_mov_b32_dpp v6, v4 row_shr:2 row_mask:0xf bank_mask:0xf
	v_mov_b32_dpp v7, v5 row_shr:2 row_mask:0xf bank_mask:0xf
	v_mov_b32_dpp v10, v8 row_shr:2 row_mask:0xf bank_mask:0xf
	v_mov_b32_dpp v11, v9 row_shr:2 row_mask:0xf bank_mask:0xf
	v_mov_b32_dpp v14, v12 row_shr:2 row_mask:0xf bank_mask:0xf
	v_mov_b32_dpp v15, v13 row_shr:2 row_mask:0xf bank_mask:0xf
	v_mov_b32_dpp v18, v16 row_shr:2 row_mask:0xf bank_mask:0xf
	v_mov_b32_dpp v19, v17 row_shr:2 row_mask:0xf bank_mask:0xf
	v_mov_b32_dpp v22, v20 row_shr:2 row_mask:0xf bank_mask:0xf
	v_mov_b32_dpp v23, v21 row_shr:2 row_mask:0xf bank_mask:0xf
	v_mov_b32_dpp v26, v24 row_shr:2 row_mask:0xf bank_mask:0xf
	v_mov_b32_dpp v27, v25 row_shr:2 row_mask:0xf bank_mask:0xf
	v_mov_b32_dpp v30, v28 row_shr:2 row_mask:0xf bank_mask:0xf
	v_mov_b32_dpp v31, v29 row_shr:2 row_mask:0xf bank_mask:0xf
	v_add_f64 v[0:1], v[0:1], v[2:3]
	v_add_f64 v[4:5], v[4:5], v[6:7]
	v_add_f64 v[8:9], v[8:9], v[10:11]
	v_add_f64 v[12:13], v[12:13], v[14:15]
	v_add_f64 v[16:17], v[16:17], v[18:19]
	v_add_f64 v[20:21], v[20:21], v[22:23]
	v_add_f64 v[24:25], v[24:25], v[26:27]
	v_add_f64 v[28:29], v[28:29], v[30:31]
	;; [unrolled: 24-line block ×4, first 2 shown]
	v_mov_b32_dpp v2, v0 row_bcast:15 row_mask:0xa bank_mask:0xf
	v_mov_b32_dpp v3, v1 row_bcast:15 row_mask:0xa bank_mask:0xf
	;; [unrolled: 1-line block ×16, first 2 shown]
	v_cmp_eq_u32_e32 vcc, 31, v58
	s_and_b64 exec, exec, vcc
	s_cbranch_execz .LBB58_12
; %bb.42:
	s_load_dwordx2 s[2:3], s[6:7], 0x68
	v_add_f64 v[32:33], v[0:1], v[2:3]
	v_add_f64 v[0:1], v[4:5], v[6:7]
	;; [unrolled: 1-line block ×8, first 2 shown]
	v_cmp_eq_f64_e32 vcc, 0, v[48:49]
	v_cmp_eq_f64_e64 s[0:1], 0, v[50:51]
	v_mul_f64 v[12:13], v[0:1], -v[54:55]
	v_mul_f64 v[14:15], v[52:53], v[0:1]
	v_mul_f64 v[8:9], v[2:3], -v[54:55]
	v_mul_f64 v[10:11], v[52:53], v[2:3]
	;; [unrolled: 2-line block ×4, first 2 shown]
	s_and_b64 s[0:1], vcc, s[0:1]
	v_fmac_f64_e32 v[12:13], v[52:53], v[32:33]
	v_fmac_f64_e32 v[14:15], v[54:55], v[32:33]
	v_lshlrev_b64 v[16:17], 6, v[56:57]
	v_fmac_f64_e32 v[8:9], v[52:53], v[34:35]
	v_fmac_f64_e32 v[10:11], v[54:55], v[34:35]
	;; [unrolled: 1-line block ×6, first 2 shown]
	s_and_saveexec_b64 s[4:5], s[0:1]
	s_xor_b64 s[0:1], exec, s[4:5]
	s_cbranch_execz .LBB58_44
; %bb.43:
	s_waitcnt lgkmcnt(0)
	v_mov_b32_e32 v18, s3
	v_add_co_u32_e32 v16, vcc, s2, v16
	v_addc_co_u32_e32 v17, vcc, v18, v17, vcc
	global_store_dwordx4 v[16:17], v[12:15], off
	global_store_dwordx4 v[16:17], v[8:11], off offset:16
	global_store_dwordx4 v[16:17], v[4:7], off offset:32
	;; [unrolled: 1-line block ×3, first 2 shown]
                                        ; implicit-def: $vgpr48_vgpr49
                                        ; implicit-def: $vgpr50_vgpr51
                                        ; implicit-def: $vgpr12_vgpr13
                                        ; implicit-def: $vgpr16_vgpr17
                                        ; implicit-def: $vgpr8_vgpr9
                                        ; implicit-def: $vgpr4_vgpr5
                                        ; implicit-def: $vgpr0_vgpr1
.LBB58_44:
	s_andn2_saveexec_b64 s[0:1], s[0:1]
	s_cbranch_execz .LBB58_12
; %bb.45:
	s_waitcnt lgkmcnt(0)
	v_mov_b32_e32 v18, s3
	v_add_co_u32_e32 v32, vcc, s2, v16
	v_addc_co_u32_e32 v33, vcc, v18, v17, vcc
	global_load_dwordx4 v[16:19], v[32:33], off
	global_load_dwordx4 v[20:23], v[32:33], off offset:16
	global_load_dwordx4 v[24:27], v[32:33], off offset:32
	;; [unrolled: 1-line block ×3, first 2 shown]
	s_waitcnt vmcnt(3)
	v_fmac_f64_e32 v[12:13], v[48:49], v[16:17]
	v_fmac_f64_e32 v[14:15], v[50:51], v[16:17]
	s_waitcnt vmcnt(2)
	v_fmac_f64_e32 v[8:9], v[48:49], v[20:21]
	v_fmac_f64_e32 v[10:11], v[50:51], v[20:21]
	;; [unrolled: 3-line block ×4, first 2 shown]
	v_fma_f64 v[12:13], -v[50:51], v[18:19], v[12:13]
	v_fmac_f64_e32 v[14:15], v[48:49], v[18:19]
	v_fma_f64 v[8:9], -v[50:51], v[22:23], v[8:9]
	v_fmac_f64_e32 v[10:11], v[48:49], v[22:23]
	;; [unrolled: 2-line block ×4, first 2 shown]
	global_store_dwordx4 v[32:33], v[12:15], off
	global_store_dwordx4 v[32:33], v[8:11], off offset:16
	global_store_dwordx4 v[32:33], v[4:7], off offset:32
	;; [unrolled: 1-line block ×3, first 2 shown]
	s_endpgm
	.section	.rodata,"a",@progbits
	.p2align	6, 0x0
	.amdhsa_kernel _ZN9rocsparseL18bsrxmvn_4x4_kernelILj128ELj32E21rocsparse_complex_numIdEllS2_S2_S2_EEvT3_20rocsparse_direction_NS_24const_host_device_scalarIT1_EES3_PKS3_PKT2_SC_S9_PKT4_PKT5_S7_PT6_21rocsparse_index_base_b
		.amdhsa_group_segment_fixed_size 2048
		.amdhsa_private_segment_fixed_size 0
		.amdhsa_kernarg_size 120
		.amdhsa_user_sgpr_count 8
		.amdhsa_user_sgpr_private_segment_buffer 1
		.amdhsa_user_sgpr_dispatch_ptr 1
		.amdhsa_user_sgpr_queue_ptr 0
		.amdhsa_user_sgpr_kernarg_segment_ptr 1
		.amdhsa_user_sgpr_dispatch_id 0
		.amdhsa_user_sgpr_flat_scratch_init 0
		.amdhsa_user_sgpr_kernarg_preload_length 0
		.amdhsa_user_sgpr_kernarg_preload_offset 0
		.amdhsa_user_sgpr_private_segment_size 0
		.amdhsa_uses_dynamic_stack 0
		.amdhsa_system_sgpr_private_segment_wavefront_offset 0
		.amdhsa_system_sgpr_workgroup_id_x 1
		.amdhsa_system_sgpr_workgroup_id_y 0
		.amdhsa_system_sgpr_workgroup_id_z 0
		.amdhsa_system_sgpr_workgroup_info 0
		.amdhsa_system_vgpr_workitem_id 2
		.amdhsa_next_free_vgpr 124
		.amdhsa_next_free_sgpr 23
		.amdhsa_accum_offset 124
		.amdhsa_reserve_vcc 1
		.amdhsa_reserve_flat_scratch 0
		.amdhsa_float_round_mode_32 0
		.amdhsa_float_round_mode_16_64 0
		.amdhsa_float_denorm_mode_32 3
		.amdhsa_float_denorm_mode_16_64 3
		.amdhsa_dx10_clamp 1
		.amdhsa_ieee_mode 1
		.amdhsa_fp16_overflow 0
		.amdhsa_tg_split 0
		.amdhsa_exception_fp_ieee_invalid_op 0
		.amdhsa_exception_fp_denorm_src 0
		.amdhsa_exception_fp_ieee_div_zero 0
		.amdhsa_exception_fp_ieee_overflow 0
		.amdhsa_exception_fp_ieee_underflow 0
		.amdhsa_exception_fp_ieee_inexact 0
		.amdhsa_exception_int_div_zero 0
	.end_amdhsa_kernel
	.section	.text._ZN9rocsparseL18bsrxmvn_4x4_kernelILj128ELj32E21rocsparse_complex_numIdEllS2_S2_S2_EEvT3_20rocsparse_direction_NS_24const_host_device_scalarIT1_EES3_PKS3_PKT2_SC_S9_PKT4_PKT5_S7_PT6_21rocsparse_index_base_b,"axG",@progbits,_ZN9rocsparseL18bsrxmvn_4x4_kernelILj128ELj32E21rocsparse_complex_numIdEllS2_S2_S2_EEvT3_20rocsparse_direction_NS_24const_host_device_scalarIT1_EES3_PKS3_PKT2_SC_S9_PKT4_PKT5_S7_PT6_21rocsparse_index_base_b,comdat
.Lfunc_end58:
	.size	_ZN9rocsparseL18bsrxmvn_4x4_kernelILj128ELj32E21rocsparse_complex_numIdEllS2_S2_S2_EEvT3_20rocsparse_direction_NS_24const_host_device_scalarIT1_EES3_PKS3_PKT2_SC_S9_PKT4_PKT5_S7_PT6_21rocsparse_index_base_b, .Lfunc_end58-_ZN9rocsparseL18bsrxmvn_4x4_kernelILj128ELj32E21rocsparse_complex_numIdEllS2_S2_S2_EEvT3_20rocsparse_direction_NS_24const_host_device_scalarIT1_EES3_PKS3_PKT2_SC_S9_PKT4_PKT5_S7_PT6_21rocsparse_index_base_b
                                        ; -- End function
	.section	.AMDGPU.csdata,"",@progbits
; Kernel info:
; codeLenInByte = 8712
; NumSgprs: 27
; NumVgprs: 124
; NumAgprs: 0
; TotalNumVgprs: 124
; ScratchSize: 0
; MemoryBound: 1
; FloatMode: 240
; IeeeMode: 1
; LDSByteSize: 2048 bytes/workgroup (compile time only)
; SGPRBlocks: 3
; VGPRBlocks: 15
; NumSGPRsForWavesPerEU: 27
; NumVGPRsForWavesPerEU: 124
; AccumOffset: 124
; Occupancy: 4
; WaveLimiterHint : 1
; COMPUTE_PGM_RSRC2:SCRATCH_EN: 0
; COMPUTE_PGM_RSRC2:USER_SGPR: 8
; COMPUTE_PGM_RSRC2:TRAP_HANDLER: 0
; COMPUTE_PGM_RSRC2:TGID_X_EN: 1
; COMPUTE_PGM_RSRC2:TGID_Y_EN: 0
; COMPUTE_PGM_RSRC2:TGID_Z_EN: 0
; COMPUTE_PGM_RSRC2:TIDIG_COMP_CNT: 2
; COMPUTE_PGM_RSRC3_GFX90A:ACCUM_OFFSET: 30
; COMPUTE_PGM_RSRC3_GFX90A:TG_SPLIT: 0
	.section	.text._ZN9rocsparseL18bsrxmvn_4x4_kernelILj128ELj64E21rocsparse_complex_numIdEllS2_S2_S2_EEvT3_20rocsparse_direction_NS_24const_host_device_scalarIT1_EES3_PKS3_PKT2_SC_S9_PKT4_PKT5_S7_PT6_21rocsparse_index_base_b,"axG",@progbits,_ZN9rocsparseL18bsrxmvn_4x4_kernelILj128ELj64E21rocsparse_complex_numIdEllS2_S2_S2_EEvT3_20rocsparse_direction_NS_24const_host_device_scalarIT1_EES3_PKS3_PKT2_SC_S9_PKT4_PKT5_S7_PT6_21rocsparse_index_base_b,comdat
	.globl	_ZN9rocsparseL18bsrxmvn_4x4_kernelILj128ELj64E21rocsparse_complex_numIdEllS2_S2_S2_EEvT3_20rocsparse_direction_NS_24const_host_device_scalarIT1_EES3_PKS3_PKT2_SC_S9_PKT4_PKT5_S7_PT6_21rocsparse_index_base_b ; -- Begin function _ZN9rocsparseL18bsrxmvn_4x4_kernelILj128ELj64E21rocsparse_complex_numIdEllS2_S2_S2_EEvT3_20rocsparse_direction_NS_24const_host_device_scalarIT1_EES3_PKS3_PKT2_SC_S9_PKT4_PKT5_S7_PT6_21rocsparse_index_base_b
	.p2align	8
	.type	_ZN9rocsparseL18bsrxmvn_4x4_kernelILj128ELj64E21rocsparse_complex_numIdEllS2_S2_S2_EEvT3_20rocsparse_direction_NS_24const_host_device_scalarIT1_EES3_PKS3_PKT2_SC_S9_PKT4_PKT5_S7_PT6_21rocsparse_index_base_b,@function
_ZN9rocsparseL18bsrxmvn_4x4_kernelILj128ELj64E21rocsparse_complex_numIdEllS2_S2_S2_EEvT3_20rocsparse_direction_NS_24const_host_device_scalarIT1_EES3_PKS3_PKT2_SC_S9_PKT4_PKT5_S7_PT6_21rocsparse_index_base_b: ; @_ZN9rocsparseL18bsrxmvn_4x4_kernelILj128ELj64E21rocsparse_complex_numIdEllS2_S2_S2_EEvT3_20rocsparse_direction_NS_24const_host_device_scalarIT1_EES3_PKS3_PKT2_SC_S9_PKT4_PKT5_S7_PT6_21rocsparse_index_base_b
; %bb.0:
	s_load_dwordx2 s[20:21], s[6:7], 0x70
	s_load_dwordx4 s[16:19], s[6:7], 0x10
	s_load_dwordx2 s[10:11], s[4:5], 0x4
	s_load_dwordx4 s[12:15], s[6:7], 0x58
	s_mov_b64 s[2:3], src_shared_base
	v_bfe_u32 v3, v0, 10, 10
	s_waitcnt lgkmcnt(0)
	s_bitcmp1_b32 s21, 0
	s_cselect_b64 s[0:1], -1, 0
	s_and_b64 vcc, s[0:1], exec
	s_cselect_b32 s2, s3, s17
	s_lshr_b32 s4, s10, 16
	v_and_b32_e32 v2, 0x3ff, v0
	s_mul_i32 s4, s4, s11
	v_mul_u32_u24_e32 v3, s11, v3
	v_mad_u32_u24 v3, s4, v2, v3
	v_bfe_u32 v0, v0, 20, 10
	v_add_lshl_u32 v0, v3, v0, 3
	v_mov_b32_e32 v1, s16
	v_add_u32_e32 v3, 0x400, v0
	v_pk_mov_b32 v[4:5], s[16:17], s[16:17] op_sel:[0,1]
	v_pk_mov_b32 v[6:7], s[12:13], s[12:13] op_sel:[0,1]
	ds_write2st64_b64 v0, v[6:7], v[4:5] offset1:2
	v_cndmask_b32_e64 v4, v1, v3, s[0:1]
	v_mov_b32_e32 v5, s2
	flat_load_dwordx2 v[52:53], v[4:5]
	s_xor_b64 s[4:5], s[0:1], -1
	v_pk_mov_b32 v[54:55], s[18:19], s[18:19] op_sel:[0,1]
	s_cbranch_vccnz .LBB59_2
; %bb.1:
	v_pk_mov_b32 v[4:5], s[16:17], s[16:17] op_sel:[0,1]
	flat_load_dwordx2 v[54:55], v[4:5] offset:8
.LBB59_2:
	s_and_b64 s[10:11], s[0:1], exec
	s_cselect_b32 s2, s3, s13
	v_mov_b32_e32 v1, s12
	v_cndmask_b32_e64 v0, v1, v0, s[0:1]
	v_mov_b32_e32 v1, s2
	flat_load_dwordx2 v[48:49], v[0:1]
	s_andn2_b64 vcc, exec, s[4:5]
	v_pk_mov_b32 v[50:51], s[14:15], s[14:15] op_sel:[0,1]
	s_cbranch_vccnz .LBB59_4
; %bb.3:
	v_pk_mov_b32 v[0:1], s[12:13], s[12:13] op_sel:[0,1]
	flat_load_dwordx2 v[50:51], v[0:1] offset:8
.LBB59_4:
	s_waitcnt vmcnt(0) lgkmcnt(0)
	v_cmp_eq_f64_e32 vcc, 0, v[52:53]
	v_cmp_eq_f64_e64 s[0:1], 0, v[54:55]
	s_and_b64 s[4:5], vcc, s[0:1]
	s_mov_b64 s[0:1], -1
	s_and_saveexec_b64 s[2:3], s[4:5]
; %bb.5:
	v_cmp_neq_f64_e32 vcc, 1.0, v[48:49]
	v_cmp_neq_f64_e64 s[0:1], 0, v[50:51]
	s_or_b64 s[0:1], vcc, s[0:1]
	s_orn2_b64 s[0:1], s[0:1], exec
; %bb.6:
	s_or_b64 exec, exec, s[2:3]
	s_and_saveexec_b64 s[2:3], s[0:1]
	s_cbranch_execz .LBB59_12
; %bb.7:
	s_load_dwordx2 s[2:3], s[6:7], 0x28
	v_lshrrev_b32_e32 v0, 6, v2
	v_lshl_or_b32 v0, s8, 1, v0
	v_mov_b32_e32 v1, 0
	s_mov_b64 s[0:1], 0
	s_waitcnt lgkmcnt(0)
	s_cmp_lg_u64 s[2:3], 0
	s_cbranch_scc0 .LBB59_13
; %bb.8:
	s_load_dwordx2 s[4:5], s[6:7], 0x20
                                        ; implicit-def: $vgpr56_vgpr57
	s_waitcnt lgkmcnt(0)
	v_cmp_gt_i64_e32 vcc, s[4:5], v[0:1]
	s_and_saveexec_b64 s[4:5], vcc
	s_xor_b64 s[4:5], exec, s[4:5]
                                        ; implicit-def: $sgpr16_sgpr17
	s_cbranch_execz .LBB59_10
; %bb.9:
	v_lshlrev_b64 v[4:5], 3, v[0:1]
	v_mov_b32_e32 v3, s3
	v_add_co_u32_e32 v4, vcc, s2, v4
	v_addc_co_u32_e32 v5, vcc, v3, v5, vcc
	global_load_dwordx2 v[4:5], v[4:5], off
	s_mov_b64 s[0:1], exec
	s_mov_b32 s17, 0
	s_waitcnt vmcnt(0)
	v_subrev_co_u32_e32 v56, vcc, s20, v4
	v_subbrev_co_u32_e32 v57, vcc, 0, v5, vcc
.LBB59_10:
	s_or_b64 exec, exec, s[4:5]
.LBB59_11:
	s_and_b64 exec, exec, s[0:1]
	s_cbranch_execnz .LBB59_17
.LBB59_12:
	s_endpgm
.LBB59_13:
                                        ; implicit-def: $vgpr56_vgpr57
                                        ; implicit-def: $sgpr16_sgpr17
	s_cbranch_execz .LBB59_11
; %bb.14:
	s_load_dwordx2 s[2:3], s[6:7], 0x0
                                        ; implicit-def: $vgpr56_vgpr57
	s_waitcnt lgkmcnt(0)
	v_cmp_gt_i64_e32 vcc, s[2:3], v[0:1]
	s_and_saveexec_b64 s[2:3], vcc
                                        ; implicit-def: $sgpr16_sgpr17
; %bb.15:
	s_mov_b32 s17, 0
	s_or_b64 s[0:1], s[0:1], exec
	v_pk_mov_b32 v[56:57], v[0:1], v[0:1] op_sel:[0,1]
; %bb.16:
	s_or_b64 exec, exec, s[2:3]
	s_and_b64 exec, exec, s[0:1]
	s_cbranch_execz .LBB59_12
.LBB59_17:
	s_load_dwordx8 s[8:15], s[6:7], 0x30
	v_lshlrev_b64 v[0:1], 3, v[56:57]
	v_and_b32_e32 v58, 63, v2
	v_mov_b32_e32 v2, s17
	s_waitcnt lgkmcnt(0)
	v_mov_b32_e32 v3, s9
	v_add_co_u32_e32 v4, vcc, s8, v0
	v_addc_co_u32_e32 v5, vcc, v3, v1, vcc
	v_add_co_u32_e32 v3, vcc, 8, v4
	global_load_dwordx2 v[16:17], v[4:5], off
	v_addc_co_u32_e32 v4, vcc, 0, v5, vcc
	v_mov_b32_e32 v5, s11
	v_add_co_u32_e32 v0, vcc, s10, v0
	s_cmp_eq_u64 s[10:11], 0
	v_addc_co_u32_e32 v1, vcc, v5, v1, vcc
	s_cselect_b64 vcc, -1, 0
	v_cndmask_b32_e32 v1, v1, v4, vcc
	v_cndmask_b32_e32 v0, v0, v3, vcc
	global_load_dwordx2 v[0:1], v[0:1], off
	s_load_dword s0, s[6:7], 0x8
	s_load_dwordx2 s[4:5], s[6:7], 0x50
	v_mov_b32_e32 v3, s15
	s_waitcnt lgkmcnt(0)
	s_cmp_eq_u32 s0, 1
	s_waitcnt vmcnt(1)
	v_subrev_co_u32_e32 v4, vcc, s20, v16
	v_subb_co_u32_e32 v5, vcc, v17, v2, vcc
	v_add_co_u32_e32 v64, vcc, v4, v58
	v_addc_co_u32_e32 v65, vcc, 0, v5, vcc
	s_waitcnt vmcnt(0)
	v_subrev_co_u32_e32 v66, vcc, s20, v0
	v_subb_co_u32_e32 v67, vcc, v1, v2, vcc
	v_lshlrev_b64 v[0:1], 8, v[64:65]
	v_add_co_u32_e32 v68, vcc, s14, v0
	v_addc_co_u32_e32 v69, vcc, v3, v1, vcc
	v_cmp_lt_i64_e64 s[0:1], v[64:65], v[66:67]
	s_cbranch_scc1 .LBB59_29
; %bb.18:
	v_pk_mov_b32 v[72:73], 0, 0
	s_mov_b64 s[8:9], 0
	v_pk_mov_b32 v[80:81], v[72:73], v[72:73] op_sel:[0,1]
	v_pk_mov_b32 v[74:75], v[72:73], v[72:73] op_sel:[0,1]
	;; [unrolled: 1-line block ×7, first 2 shown]
	s_and_saveexec_b64 s[10:11], s[0:1]
	s_cbranch_execz .LBB59_28
; %bb.19:
	v_or_b32_e32 v0, 64, v58
	v_mov_b32_e32 v1, s17
	v_subrev_co_u32_e32 v0, vcc, s20, v0
	v_subb_co_u32_e32 v1, vcc, 0, v1, vcc
	v_add_co_u32_e32 v0, vcc, v0, v16
	v_addc_co_u32_e32 v1, vcc, v1, v17, vcc
	v_cmp_gt_i64_e32 vcc, v[0:1], v[66:67]
	v_cndmask_b32_e32 v1, v67, v1, vcc
	v_cndmask_b32_e32 v0, v66, v0, vcc
	v_mov_b32_e32 v4, s17
	v_sub_co_u32_e32 v5, vcc, s20, v58
	v_not_b32_e32 v3, v16
	v_subbrev_co_u32_e32 v4, vcc, 0, v4, vcc
	v_not_b32_e32 v2, v17
	v_add_co_u32_e32 v3, vcc, v5, v3
	v_addc_co_u32_e32 v2, vcc, v4, v2, vcc
	v_add_co_u32_e32 v4, vcc, v3, v0
	v_lshrrev_b32_e32 v0, 6, v4
	v_add_u32_e32 v0, 1, v0
	v_addc_co_u32_e32 v5, vcc, v2, v1, vcc
	v_and_b32_e32 v0, 3, v0
	v_pk_mov_b32 v[70:71], 0, 0
	v_cmp_ne_u32_e32 vcc, 0, v0
	s_mov_b64 s[18:19], 0
	v_pk_mov_b32 v[78:79], v[70:71], v[70:71] op_sel:[0,1]
	v_pk_mov_b32 v[62:63], v[70:71], v[70:71] op_sel:[0,1]
	;; [unrolled: 1-line block ×9, first 2 shown]
	s_and_saveexec_b64 s[14:15], vcc
	s_cbranch_execz .LBB59_23
; %bb.20:
	v_lshlrev_b64 v[2:3], 3, v[64:65]
	v_mov_b32_e32 v1, s13
	v_add_co_u32_e32 v8, vcc, s12, v2
	v_pk_mov_b32 v[72:73], 0, 0
	v_mov_b32_e32 v7, 0
	v_addc_co_u32_e32 v9, vcc, v1, v3, vcc
	v_lshlrev_b32_e32 v6, 3, v0
	s_movk_i32 s16, 0x4000
	v_mov_b32_e32 v10, s17
	v_mov_b32_e32 v11, s5
	v_pk_mov_b32 v[20:21], v[64:65], v[64:65] op_sel:[0,1]
	v_pk_mov_b32 v[18:19], v[68:69], v[68:69] op_sel:[0,1]
	;; [unrolled: 1-line block ×9, first 2 shown]
.LBB59_21:                              ; =>This Inner Loop Header: Depth=1
	global_load_dwordx2 v[42:43], v[8:9], off
	global_load_dwordx4 v[0:3], v[18:19], off offset:16
	global_load_dwordx4 v[12:15], v[18:19], off
	global_load_dwordx4 v[22:25], v[18:19], off offset:80
	global_load_dwordx4 v[26:29], v[18:19], off offset:64
	;; [unrolled: 1-line block ×5, first 2 shown]
	v_add_co_u32_e64 v20, s[2:3], 64, v20
	v_addc_co_u32_e64 v21, s[2:3], 0, v21, s[2:3]
	v_add_co_u32_e64 v6, s[2:3], -8, v6
	v_addc_co_u32_e64 v7, s[2:3], -1, v7, s[2:3]
	v_cmp_eq_u64_e64 s[2:3], 0, v[6:7]
	s_or_b64 s[18:19], s[2:3], s[18:19]
	s_waitcnt vmcnt(7)
	v_subrev_co_u32_e32 v42, vcc, s20, v42
	v_subb_co_u32_e32 v43, vcc, v43, v10, vcc
	v_lshlrev_b64 v[42:43], 6, v[42:43]
	v_add_co_u32_e32 v46, vcc, s4, v42
	v_addc_co_u32_e32 v47, vcc, v11, v43, vcc
	global_load_dwordx4 v[42:45], v[46:47], off
	s_waitcnt vmcnt(0)
	v_fmac_f64_e32 v[80:81], v[12:13], v[42:43]
	v_fmac_f64_e32 v[72:73], v[14:15], v[42:43]
	;; [unrolled: 1-line block ×8, first 2 shown]
	v_fma_f64 v[80:81], -v[14:15], v[44:45], v[80:81]
	v_fmac_f64_e32 v[72:73], v[12:13], v[44:45]
	global_load_dwordx4 v[12:15], v[18:19], off offset:208
	v_fma_f64 v[78:79], -v[28:29], v[44:45], v[78:79]
	v_fmac_f64_e32 v[70:71], v[26:27], v[44:45]
	global_load_dwordx4 v[26:29], v[18:19], off offset:48
	;; [unrolled: 3-line block ×4, first 2 shown]
	global_load_dwordx4 v[42:45], v[46:47], off offset:16
	s_waitcnt vmcnt(0)
	v_fmac_f64_e32 v[80:81], v[0:1], v[42:43]
	v_fmac_f64_e32 v[72:73], v[2:3], v[42:43]
	;; [unrolled: 1-line block ×8, first 2 shown]
	v_fma_f64 v[80:81], -v[2:3], v[44:45], v[80:81]
	v_fmac_f64_e32 v[72:73], v[0:1], v[44:45]
	global_load_dwordx4 v[0:3], v[18:19], off offset:96
	v_fma_f64 v[78:79], -v[24:25], v[44:45], v[78:79]
	v_fmac_f64_e32 v[70:71], v[22:23], v[44:45]
	global_load_dwordx4 v[22:25], v[18:19], off offset:176
	;; [unrolled: 3-line block ×4, first 2 shown]
	global_load_dwordx4 v[42:45], v[46:47], off offset:32
	s_waitcnt vmcnt(0)
	v_fmac_f64_e32 v[80:81], v[34:35], v[42:43]
	v_fmac_f64_e32 v[72:73], v[36:37], v[42:43]
	;; [unrolled: 1-line block ×4, first 2 shown]
	v_fma_f64 v[80:81], -v[36:37], v[44:45], v[80:81]
	v_fmac_f64_e32 v[72:73], v[34:35], v[44:45]
	global_load_dwordx4 v[34:37], v[18:19], off offset:240
	v_fma_f64 v[78:79], -v[2:3], v[44:45], v[78:79]
	v_fmac_f64_e32 v[70:71], v[0:1], v[44:45]
	global_load_dwordx4 v[0:3], v[46:47], off offset:48
	v_add_co_u32_e32 v18, vcc, s16, v18
	v_fmac_f64_e32 v[76:77], v[30:31], v[42:43]
	v_fmac_f64_e32 v[62:63], v[32:33], v[42:43]
	;; [unrolled: 1-line block ×4, first 2 shown]
	v_addc_co_u32_e32 v19, vcc, 0, v19, vcc
	v_fma_f64 v[32:33], -v[32:33], v[44:45], v[76:77]
	v_fmac_f64_e32 v[62:63], v[30:31], v[44:45]
	v_fma_f64 v[14:15], -v[14:15], v[44:45], v[74:75]
	v_fmac_f64_e32 v[60:61], v[12:13], v[44:45]
	v_add_co_u32_e32 v8, vcc, 0x200, v8
	v_addc_co_u32_e32 v9, vcc, 0, v9, vcc
	s_waitcnt vmcnt(0)
	v_fmac_f64_e32 v[80:81], v[26:27], v[0:1]
	v_fmac_f64_e32 v[72:73], v[28:29], v[0:1]
	;; [unrolled: 1-line block ×8, first 2 shown]
	v_fma_f64 v[80:81], -v[28:29], v[2:3], v[80:81]
	v_fmac_f64_e32 v[72:73], v[26:27], v[2:3]
	v_fma_f64 v[78:79], -v[40:41], v[2:3], v[78:79]
	v_fmac_f64_e32 v[70:71], v[38:39], v[2:3]
	;; [unrolled: 2-line block ×4, first 2 shown]
	s_andn2_b64 exec, exec, s[18:19]
	s_cbranch_execnz .LBB59_21
; %bb.22:
	s_or_b64 exec, exec, s[18:19]
.LBB59_23:
	s_or_b64 exec, exec, s[14:15]
	s_mov_b64 s[2:3], 0xbf
	v_cmp_lt_u64_e32 vcc, s[2:3], v[4:5]
	s_and_saveexec_b64 s[14:15], vcc
	s_cbranch_execz .LBB59_27
; %bb.24:
	v_lshlrev_b64 v[0:1], 3, v[20:21]
	v_mov_b32_e32 v2, s13
	v_add_co_u32_e32 v0, vcc, s12, v0
	v_addc_co_u32_e32 v1, vcc, v1, v2, vcc
	v_add_co_u32_e32 v22, vcc, 0x400, v0
	v_addc_co_u32_e32 v23, vcc, 0, v1, vcc
	s_mov_b64 s[18:19], 0
	v_mov_b32_e32 v28, s17
	v_mov_b32_e32 v29, s5
	s_movk_i32 s16, 0x4000
	s_mov_b32 s21, 0x8000
	s_mov_b32 s22, 0xc000
.LBB59_25:                              ; =>This Inner Loop Header: Depth=1
	global_load_dwordx2 v[0:1], v[22:23], off offset:-1024
	global_load_dwordx4 v[30:33], v[18:19], off offset:48
	global_load_dwordx4 v[24:27], v[18:19], off offset:32
	;; [unrolled: 1-line block ×3, first 2 shown]
	global_load_dwordx4 v[38:41], v[18:19], off
	s_waitcnt vmcnt(4)
	v_subrev_co_u32_e32 v0, vcc, s20, v0
	v_subb_co_u32_e32 v1, vcc, v1, v28, vcc
	v_lshlrev_b64 v[0:1], 6, v[0:1]
	v_add_co_u32_e32 v42, vcc, s4, v0
	v_addc_co_u32_e32 v43, vcc, v29, v1, vcc
	global_load_dwordx4 v[0:3], v[42:43], off offset:48
	global_load_dwordx4 v[4:7], v[42:43], off offset:32
	;; [unrolled: 1-line block ×3, first 2 shown]
	global_load_dwordx4 v[12:15], v[42:43], off
	s_waitcnt vmcnt(0)
	v_fmac_f64_e32 v[80:81], v[38:39], v[12:13]
	v_fmac_f64_e32 v[72:73], v[40:41], v[12:13]
	v_fma_f64 v[42:43], -v[40:41], v[14:15], v[80:81]
	v_fmac_f64_e32 v[72:73], v[38:39], v[14:15]
	v_fmac_f64_e32 v[42:43], v[34:35], v[8:9]
	v_fmac_f64_e32 v[72:73], v[36:37], v[8:9]
	v_fma_f64 v[38:39], -v[36:37], v[10:11], v[42:43]
	v_fmac_f64_e32 v[72:73], v[34:35], v[10:11]
	;; [unrolled: 4-line block ×4, first 2 shown]
	global_load_dwordx4 v[30:33], v[18:19], off offset:112
	global_load_dwordx4 v[34:37], v[18:19], off offset:96
	;; [unrolled: 1-line block ×4, first 2 shown]
	v_add_co_u32_e32 v80, vcc, s16, v18
	v_addc_co_u32_e32 v81, vcc, 0, v19, vcc
	s_waitcnt vmcnt(0)
	v_fmac_f64_e32 v[78:79], v[42:43], v[12:13]
	v_fmac_f64_e32 v[70:71], v[44:45], v[12:13]
	v_fma_f64 v[26:27], -v[44:45], v[14:15], v[78:79]
	v_fmac_f64_e32 v[70:71], v[42:43], v[14:15]
	v_fmac_f64_e32 v[26:27], v[38:39], v[8:9]
	v_fmac_f64_e32 v[70:71], v[40:41], v[8:9]
	v_fma_f64 v[26:27], -v[40:41], v[10:11], v[26:27]
	v_fmac_f64_e32 v[70:71], v[38:39], v[10:11]
	;; [unrolled: 4-line block ×4, first 2 shown]
	global_load_dwordx4 v[30:33], v[18:19], off offset:176
	global_load_dwordx4 v[34:37], v[18:19], off offset:160
	;; [unrolled: 1-line block ×4, first 2 shown]
	s_waitcnt vmcnt(0)
	v_fmac_f64_e32 v[76:77], v[42:43], v[12:13]
	v_fmac_f64_e32 v[62:63], v[44:45], v[12:13]
	v_fma_f64 v[46:47], -v[44:45], v[14:15], v[76:77]
	v_fmac_f64_e32 v[62:63], v[42:43], v[14:15]
	v_fmac_f64_e32 v[46:47], v[38:39], v[8:9]
	v_fmac_f64_e32 v[62:63], v[40:41], v[8:9]
	v_fma_f64 v[42:43], -v[40:41], v[10:11], v[46:47]
	v_fmac_f64_e32 v[62:63], v[38:39], v[10:11]
	;; [unrolled: 4-line block ×4, first 2 shown]
	global_load_dwordx4 v[30:33], v[18:19], off offset:240
	global_load_dwordx4 v[34:37], v[18:19], off offset:224
	;; [unrolled: 1-line block ×4, first 2 shown]
	s_waitcnt vmcnt(0)
	v_fmac_f64_e32 v[74:75], v[42:43], v[12:13]
	v_fmac_f64_e32 v[60:61], v[44:45], v[12:13]
	v_fma_f64 v[74:75], -v[44:45], v[14:15], v[74:75]
	v_fmac_f64_e32 v[60:61], v[42:43], v[14:15]
	v_fmac_f64_e32 v[74:75], v[38:39], v[8:9]
	v_fmac_f64_e32 v[60:61], v[40:41], v[8:9]
	v_fma_f64 v[12:13], -v[40:41], v[10:11], v[74:75]
	v_fmac_f64_e32 v[60:61], v[38:39], v[10:11]
	;; [unrolled: 4-line block ×3, first 2 shown]
	v_fmac_f64_e32 v[8:9], v[30:31], v[0:1]
	v_fmac_f64_e32 v[60:61], v[32:33], v[0:1]
	global_load_dwordx2 v[0:1], v[22:23], off offset:-512
	v_fmac_f64_e32 v[60:61], v[30:31], v[2:3]
	v_fma_f64 v[78:79], -v[32:33], v[2:3], v[8:9]
	s_waitcnt vmcnt(0)
	v_subrev_co_u32_e32 v30, vcc, s20, v0
	v_subb_co_u32_e32 v31, vcc, v1, v28, vcc
	v_lshlrev_b64 v[30:31], 6, v[30:31]
	v_add_co_u32_e32 v74, vcc, s4, v30
	v_addc_co_u32_e32 v75, vcc, v29, v31, vcc
	global_load_dwordx4 v[0:3], v[80:81], off
	global_load_dwordx4 v[4:7], v[80:81], off offset:48
	global_load_dwordx4 v[8:11], v[80:81], off offset:32
	;; [unrolled: 1-line block ×6, first 2 shown]
	global_load_dwordx4 v[42:45], v[74:75], off
	s_waitcnt vmcnt(0)
	v_fmac_f64_e32 v[24:25], v[0:1], v[42:43]
	v_fmac_f64_e32 v[72:73], v[2:3], v[42:43]
	v_fma_f64 v[24:25], -v[2:3], v[44:45], v[24:25]
	v_fmac_f64_e32 v[72:73], v[0:1], v[44:45]
	v_fmac_f64_e32 v[24:25], v[12:13], v[38:39]
	v_fmac_f64_e32 v[72:73], v[14:15], v[38:39]
	v_fma_f64 v[0:1], -v[14:15], v[40:41], v[24:25]
	v_fmac_f64_e32 v[72:73], v[12:13], v[40:41]
	;; [unrolled: 4-line block ×4, first 2 shown]
	global_load_dwordx4 v[4:7], v[80:81], off offset:112
	global_load_dwordx4 v[8:11], v[80:81], off offset:96
	;; [unrolled: 1-line block ×4, first 2 shown]
	s_waitcnt vmcnt(0)
	v_fmac_f64_e32 v[26:27], v[74:75], v[42:43]
	v_fma_f64 v[2:3], -v[76:77], v[44:45], v[26:27]
	v_fmac_f64_e32 v[70:71], v[76:77], v[42:43]
	v_fmac_f64_e32 v[70:71], v[74:75], v[44:45]
	v_fmac_f64_e32 v[2:3], v[12:13], v[38:39]
	v_fma_f64 v[2:3], -v[14:15], v[40:41], v[2:3]
	v_fmac_f64_e32 v[70:71], v[14:15], v[38:39]
	v_fmac_f64_e32 v[70:71], v[12:13], v[40:41]
	;; [unrolled: 4-line block ×3, first 2 shown]
	v_fmac_f64_e32 v[2:3], v[4:5], v[30:31]
	v_fma_f64 v[2:3], -v[6:7], v[32:33], v[2:3]
	v_fmac_f64_e32 v[70:71], v[6:7], v[30:31]
	global_load_dwordx4 v[6:9], v[80:81], off offset:176
	global_load_dwordx4 v[10:13], v[80:81], off offset:160
	global_load_dwordx4 v[24:27], v[80:81], off offset:144
	global_load_dwordx4 v[74:77], v[80:81], off offset:128
	v_fmac_f64_e32 v[70:71], v[4:5], v[32:33]
	s_waitcnt vmcnt(0)
	v_fmac_f64_e32 v[46:47], v[74:75], v[42:43]
	v_fma_f64 v[4:5], -v[76:77], v[44:45], v[46:47]
	v_fmac_f64_e32 v[62:63], v[76:77], v[42:43]
	v_fmac_f64_e32 v[62:63], v[74:75], v[44:45]
	v_fmac_f64_e32 v[4:5], v[24:25], v[38:39]
	v_fma_f64 v[4:5], -v[26:27], v[40:41], v[4:5]
	v_fmac_f64_e32 v[62:63], v[26:27], v[38:39]
	v_fmac_f64_e32 v[62:63], v[24:25], v[40:41]
	;; [unrolled: 4-line block ×3, first 2 shown]
	v_fmac_f64_e32 v[4:5], v[6:7], v[30:31]
	v_fma_f64 v[4:5], -v[8:9], v[32:33], v[4:5]
	v_fmac_f64_e32 v[62:63], v[8:9], v[30:31]
	global_load_dwordx4 v[8:11], v[80:81], off offset:240
	global_load_dwordx4 v[12:15], v[80:81], off offset:224
	;; [unrolled: 1-line block ×4, first 2 shown]
	v_fmac_f64_e32 v[62:63], v[6:7], v[32:33]
	s_waitcnt vmcnt(0)
	v_fmac_f64_e32 v[60:61], v[76:77], v[42:43]
	v_fmac_f64_e32 v[78:79], v[74:75], v[42:43]
	v_fmac_f64_e32 v[60:61], v[74:75], v[44:45]
	v_fma_f64 v[6:7], -v[76:77], v[44:45], v[78:79]
	v_fmac_f64_e32 v[60:61], v[26:27], v[38:39]
	v_fmac_f64_e32 v[6:7], v[24:25], v[38:39]
	v_fmac_f64_e32 v[60:61], v[24:25], v[40:41]
	v_fma_f64 v[6:7], -v[26:27], v[40:41], v[6:7]
	;; [unrolled: 4-line block ×3, first 2 shown]
	v_fmac_f64_e32 v[60:61], v[10:11], v[30:31]
	v_fmac_f64_e32 v[6:7], v[8:9], v[30:31]
	;; [unrolled: 1-line block ×3, first 2 shown]
	global_load_dwordx2 v[8:9], v[22:23], off
	v_fma_f64 v[6:7], -v[10:11], v[32:33], v[6:7]
	s_waitcnt vmcnt(0)
	v_subrev_co_u32_e32 v8, vcc, s20, v8
	v_subb_co_u32_e32 v9, vcc, v9, v28, vcc
	v_add_co_u32_e32 v46, vcc, s21, v18
	v_addc_co_u32_e32 v47, vcc, 0, v19, vcc
	v_lshlrev_b64 v[8:9], 6, v[8:9]
	v_add_co_u32_e32 v8, vcc, s4, v8
	v_addc_co_u32_e32 v9, vcc, v29, v9, vcc
	global_load_dwordx4 v[10:13], v[46:47], off
	global_load_dwordx4 v[24:27], v[46:47], off offset:48
	global_load_dwordx4 v[30:33], v[46:47], off offset:32
	;; [unrolled: 1-line block ×6, first 2 shown]
	global_load_dwordx4 v[78:81], v[8:9], off
	s_waitcnt vmcnt(0)
	v_fmac_f64_e32 v[0:1], v[10:11], v[78:79]
	v_fmac_f64_e32 v[72:73], v[12:13], v[78:79]
	v_fma_f64 v[0:1], -v[12:13], v[80:81], v[0:1]
	v_fmac_f64_e32 v[72:73], v[10:11], v[80:81]
	v_fmac_f64_e32 v[0:1], v[34:35], v[74:75]
	v_fmac_f64_e32 v[72:73], v[36:37], v[74:75]
	v_fma_f64 v[0:1], -v[36:37], v[76:77], v[0:1]
	v_fmac_f64_e32 v[72:73], v[34:35], v[76:77]
	v_fmac_f64_e32 v[0:1], v[30:31], v[42:43]
	v_fmac_f64_e32 v[72:73], v[32:33], v[42:43]
	v_fma_f64 v[0:1], -v[32:33], v[44:45], v[0:1]
	v_fmac_f64_e32 v[72:73], v[30:31], v[44:45]
	v_fmac_f64_e32 v[0:1], v[24:25], v[38:39]
	v_fmac_f64_e32 v[72:73], v[26:27], v[38:39]
	v_fma_f64 v[0:1], -v[26:27], v[40:41], v[0:1]
	v_fmac_f64_e32 v[72:73], v[24:25], v[40:41]
	global_load_dwordx4 v[8:11], v[46:47], off offset:112
	global_load_dwordx4 v[12:15], v[46:47], off offset:96
	global_load_dwordx4 v[24:27], v[46:47], off offset:80
	global_load_dwordx4 v[30:33], v[46:47], off offset:64
	s_waitcnt vmcnt(0)
	v_fmac_f64_e32 v[2:3], v[30:31], v[78:79]
	v_fmac_f64_e32 v[70:71], v[32:33], v[78:79]
	v_fma_f64 v[2:3], -v[32:33], v[80:81], v[2:3]
	v_fmac_f64_e32 v[70:71], v[30:31], v[80:81]
	v_fmac_f64_e32 v[2:3], v[24:25], v[74:75]
	v_fmac_f64_e32 v[70:71], v[26:27], v[74:75]
	v_fma_f64 v[2:3], -v[26:27], v[76:77], v[2:3]
	v_fmac_f64_e32 v[70:71], v[24:25], v[76:77]
	v_fmac_f64_e32 v[2:3], v[12:13], v[42:43]
	v_fmac_f64_e32 v[70:71], v[14:15], v[42:43]
	v_fma_f64 v[2:3], -v[14:15], v[44:45], v[2:3]
	v_fmac_f64_e32 v[70:71], v[12:13], v[44:45]
	v_fmac_f64_e32 v[2:3], v[8:9], v[38:39]
	v_fmac_f64_e32 v[70:71], v[10:11], v[38:39]
	v_fma_f64 v[2:3], -v[10:11], v[40:41], v[2:3]
	v_fmac_f64_e32 v[70:71], v[8:9], v[40:41]
	global_load_dwordx4 v[8:11], v[46:47], off offset:176
	global_load_dwordx4 v[12:15], v[46:47], off offset:160
	global_load_dwordx4 v[24:27], v[46:47], off offset:144
	global_load_dwordx4 v[30:33], v[46:47], off offset:128
	;; [unrolled: 21-line block ×3, first 2 shown]
	s_waitcnt vmcnt(0)
	v_fmac_f64_e32 v[60:61], v[32:33], v[78:79]
	v_fmac_f64_e32 v[6:7], v[30:31], v[78:79]
	v_fmac_f64_e32 v[60:61], v[30:31], v[80:81]
	v_fma_f64 v[6:7], -v[32:33], v[80:81], v[6:7]
	v_fmac_f64_e32 v[60:61], v[26:27], v[74:75]
	v_fmac_f64_e32 v[6:7], v[24:25], v[74:75]
	v_fmac_f64_e32 v[60:61], v[24:25], v[76:77]
	v_fma_f64 v[6:7], -v[26:27], v[76:77], v[6:7]
	;; [unrolled: 4-line block ×3, first 2 shown]
	v_fmac_f64_e32 v[60:61], v[10:11], v[38:39]
	v_fmac_f64_e32 v[6:7], v[8:9], v[38:39]
	;; [unrolled: 1-line block ×3, first 2 shown]
	global_load_dwordx2 v[8:9], v[22:23], off offset:512
	v_fma_f64 v[6:7], -v[10:11], v[40:41], v[6:7]
	s_waitcnt vmcnt(0)
	v_subrev_co_u32_e32 v34, vcc, s20, v8
	v_subb_co_u32_e32 v35, vcc, v9, v28, vcc
	v_add_co_u32_e32 v46, vcc, s22, v18
	v_addc_co_u32_e32 v47, vcc, 0, v19, vcc
	v_lshlrev_b64 v[34:35], 6, v[34:35]
	v_add_co_u32_e32 v74, vcc, s4, v34
	v_addc_co_u32_e32 v75, vcc, v29, v35, vcc
	global_load_dwordx4 v[8:11], v[46:47], off
	global_load_dwordx4 v[12:15], v[46:47], off offset:48
	global_load_dwordx4 v[24:27], v[46:47], off offset:32
	;; [unrolled: 1-line block ×6, first 2 shown]
	global_load_dwordx4 v[82:85], v[74:75], off
	v_add_co_u32_e32 v20, vcc, 0x100, v20
	v_addc_co_u32_e32 v21, vcc, 0, v21, vcc
	v_add_co_u32_e32 v22, vcc, 0x800, v22
	v_addc_co_u32_e32 v23, vcc, 0, v23, vcc
	v_cmp_ge_i64_e64 s[2:3], v[20:21], v[66:67]
	v_add_co_u32_e32 v18, vcc, 0x10000, v18
	v_addc_co_u32_e32 v19, vcc, 0, v19, vcc
	s_or_b64 s[18:19], s[2:3], s[18:19]
	s_waitcnt vmcnt(0)
	v_fmac_f64_e32 v[0:1], v[8:9], v[82:83]
	v_fmac_f64_e32 v[72:73], v[10:11], v[82:83]
	v_fma_f64 v[0:1], -v[10:11], v[84:85], v[0:1]
	v_fmac_f64_e32 v[72:73], v[8:9], v[84:85]
	v_fmac_f64_e32 v[0:1], v[30:31], v[42:43]
	v_fmac_f64_e32 v[72:73], v[32:33], v[42:43]
	v_fma_f64 v[0:1], -v[32:33], v[44:45], v[0:1]
	v_fmac_f64_e32 v[72:73], v[30:31], v[44:45]
	v_fmac_f64_e32 v[0:1], v[24:25], v[38:39]
	v_fmac_f64_e32 v[72:73], v[26:27], v[38:39]
	v_fma_f64 v[0:1], -v[26:27], v[40:41], v[0:1]
	v_fmac_f64_e32 v[72:73], v[24:25], v[40:41]
	v_fmac_f64_e32 v[0:1], v[12:13], v[34:35]
	v_fmac_f64_e32 v[72:73], v[14:15], v[34:35]
	v_fma_f64 v[80:81], -v[14:15], v[36:37], v[0:1]
	v_fmac_f64_e32 v[72:73], v[12:13], v[36:37]
	global_load_dwordx4 v[8:11], v[46:47], off offset:112
	global_load_dwordx4 v[12:15], v[46:47], off offset:96
	global_load_dwordx4 v[24:27], v[46:47], off offset:80
	global_load_dwordx4 v[30:33], v[46:47], off offset:64
	s_waitcnt vmcnt(0)
	v_fmac_f64_e32 v[2:3], v[30:31], v[82:83]
	v_fmac_f64_e32 v[70:71], v[32:33], v[82:83]
	v_fma_f64 v[0:1], -v[32:33], v[84:85], v[2:3]
	v_fmac_f64_e32 v[70:71], v[30:31], v[84:85]
	v_fmac_f64_e32 v[0:1], v[24:25], v[42:43]
	v_fmac_f64_e32 v[70:71], v[26:27], v[42:43]
	v_fma_f64 v[0:1], -v[26:27], v[44:45], v[0:1]
	v_fmac_f64_e32 v[70:71], v[24:25], v[44:45]
	v_fmac_f64_e32 v[0:1], v[12:13], v[38:39]
	v_fmac_f64_e32 v[70:71], v[14:15], v[38:39]
	v_fma_f64 v[0:1], -v[14:15], v[40:41], v[0:1]
	v_fmac_f64_e32 v[70:71], v[12:13], v[40:41]
	v_fmac_f64_e32 v[0:1], v[8:9], v[34:35]
	v_fmac_f64_e32 v[70:71], v[10:11], v[34:35]
	v_fma_f64 v[78:79], -v[10:11], v[36:37], v[0:1]
	v_fmac_f64_e32 v[70:71], v[8:9], v[36:37]
	global_load_dwordx4 v[0:3], v[46:47], off offset:176
	global_load_dwordx4 v[8:11], v[46:47], off offset:160
	global_load_dwordx4 v[12:15], v[46:47], off offset:144
	global_load_dwordx4 v[24:27], v[46:47], off offset:128
	;; [unrolled: 21-line block ×3, first 2 shown]
	s_waitcnt vmcnt(0)
	v_fmac_f64_e32 v[6:7], v[24:25], v[82:83]
	v_fmac_f64_e32 v[60:61], v[26:27], v[82:83]
	v_fma_f64 v[4:5], -v[26:27], v[84:85], v[6:7]
	v_fmac_f64_e32 v[60:61], v[24:25], v[84:85]
	v_fmac_f64_e32 v[4:5], v[12:13], v[42:43]
	v_fmac_f64_e32 v[60:61], v[14:15], v[42:43]
	v_fma_f64 v[4:5], -v[14:15], v[44:45], v[4:5]
	v_fmac_f64_e32 v[60:61], v[12:13], v[44:45]
	;; [unrolled: 4-line block ×4, first 2 shown]
	s_andn2_b64 exec, exec, s[18:19]
	s_cbranch_execnz .LBB59_25
; %bb.26:
	s_or_b64 exec, exec, s[18:19]
.LBB59_27:
	s_or_b64 exec, exec, s[14:15]
.LBB59_28:
	s_or_b64 exec, exec, s[10:11]
	s_andn2_b64 vcc, exec, s[8:9]
	s_cbranch_vccz .LBB59_30
	s_branch .LBB59_41
.LBB59_29:
                                        ; implicit-def: $vgpr72_vgpr73
                                        ; implicit-def: $vgpr80_vgpr81
                                        ; implicit-def: $vgpr74_vgpr75
                                        ; implicit-def: $vgpr60_vgpr61
                                        ; implicit-def: $vgpr76_vgpr77
                                        ; implicit-def: $vgpr62_vgpr63
                                        ; implicit-def: $vgpr78_vgpr79
                                        ; implicit-def: $vgpr70_vgpr71
.LBB59_30:
	v_pk_mov_b32 v[72:73], 0, 0
	v_pk_mov_b32 v[80:81], v[72:73], v[72:73] op_sel:[0,1]
	v_pk_mov_b32 v[74:75], v[72:73], v[72:73] op_sel:[0,1]
	;; [unrolled: 1-line block ×7, first 2 shown]
	s_and_saveexec_b64 s[2:3], s[0:1]
	s_cbranch_execz .LBB59_40
; %bb.31:
	v_or_b32_e32 v0, 64, v58
	v_mov_b32_e32 v1, s17
	v_subrev_co_u32_e32 v0, vcc, s20, v0
	v_subb_co_u32_e32 v1, vcc, 0, v1, vcc
	v_add_co_u32_e32 v0, vcc, v0, v16
	v_addc_co_u32_e32 v1, vcc, v1, v17, vcc
	v_cmp_gt_i64_e32 vcc, v[0:1], v[66:67]
	v_cndmask_b32_e32 v1, v67, v1, vcc
	v_cndmask_b32_e32 v0, v66, v0, vcc
	v_mov_b32_e32 v4, s17
	v_sub_co_u32_e32 v5, vcc, s20, v58
	v_not_b32_e32 v3, v16
	v_subbrev_co_u32_e32 v4, vcc, 0, v4, vcc
	v_not_b32_e32 v2, v17
	v_add_co_u32_e32 v3, vcc, v5, v3
	v_addc_co_u32_e32 v2, vcc, v4, v2, vcc
	v_add_co_u32_e32 v82, vcc, v3, v0
	v_lshrrev_b32_e32 v0, 6, v82
	v_add_u32_e32 v0, 1, v0
	v_addc_co_u32_e32 v83, vcc, v2, v1, vcc
	v_and_b32_e32 v0, 3, v0
	v_pk_mov_b32 v[70:71], 0, 0
	v_cmp_ne_u32_e32 vcc, 0, v0
	s_mov_b64 s[10:11], 0
	v_pk_mov_b32 v[78:79], v[70:71], v[70:71] op_sel:[0,1]
	v_pk_mov_b32 v[62:63], v[70:71], v[70:71] op_sel:[0,1]
	;; [unrolled: 1-line block ×7, first 2 shown]
	s_and_saveexec_b64 s[8:9], vcc
	s_cbranch_execz .LBB59_35
; %bb.32:
	v_lshlrev_b64 v[2:3], 3, v[64:65]
	v_mov_b32_e32 v1, s13
	v_add_co_u32_e32 v86, vcc, s12, v2
	v_pk_mov_b32 v[72:73], 0, 0
	v_mov_b32_e32 v85, 0
	v_addc_co_u32_e32 v87, vcc, v1, v3, vcc
	v_lshlrev_b32_e32 v84, 3, v0
	s_movk_i32 s14, 0x4000
	v_mov_b32_e32 v59, s17
	v_mov_b32_e32 v90, s5
	v_pk_mov_b32 v[80:81], v[72:73], v[72:73] op_sel:[0,1]
	v_pk_mov_b32 v[74:75], v[72:73], v[72:73] op_sel:[0,1]
	;; [unrolled: 1-line block ×7, first 2 shown]
.LBB59_33:                              ; =>This Inner Loop Header: Depth=1
	global_load_dwordx2 v[88:89], v[86:87], off
	global_load_dwordx4 v[0:3], v[68:69], off offset:48
	global_load_dwordx4 v[4:7], v[68:69], off offset:32
	;; [unrolled: 1-line block ×3, first 2 shown]
	global_load_dwordx4 v[12:15], v[68:69], off
	global_load_dwordx4 v[16:19], v[68:69], off offset:112
	global_load_dwordx4 v[20:23], v[68:69], off offset:96
	;; [unrolled: 1-line block ×12, first 2 shown]
	v_add_co_u32_e32 v68, vcc, s14, v68
	s_mov_b64 s[0:1], vcc
	v_addc_co_u32_e64 v69, s[0:1], 0, v69, s[0:1]
	s_waitcnt vmcnt(16)
	v_subrev_co_u32_e32 v88, vcc, s20, v88
	v_subb_co_u32_e32 v89, vcc, v89, v59, vcc
	v_lshlrev_b64 v[88:89], 6, v[88:89]
	v_add_co_u32_e32 v88, vcc, s4, v88
	v_addc_co_u32_e32 v89, vcc, v90, v89, vcc
	global_load_dwordx4 v[108:111], v[88:89], off
	global_load_dwordx4 v[112:115], v[88:89], off offset:16
	global_load_dwordx4 v[116:119], v[88:89], off offset:32
	;; [unrolled: 1-line block ×3, first 2 shown]
	v_add_co_u32_e32 v64, vcc, 64, v64
	v_addc_co_u32_e32 v65, vcc, 0, v65, vcc
	v_add_co_u32_e32 v84, vcc, -8, v84
	v_addc_co_u32_e32 v85, vcc, -1, v85, vcc
	v_add_co_u32_e32 v86, vcc, 0x200, v86
	v_cmp_eq_u64_e64 s[0:1], 0, v[84:85]
	v_addc_co_u32_e32 v87, vcc, 0, v87, vcc
	s_or_b64 s[10:11], s[0:1], s[10:11]
	s_waitcnt vmcnt(3)
	v_fmac_f64_e32 v[80:81], v[12:13], v[108:109]
	v_fmac_f64_e32 v[72:73], v[14:15], v[108:109]
	v_fmac_f64_e32 v[78:79], v[8:9], v[108:109]
	v_fmac_f64_e32 v[70:71], v[10:11], v[108:109]
	v_fmac_f64_e32 v[76:77], v[4:5], v[108:109]
	v_fmac_f64_e32 v[62:63], v[6:7], v[108:109]
	v_fmac_f64_e32 v[74:75], v[0:1], v[108:109]
	v_fmac_f64_e32 v[60:61], v[2:3], v[108:109]
	v_fma_f64 v[14:15], -v[14:15], v[110:111], v[80:81]
	v_fmac_f64_e32 v[72:73], v[12:13], v[110:111]
	v_fma_f64 v[10:11], -v[10:11], v[110:111], v[78:79]
	v_fmac_f64_e32 v[70:71], v[8:9], v[110:111]
	v_fma_f64 v[6:7], -v[6:7], v[110:111], v[76:77]
	v_fmac_f64_e32 v[62:63], v[4:5], v[110:111]
	v_fma_f64 v[2:3], -v[2:3], v[110:111], v[74:75]
	v_fmac_f64_e32 v[60:61], v[0:1], v[110:111]
	s_waitcnt vmcnt(2)
	v_fmac_f64_e32 v[14:15], v[28:29], v[112:113]
	v_fmac_f64_e32 v[72:73], v[30:31], v[112:113]
	v_fmac_f64_e32 v[10:11], v[24:25], v[112:113]
	v_fmac_f64_e32 v[70:71], v[26:27], v[112:113]
	v_fmac_f64_e32 v[6:7], v[20:21], v[112:113]
	v_fmac_f64_e32 v[62:63], v[22:23], v[112:113]
	v_fmac_f64_e32 v[2:3], v[16:17], v[112:113]
	v_fmac_f64_e32 v[60:61], v[18:19], v[112:113]
	v_fma_f64 v[0:1], -v[30:31], v[114:115], v[14:15]
	v_fmac_f64_e32 v[72:73], v[28:29], v[114:115]
	v_fma_f64 v[4:5], -v[26:27], v[114:115], v[10:11]
	v_fmac_f64_e32 v[70:71], v[24:25], v[114:115]
	v_fma_f64 v[6:7], -v[22:23], v[114:115], v[6:7]
	v_fmac_f64_e32 v[62:63], v[20:21], v[114:115]
	v_fma_f64 v[2:3], -v[18:19], v[114:115], v[2:3]
	v_fmac_f64_e32 v[60:61], v[16:17], v[114:115]
	;; [unrolled: 17-line block ×4, first 2 shown]
	s_andn2_b64 exec, exec, s[10:11]
	s_cbranch_execnz .LBB59_33
; %bb.34:
	s_or_b64 exec, exec, s[10:11]
.LBB59_35:
	s_or_b64 exec, exec, s[8:9]
	s_mov_b64 s[0:1], 0xbf
	v_cmp_lt_u64_e32 vcc, s[0:1], v[82:83]
	s_and_saveexec_b64 s[8:9], vcc
	s_cbranch_execz .LBB59_39
; %bb.36:
	v_lshlrev_b64 v[0:1], 3, v[64:65]
	v_mov_b32_e32 v2, s13
	v_add_co_u32_e32 v0, vcc, s12, v0
	v_addc_co_u32_e32 v1, vcc, v1, v2, vcc
	v_add_co_u32_e32 v8, vcc, 0x400, v0
	v_addc_co_u32_e32 v9, vcc, 0, v1, vcc
	s_mov_b64 s[10:11], 0
	v_mov_b32_e32 v12, s17
	v_mov_b32_e32 v13, s5
	s_movk_i32 s5, 0x4000
	s_mov_b32 s12, 0x8000
	s_mov_b32 s13, 0xc000
.LBB59_37:                              ; =>This Inner Loop Header: Depth=1
	global_load_dwordx2 v[0:1], v[8:9], off offset:-1024
	global_load_dwordx4 v[14:17], v[68:69], off offset:48
	global_load_dwordx4 v[18:21], v[68:69], off offset:32
	;; [unrolled: 1-line block ×3, first 2 shown]
	global_load_dwordx4 v[26:29], v[68:69], off
	s_waitcnt vmcnt(4)
	v_subrev_co_u32_e32 v0, vcc, s20, v0
	v_subb_co_u32_e32 v1, vcc, v1, v12, vcc
	v_lshlrev_b64 v[0:1], 6, v[0:1]
	v_add_co_u32_e32 v10, vcc, s4, v0
	v_addc_co_u32_e32 v11, vcc, v13, v1, vcc
	global_load_dwordx4 v[0:3], v[10:11], off offset:48
	global_load_dwordx4 v[4:7], v[10:11], off offset:32
	;; [unrolled: 1-line block ×3, first 2 shown]
	global_load_dwordx4 v[34:37], v[10:11], off
	v_add_co_u32_e32 v44, vcc, s5, v68
	v_addc_co_u32_e32 v45, vcc, 0, v69, vcc
	s_waitcnt vmcnt(0)
	v_fmac_f64_e32 v[80:81], v[26:27], v[34:35]
	v_fmac_f64_e32 v[72:73], v[28:29], v[34:35]
	;; [unrolled: 1-line block ×8, first 2 shown]
	v_fma_f64 v[10:11], -v[28:29], v[36:37], v[80:81]
	v_fmac_f64_e32 v[72:73], v[26:27], v[36:37]
	v_fma_f64 v[38:39], -v[24:25], v[36:37], v[78:79]
	v_fmac_f64_e32 v[70:71], v[22:23], v[36:37]
	v_fma_f64 v[40:41], -v[20:21], v[36:37], v[76:77]
	v_fmac_f64_e32 v[62:63], v[18:19], v[36:37]
	v_fma_f64 v[42:43], -v[16:17], v[36:37], v[74:75]
	v_fmac_f64_e32 v[60:61], v[14:15], v[36:37]
	global_load_dwordx4 v[14:17], v[68:69], off offset:112
	global_load_dwordx4 v[18:21], v[68:69], off offset:96
	global_load_dwordx4 v[22:25], v[68:69], off offset:80
	global_load_dwordx4 v[26:29], v[68:69], off offset:64
	s_waitcnt vmcnt(3)
	v_fmac_f64_e32 v[42:43], v[14:15], v[30:31]
	s_waitcnt vmcnt(2)
	v_fmac_f64_e32 v[40:41], v[18:19], v[30:31]
	s_waitcnt vmcnt(1)
	v_fmac_f64_e32 v[38:39], v[22:23], v[30:31]
	s_waitcnt vmcnt(0)
	v_fmac_f64_e32 v[10:11], v[26:27], v[30:31]
	v_fmac_f64_e32 v[72:73], v[28:29], v[30:31]
	v_fmac_f64_e32 v[70:71], v[24:25], v[30:31]
	v_fmac_f64_e32 v[62:63], v[20:21], v[30:31]
	v_fmac_f64_e32 v[60:61], v[16:17], v[30:31]
	v_fma_f64 v[10:11], -v[28:29], v[32:33], v[10:11]
	v_fmac_f64_e32 v[72:73], v[26:27], v[32:33]
	v_fma_f64 v[34:35], -v[24:25], v[32:33], v[38:39]
	v_fmac_f64_e32 v[70:71], v[22:23], v[32:33]
	v_fma_f64 v[36:37], -v[20:21], v[32:33], v[40:41]
	v_fmac_f64_e32 v[62:63], v[18:19], v[32:33]
	v_fma_f64 v[38:39], -v[16:17], v[32:33], v[42:43]
	v_fmac_f64_e32 v[60:61], v[14:15], v[32:33]
	global_load_dwordx4 v[14:17], v[68:69], off offset:176
	global_load_dwordx4 v[18:21], v[68:69], off offset:160
	global_load_dwordx4 v[22:25], v[68:69], off offset:144
	global_load_dwordx4 v[26:29], v[68:69], off offset:128
	s_waitcnt vmcnt(3)
	v_fmac_f64_e32 v[38:39], v[14:15], v[4:5]
	s_waitcnt vmcnt(2)
	v_fmac_f64_e32 v[36:37], v[18:19], v[4:5]
	s_waitcnt vmcnt(1)
	v_fmac_f64_e32 v[34:35], v[22:23], v[4:5]
	s_waitcnt vmcnt(0)
	v_fmac_f64_e32 v[10:11], v[26:27], v[4:5]
	v_fmac_f64_e32 v[72:73], v[28:29], v[4:5]
	v_fmac_f64_e32 v[70:71], v[24:25], v[4:5]
	v_fmac_f64_e32 v[62:63], v[20:21], v[4:5]
	v_fmac_f64_e32 v[60:61], v[16:17], v[4:5]
	;; [unrolled: 24-line block ×3, first 2 shown]
	global_load_dwordx2 v[0:1], v[8:9], off offset:-512
	v_fmac_f64_e32 v[72:73], v[22:23], v[2:3]
	v_fma_f64 v[10:11], -v[24:25], v[2:3], v[10:11]
	v_fma_f64 v[38:39], -v[20:21], v[2:3], v[26:27]
	v_fmac_f64_e32 v[70:71], v[18:19], v[2:3]
	v_fma_f64 v[40:41], -v[16:17], v[2:3], v[28:29]
	v_fmac_f64_e32 v[62:63], v[14:15], v[2:3]
	;; [unrolled: 2-line block ×3, first 2 shown]
	s_waitcnt vmcnt(0)
	v_subrev_co_u32_e32 v22, vcc, s20, v0
	v_subb_co_u32_e32 v23, vcc, v1, v12, vcc
	v_lshlrev_b64 v[22:23], 6, v[22:23]
	v_add_co_u32_e32 v46, vcc, s4, v22
	v_addc_co_u32_e32 v47, vcc, v13, v23, vcc
	global_load_dwordx4 v[0:3], v[44:45], off
	global_load_dwordx4 v[4:7], v[44:45], off offset:48
	global_load_dwordx4 v[14:17], v[44:45], off offset:32
	;; [unrolled: 1-line block ×6, first 2 shown]
	global_load_dwordx4 v[34:37], v[46:47], off
	s_waitcnt vmcnt(0)
	v_fmac_f64_e32 v[10:11], v[0:1], v[34:35]
	v_fmac_f64_e32 v[72:73], v[2:3], v[34:35]
	;; [unrolled: 1-line block ×8, first 2 shown]
	v_fma_f64 v[10:11], -v[2:3], v[36:37], v[10:11]
	v_fmac_f64_e32 v[72:73], v[0:1], v[36:37]
	v_fma_f64 v[38:39], -v[20:21], v[36:37], v[38:39]
	v_fmac_f64_e32 v[70:71], v[18:19], v[36:37]
	;; [unrolled: 2-line block ×4, first 2 shown]
	global_load_dwordx4 v[0:3], v[44:45], off offset:112
	global_load_dwordx4 v[4:7], v[44:45], off offset:96
	;; [unrolled: 1-line block ×4, first 2 shown]
	s_waitcnt vmcnt(3)
	v_fmac_f64_e32 v[42:43], v[0:1], v[30:31]
	s_waitcnt vmcnt(2)
	v_fmac_f64_e32 v[40:41], v[4:5], v[30:31]
	;; [unrolled: 2-line block ×4, first 2 shown]
	v_fmac_f64_e32 v[72:73], v[20:21], v[30:31]
	v_fmac_f64_e32 v[70:71], v[16:17], v[30:31]
	;; [unrolled: 1-line block ×4, first 2 shown]
	v_fma_f64 v[10:11], -v[20:21], v[32:33], v[10:11]
	v_fmac_f64_e32 v[72:73], v[18:19], v[32:33]
	v_fma_f64 v[34:35], -v[16:17], v[32:33], v[38:39]
	v_fmac_f64_e32 v[70:71], v[14:15], v[32:33]
	v_fma_f64 v[36:37], -v[6:7], v[32:33], v[40:41]
	v_fmac_f64_e32 v[62:63], v[4:5], v[32:33]
	v_fma_f64 v[38:39], -v[2:3], v[32:33], v[42:43]
	v_fmac_f64_e32 v[60:61], v[0:1], v[32:33]
	global_load_dwordx4 v[0:3], v[44:45], off offset:176
	global_load_dwordx4 v[4:7], v[44:45], off offset:160
	;; [unrolled: 1-line block ×4, first 2 shown]
	s_waitcnt vmcnt(3)
	v_fmac_f64_e32 v[38:39], v[0:1], v[26:27]
	s_waitcnt vmcnt(2)
	v_fmac_f64_e32 v[36:37], v[4:5], v[26:27]
	s_waitcnt vmcnt(1)
	v_fmac_f64_e32 v[34:35], v[14:15], v[26:27]
	s_waitcnt vmcnt(0)
	v_fmac_f64_e32 v[10:11], v[18:19], v[26:27]
	v_fmac_f64_e32 v[72:73], v[20:21], v[26:27]
	v_fmac_f64_e32 v[70:71], v[16:17], v[26:27]
	;; [unrolled: 1-line block ×4, first 2 shown]
	v_fma_f64 v[10:11], -v[20:21], v[28:29], v[10:11]
	v_fmac_f64_e32 v[72:73], v[18:19], v[28:29]
	v_fma_f64 v[30:31], -v[16:17], v[28:29], v[34:35]
	v_fmac_f64_e32 v[70:71], v[14:15], v[28:29]
	;; [unrolled: 2-line block ×4, first 2 shown]
	global_load_dwordx4 v[14:17], v[44:45], off offset:240
	global_load_dwordx4 v[18:21], v[44:45], off offset:224
	;; [unrolled: 1-line block ×4, first 2 shown]
	s_waitcnt vmcnt(3)
	v_fmac_f64_e32 v[34:35], v[14:15], v[22:23]
	s_waitcnt vmcnt(2)
	v_fmac_f64_e32 v[32:33], v[18:19], v[22:23]
	;; [unrolled: 2-line block ×4, first 2 shown]
	v_fma_f64 v[0:1], -v[28:29], v[24:25], v[10:11]
	global_load_dwordx2 v[10:11], v[8:9], off
	v_fmac_f64_e32 v[72:73], v[28:29], v[22:23]
	v_fmac_f64_e32 v[70:71], v[6:7], v[22:23]
	;; [unrolled: 1-line block ×5, first 2 shown]
	v_fma_f64 v[2:3], -v[6:7], v[24:25], v[30:31]
	v_fmac_f64_e32 v[70:71], v[4:5], v[24:25]
	v_fma_f64 v[4:5], -v[20:21], v[24:25], v[32:33]
	v_fmac_f64_e32 v[62:63], v[18:19], v[24:25]
	;; [unrolled: 2-line block ×3, first 2 shown]
	s_waitcnt vmcnt(0)
	v_subrev_co_u32_e32 v10, vcc, s20, v10
	v_subb_co_u32_e32 v11, vcc, v11, v12, vcc
	v_add_co_u32_e32 v46, vcc, s12, v68
	v_addc_co_u32_e32 v47, vcc, 0, v69, vcc
	v_lshlrev_b64 v[10:11], 6, v[10:11]
	v_add_co_u32_e32 v10, vcc, s4, v10
	v_addc_co_u32_e32 v11, vcc, v13, v11, vcc
	global_load_dwordx4 v[14:17], v[46:47], off
	global_load_dwordx4 v[18:21], v[46:47], off offset:48
	global_load_dwordx4 v[22:25], v[46:47], off offset:32
	;; [unrolled: 1-line block ×6, first 2 shown]
	global_load_dwordx4 v[42:45], v[10:11], off
	s_waitcnt vmcnt(0)
	v_fmac_f64_e32 v[0:1], v[14:15], v[42:43]
	v_fmac_f64_e32 v[72:73], v[16:17], v[42:43]
	;; [unrolled: 1-line block ×8, first 2 shown]
	v_fma_f64 v[10:11], -v[16:17], v[44:45], v[0:1]
	v_fmac_f64_e32 v[72:73], v[14:15], v[44:45]
	v_fma_f64 v[74:75], -v[28:29], v[44:45], v[2:3]
	v_fmac_f64_e32 v[70:71], v[26:27], v[44:45]
	;; [unrolled: 2-line block ×4, first 2 shown]
	global_load_dwordx4 v[0:3], v[46:47], off offset:112
	global_load_dwordx4 v[4:7], v[46:47], off offset:96
	;; [unrolled: 1-line block ×4, first 2 shown]
	s_waitcnt vmcnt(3)
	v_fmac_f64_e32 v[22:23], v[0:1], v[38:39]
	s_waitcnt vmcnt(2)
	v_fmac_f64_e32 v[26:27], v[4:5], v[38:39]
	;; [unrolled: 2-line block ×4, first 2 shown]
	v_fmac_f64_e32 v[72:73], v[20:21], v[38:39]
	v_fmac_f64_e32 v[70:71], v[16:17], v[38:39]
	;; [unrolled: 1-line block ×4, first 2 shown]
	v_fma_f64 v[10:11], -v[20:21], v[40:41], v[10:11]
	v_fmac_f64_e32 v[72:73], v[18:19], v[40:41]
	v_fma_f64 v[24:25], -v[16:17], v[40:41], v[74:75]
	v_fmac_f64_e32 v[70:71], v[14:15], v[40:41]
	;; [unrolled: 2-line block ×4, first 2 shown]
	global_load_dwordx4 v[0:3], v[46:47], off offset:176
	global_load_dwordx4 v[4:7], v[46:47], off offset:160
	;; [unrolled: 1-line block ×4, first 2 shown]
	s_waitcnt vmcnt(3)
	v_fmac_f64_e32 v[22:23], v[0:1], v[34:35]
	s_waitcnt vmcnt(2)
	v_fmac_f64_e32 v[26:27], v[4:5], v[34:35]
	;; [unrolled: 2-line block ×4, first 2 shown]
	v_fmac_f64_e32 v[72:73], v[20:21], v[34:35]
	v_fmac_f64_e32 v[70:71], v[16:17], v[34:35]
	;; [unrolled: 1-line block ×3, first 2 shown]
	v_fma_f64 v[10:11], -v[20:21], v[36:37], v[10:11]
	v_fmac_f64_e32 v[72:73], v[18:19], v[36:37]
	v_fma_f64 v[28:29], -v[16:17], v[36:37], v[24:25]
	v_fmac_f64_e32 v[70:71], v[14:15], v[36:37]
	;; [unrolled: 2-line block ×3, first 2 shown]
	v_fma_f64 v[38:39], -v[2:3], v[36:37], v[22:23]
	global_load_dwordx4 v[14:17], v[46:47], off offset:240
	global_load_dwordx4 v[18:21], v[46:47], off offset:224
	;; [unrolled: 1-line block ×4, first 2 shown]
	v_fmac_f64_e32 v[60:61], v[2:3], v[34:35]
	v_fmac_f64_e32 v[60:61], v[0:1], v[36:37]
	s_waitcnt vmcnt(3)
	v_fmac_f64_e32 v[38:39], v[14:15], v[30:31]
	s_waitcnt vmcnt(2)
	;; [unrolled: 2-line block ×4, first 2 shown]
	v_fmac_f64_e32 v[10:11], v[22:23], v[30:31]
	v_fma_f64 v[0:1], -v[24:25], v[32:33], v[10:11]
	global_load_dwordx2 v[10:11], v[8:9], off offset:512
	v_fmac_f64_e32 v[72:73], v[24:25], v[30:31]
	v_fmac_f64_e32 v[70:71], v[6:7], v[30:31]
	;; [unrolled: 1-line block ×5, first 2 shown]
	v_fma_f64 v[2:3], -v[6:7], v[32:33], v[28:29]
	v_fmac_f64_e32 v[70:71], v[4:5], v[32:33]
	v_fma_f64 v[4:5], -v[20:21], v[32:33], v[26:27]
	v_fmac_f64_e32 v[62:63], v[18:19], v[32:33]
	;; [unrolled: 2-line block ×3, first 2 shown]
	s_waitcnt vmcnt(0)
	v_subrev_co_u32_e32 v10, vcc, s20, v10
	v_subb_co_u32_e32 v11, vcc, v11, v12, vcc
	v_add_co_u32_e32 v46, vcc, s13, v68
	v_addc_co_u32_e32 v47, vcc, 0, v69, vcc
	v_lshlrev_b64 v[10:11], 6, v[10:11]
	v_add_co_u32_e32 v10, vcc, s4, v10
	v_addc_co_u32_e32 v11, vcc, v13, v11, vcc
	global_load_dwordx4 v[14:17], v[46:47], off
	global_load_dwordx4 v[18:21], v[46:47], off offset:48
	global_load_dwordx4 v[22:25], v[46:47], off offset:32
	;; [unrolled: 1-line block ×6, first 2 shown]
	global_load_dwordx4 v[42:45], v[10:11], off
	v_add_co_u32_e32 v64, vcc, 0x100, v64
	v_addc_co_u32_e32 v65, vcc, 0, v65, vcc
	v_add_co_u32_e32 v8, vcc, 0x800, v8
	v_addc_co_u32_e32 v9, vcc, 0, v9, vcc
	v_cmp_ge_i64_e64 s[0:1], v[64:65], v[66:67]
	v_add_co_u32_e32 v68, vcc, 0x10000, v68
	v_addc_co_u32_e32 v69, vcc, 0, v69, vcc
	s_or_b64 s[10:11], s[0:1], s[10:11]
	s_waitcnt vmcnt(0)
	v_fmac_f64_e32 v[0:1], v[14:15], v[42:43]
	v_fmac_f64_e32 v[72:73], v[16:17], v[42:43]
	;; [unrolled: 1-line block ×8, first 2 shown]
	v_fma_f64 v[10:11], -v[16:17], v[44:45], v[0:1]
	v_fmac_f64_e32 v[72:73], v[14:15], v[44:45]
	v_fma_f64 v[74:75], -v[28:29], v[44:45], v[2:3]
	v_fmac_f64_e32 v[70:71], v[26:27], v[44:45]
	v_fma_f64 v[26:27], -v[24:25], v[44:45], v[4:5]
	v_fmac_f64_e32 v[62:63], v[22:23], v[44:45]
	v_fma_f64 v[22:23], -v[20:21], v[44:45], v[6:7]
	v_fmac_f64_e32 v[60:61], v[18:19], v[44:45]
	global_load_dwordx4 v[0:3], v[46:47], off offset:112
	global_load_dwordx4 v[4:7], v[46:47], off offset:96
	global_load_dwordx4 v[14:17], v[46:47], off offset:80
	global_load_dwordx4 v[18:21], v[46:47], off offset:64
	s_waitcnt vmcnt(3)
	v_fmac_f64_e32 v[22:23], v[0:1], v[38:39]
	s_waitcnt vmcnt(2)
	v_fmac_f64_e32 v[26:27], v[4:5], v[38:39]
	s_waitcnt vmcnt(1)
	v_fmac_f64_e32 v[74:75], v[14:15], v[38:39]
	s_waitcnt vmcnt(0)
	v_fmac_f64_e32 v[10:11], v[18:19], v[38:39]
	v_fmac_f64_e32 v[72:73], v[20:21], v[38:39]
	v_fmac_f64_e32 v[70:71], v[16:17], v[38:39]
	v_fmac_f64_e32 v[62:63], v[6:7], v[38:39]
	v_fmac_f64_e32 v[60:61], v[2:3], v[38:39]
	v_fma_f64 v[10:11], -v[20:21], v[40:41], v[10:11]
	v_fmac_f64_e32 v[72:73], v[18:19], v[40:41]
	v_fma_f64 v[24:25], -v[16:17], v[40:41], v[74:75]
	v_fmac_f64_e32 v[70:71], v[14:15], v[40:41]
	v_fma_f64 v[26:27], -v[6:7], v[40:41], v[26:27]
	v_fmac_f64_e32 v[62:63], v[4:5], v[40:41]
	v_fma_f64 v[22:23], -v[2:3], v[40:41], v[22:23]
	v_fmac_f64_e32 v[60:61], v[0:1], v[40:41]
	global_load_dwordx4 v[0:3], v[46:47], off offset:176
	global_load_dwordx4 v[4:7], v[46:47], off offset:160
	global_load_dwordx4 v[14:17], v[46:47], off offset:144
	global_load_dwordx4 v[18:21], v[46:47], off offset:128
	s_waitcnt vmcnt(3)
	v_fmac_f64_e32 v[22:23], v[0:1], v[34:35]
	s_waitcnt vmcnt(2)
	v_fmac_f64_e32 v[26:27], v[4:5], v[34:35]
	s_waitcnt vmcnt(1)
	v_fmac_f64_e32 v[24:25], v[14:15], v[34:35]
	s_waitcnt vmcnt(0)
	v_fmac_f64_e32 v[10:11], v[18:19], v[34:35]
	v_fmac_f64_e32 v[72:73], v[20:21], v[34:35]
	v_fmac_f64_e32 v[70:71], v[16:17], v[34:35]
	v_fmac_f64_e32 v[62:63], v[6:7], v[34:35]
	v_fmac_f64_e32 v[60:61], v[2:3], v[34:35]
	;; [unrolled: 24-line block ×3, first 2 shown]
	v_fma_f64 v[80:81], -v[20:21], v[32:33], v[10:11]
	v_fmac_f64_e32 v[72:73], v[18:19], v[32:33]
	v_fma_f64 v[78:79], -v[16:17], v[32:33], v[24:25]
	v_fmac_f64_e32 v[70:71], v[14:15], v[32:33]
	;; [unrolled: 2-line block ×4, first 2 shown]
	s_andn2_b64 exec, exec, s[10:11]
	s_cbranch_execnz .LBB59_37
; %bb.38:
	s_or_b64 exec, exec, s[10:11]
.LBB59_39:
	s_or_b64 exec, exec, s[8:9]
.LBB59_40:
	s_or_b64 exec, exec, s[2:3]
.LBB59_41:
	v_mov_b32_dpp v0, v80 row_shr:1 row_mask:0xf bank_mask:0xf
	v_mov_b32_dpp v1, v81 row_shr:1 row_mask:0xf bank_mask:0xf
	v_mov_b32_dpp v4, v72 row_shr:1 row_mask:0xf bank_mask:0xf
	v_mov_b32_dpp v5, v73 row_shr:1 row_mask:0xf bank_mask:0xf
	v_mov_b32_dpp v8, v78 row_shr:1 row_mask:0xf bank_mask:0xf
	v_mov_b32_dpp v9, v79 row_shr:1 row_mask:0xf bank_mask:0xf
	v_mov_b32_dpp v12, v70 row_shr:1 row_mask:0xf bank_mask:0xf
	v_mov_b32_dpp v13, v71 row_shr:1 row_mask:0xf bank_mask:0xf
	v_mov_b32_dpp v16, v76 row_shr:1 row_mask:0xf bank_mask:0xf
	v_mov_b32_dpp v17, v77 row_shr:1 row_mask:0xf bank_mask:0xf
	v_mov_b32_dpp v20, v62 row_shr:1 row_mask:0xf bank_mask:0xf
	v_mov_b32_dpp v21, v63 row_shr:1 row_mask:0xf bank_mask:0xf
	v_mov_b32_dpp v24, v74 row_shr:1 row_mask:0xf bank_mask:0xf
	v_mov_b32_dpp v25, v75 row_shr:1 row_mask:0xf bank_mask:0xf
	v_mov_b32_dpp v28, v60 row_shr:1 row_mask:0xf bank_mask:0xf
	v_mov_b32_dpp v29, v61 row_shr:1 row_mask:0xf bank_mask:0xf
	v_add_f64 v[0:1], v[80:81], v[0:1]
	v_add_f64 v[4:5], v[72:73], v[4:5]
	v_add_f64 v[8:9], v[78:79], v[8:9]
	v_add_f64 v[12:13], v[70:71], v[12:13]
	v_add_f64 v[16:17], v[76:77], v[16:17]
	v_add_f64 v[20:21], v[62:63], v[20:21]
	v_add_f64 v[24:25], v[74:75], v[24:25]
	v_add_f64 v[28:29], v[60:61], v[28:29]
	v_mov_b32_dpp v2, v0 row_shr:2 row_mask:0xf bank_mask:0xf
	v_mov_b32_dpp v3, v1 row_shr:2 row_mask:0xf bank_mask:0xf
	v_mov_b32_dpp v6, v4 row_shr:2 row_mask:0xf bank_mask:0xf
	v_mov_b32_dpp v7, v5 row_shr:2 row_mask:0xf bank_mask:0xf
	v_mov_b32_dpp v10, v8 row_shr:2 row_mask:0xf bank_mask:0xf
	v_mov_b32_dpp v11, v9 row_shr:2 row_mask:0xf bank_mask:0xf
	v_mov_b32_dpp v14, v12 row_shr:2 row_mask:0xf bank_mask:0xf
	v_mov_b32_dpp v15, v13 row_shr:2 row_mask:0xf bank_mask:0xf
	v_mov_b32_dpp v18, v16 row_shr:2 row_mask:0xf bank_mask:0xf
	v_mov_b32_dpp v19, v17 row_shr:2 row_mask:0xf bank_mask:0xf
	v_mov_b32_dpp v22, v20 row_shr:2 row_mask:0xf bank_mask:0xf
	v_mov_b32_dpp v23, v21 row_shr:2 row_mask:0xf bank_mask:0xf
	v_mov_b32_dpp v26, v24 row_shr:2 row_mask:0xf bank_mask:0xf
	v_mov_b32_dpp v27, v25 row_shr:2 row_mask:0xf bank_mask:0xf
	v_mov_b32_dpp v30, v28 row_shr:2 row_mask:0xf bank_mask:0xf
	v_mov_b32_dpp v31, v29 row_shr:2 row_mask:0xf bank_mask:0xf
	v_add_f64 v[0:1], v[0:1], v[2:3]
	v_add_f64 v[4:5], v[4:5], v[6:7]
	v_add_f64 v[8:9], v[8:9], v[10:11]
	v_add_f64 v[12:13], v[12:13], v[14:15]
	v_add_f64 v[16:17], v[16:17], v[18:19]
	v_add_f64 v[20:21], v[20:21], v[22:23]
	v_add_f64 v[24:25], v[24:25], v[26:27]
	v_add_f64 v[28:29], v[28:29], v[30:31]
	v_mov_b32_dpp v2, v0 row_shr:4 row_mask:0xf bank_mask:0xe
	v_mov_b32_dpp v3, v1 row_shr:4 row_mask:0xf bank_mask:0xe
	v_mov_b32_dpp v6, v4 row_shr:4 row_mask:0xf bank_mask:0xe
	v_mov_b32_dpp v7, v5 row_shr:4 row_mask:0xf bank_mask:0xe
	v_mov_b32_dpp v10, v8 row_shr:4 row_mask:0xf bank_mask:0xe
	v_mov_b32_dpp v11, v9 row_shr:4 row_mask:0xf bank_mask:0xe
	v_mov_b32_dpp v14, v12 row_shr:4 row_mask:0xf bank_mask:0xe
	v_mov_b32_dpp v15, v13 row_shr:4 row_mask:0xf bank_mask:0xe
	v_mov_b32_dpp v18, v16 row_shr:4 row_mask:0xf bank_mask:0xe
	v_mov_b32_dpp v19, v17 row_shr:4 row_mask:0xf bank_mask:0xe
	v_mov_b32_dpp v22, v20 row_shr:4 row_mask:0xf bank_mask:0xe
	v_mov_b32_dpp v23, v21 row_shr:4 row_mask:0xf bank_mask:0xe
	v_mov_b32_dpp v26, v24 row_shr:4 row_mask:0xf bank_mask:0xe
	v_mov_b32_dpp v27, v25 row_shr:4 row_mask:0xf bank_mask:0xe
	v_mov_b32_dpp v30, v28 row_shr:4 row_mask:0xf bank_mask:0xe
	v_mov_b32_dpp v31, v29 row_shr:4 row_mask:0xf bank_mask:0xe
	v_add_f64 v[0:1], v[0:1], v[2:3]
	v_add_f64 v[4:5], v[4:5], v[6:7]
	v_add_f64 v[8:9], v[8:9], v[10:11]
	v_add_f64 v[12:13], v[12:13], v[14:15]
	v_add_f64 v[16:17], v[16:17], v[18:19]
	v_add_f64 v[20:21], v[20:21], v[22:23]
	v_add_f64 v[24:25], v[24:25], v[26:27]
	v_add_f64 v[28:29], v[28:29], v[30:31]
	v_mov_b32_dpp v2, v0 row_shr:8 row_mask:0xf bank_mask:0xc
	v_mov_b32_dpp v3, v1 row_shr:8 row_mask:0xf bank_mask:0xc
	v_mov_b32_dpp v6, v4 row_shr:8 row_mask:0xf bank_mask:0xc
	v_mov_b32_dpp v7, v5 row_shr:8 row_mask:0xf bank_mask:0xc
	v_mov_b32_dpp v10, v8 row_shr:8 row_mask:0xf bank_mask:0xc
	v_mov_b32_dpp v11, v9 row_shr:8 row_mask:0xf bank_mask:0xc
	v_mov_b32_dpp v14, v12 row_shr:8 row_mask:0xf bank_mask:0xc
	v_mov_b32_dpp v15, v13 row_shr:8 row_mask:0xf bank_mask:0xc
	v_mov_b32_dpp v18, v16 row_shr:8 row_mask:0xf bank_mask:0xc
	v_mov_b32_dpp v19, v17 row_shr:8 row_mask:0xf bank_mask:0xc
	v_mov_b32_dpp v22, v20 row_shr:8 row_mask:0xf bank_mask:0xc
	v_mov_b32_dpp v23, v21 row_shr:8 row_mask:0xf bank_mask:0xc
	v_mov_b32_dpp v26, v24 row_shr:8 row_mask:0xf bank_mask:0xc
	v_mov_b32_dpp v27, v25 row_shr:8 row_mask:0xf bank_mask:0xc
	v_mov_b32_dpp v30, v28 row_shr:8 row_mask:0xf bank_mask:0xc
	v_mov_b32_dpp v31, v29 row_shr:8 row_mask:0xf bank_mask:0xc
	v_add_f64 v[0:1], v[0:1], v[2:3]
	v_add_f64 v[4:5], v[4:5], v[6:7]
	v_add_f64 v[8:9], v[8:9], v[10:11]
	v_add_f64 v[12:13], v[12:13], v[14:15]
	v_add_f64 v[16:17], v[16:17], v[18:19]
	v_add_f64 v[20:21], v[20:21], v[22:23]
	v_add_f64 v[24:25], v[24:25], v[26:27]
	v_add_f64 v[28:29], v[28:29], v[30:31]
	v_mov_b32_dpp v2, v0 row_bcast:15 row_mask:0xa bank_mask:0xf
	v_mov_b32_dpp v3, v1 row_bcast:15 row_mask:0xa bank_mask:0xf
	;; [unrolled: 1-line block ×16, first 2 shown]
	v_add_f64 v[0:1], v[0:1], v[2:3]
	v_add_f64 v[4:5], v[4:5], v[6:7]
	;; [unrolled: 1-line block ×8, first 2 shown]
	v_mov_b32_dpp v2, v0 row_bcast:31 row_mask:0xc bank_mask:0xf
	v_mov_b32_dpp v3, v1 row_bcast:31 row_mask:0xc bank_mask:0xf
	;; [unrolled: 1-line block ×16, first 2 shown]
	v_cmp_eq_u32_e32 vcc, 63, v58
	s_and_b64 exec, exec, vcc
	s_cbranch_execz .LBB59_12
; %bb.42:
	s_load_dwordx2 s[2:3], s[6:7], 0x68
	v_add_f64 v[32:33], v[0:1], v[2:3]
	v_add_f64 v[0:1], v[4:5], v[6:7]
	;; [unrolled: 1-line block ×8, first 2 shown]
	v_cmp_eq_f64_e32 vcc, 0, v[48:49]
	v_cmp_eq_f64_e64 s[0:1], 0, v[50:51]
	v_mul_f64 v[12:13], v[0:1], -v[54:55]
	v_mul_f64 v[14:15], v[52:53], v[0:1]
	v_mul_f64 v[8:9], v[2:3], -v[54:55]
	v_mul_f64 v[10:11], v[52:53], v[2:3]
	;; [unrolled: 2-line block ×4, first 2 shown]
	s_and_b64 s[0:1], vcc, s[0:1]
	v_fmac_f64_e32 v[12:13], v[52:53], v[32:33]
	v_fmac_f64_e32 v[14:15], v[54:55], v[32:33]
	v_lshlrev_b64 v[16:17], 6, v[56:57]
	v_fmac_f64_e32 v[8:9], v[52:53], v[34:35]
	v_fmac_f64_e32 v[10:11], v[54:55], v[34:35]
	;; [unrolled: 1-line block ×6, first 2 shown]
	s_and_saveexec_b64 s[4:5], s[0:1]
	s_xor_b64 s[0:1], exec, s[4:5]
	s_cbranch_execz .LBB59_44
; %bb.43:
	s_waitcnt lgkmcnt(0)
	v_mov_b32_e32 v18, s3
	v_add_co_u32_e32 v16, vcc, s2, v16
	v_addc_co_u32_e32 v17, vcc, v18, v17, vcc
	global_store_dwordx4 v[16:17], v[12:15], off
	global_store_dwordx4 v[16:17], v[8:11], off offset:16
	global_store_dwordx4 v[16:17], v[4:7], off offset:32
	global_store_dwordx4 v[16:17], v[0:3], off offset:48
                                        ; implicit-def: $vgpr48_vgpr49
                                        ; implicit-def: $vgpr50_vgpr51
                                        ; implicit-def: $vgpr12_vgpr13
                                        ; implicit-def: $vgpr16_vgpr17
                                        ; implicit-def: $vgpr8_vgpr9
                                        ; implicit-def: $vgpr4_vgpr5
                                        ; implicit-def: $vgpr0_vgpr1
.LBB59_44:
	s_andn2_saveexec_b64 s[0:1], s[0:1]
	s_cbranch_execz .LBB59_12
; %bb.45:
	s_waitcnt lgkmcnt(0)
	v_mov_b32_e32 v18, s3
	v_add_co_u32_e32 v32, vcc, s2, v16
	v_addc_co_u32_e32 v33, vcc, v18, v17, vcc
	global_load_dwordx4 v[16:19], v[32:33], off
	global_load_dwordx4 v[20:23], v[32:33], off offset:16
	global_load_dwordx4 v[24:27], v[32:33], off offset:32
	;; [unrolled: 1-line block ×3, first 2 shown]
	s_waitcnt vmcnt(3)
	v_fmac_f64_e32 v[12:13], v[48:49], v[16:17]
	v_fmac_f64_e32 v[14:15], v[50:51], v[16:17]
	s_waitcnt vmcnt(2)
	v_fmac_f64_e32 v[8:9], v[48:49], v[20:21]
	v_fmac_f64_e32 v[10:11], v[50:51], v[20:21]
	;; [unrolled: 3-line block ×4, first 2 shown]
	v_fma_f64 v[12:13], -v[50:51], v[18:19], v[12:13]
	v_fmac_f64_e32 v[14:15], v[48:49], v[18:19]
	v_fma_f64 v[8:9], -v[50:51], v[22:23], v[8:9]
	v_fmac_f64_e32 v[10:11], v[48:49], v[22:23]
	;; [unrolled: 2-line block ×4, first 2 shown]
	global_store_dwordx4 v[32:33], v[12:15], off
	global_store_dwordx4 v[32:33], v[8:11], off offset:16
	global_store_dwordx4 v[32:33], v[4:7], off offset:32
	global_store_dwordx4 v[32:33], v[0:3], off offset:48
	s_endpgm
	.section	.rodata,"a",@progbits
	.p2align	6, 0x0
	.amdhsa_kernel _ZN9rocsparseL18bsrxmvn_4x4_kernelILj128ELj64E21rocsparse_complex_numIdEllS2_S2_S2_EEvT3_20rocsparse_direction_NS_24const_host_device_scalarIT1_EES3_PKS3_PKT2_SC_S9_PKT4_PKT5_S7_PT6_21rocsparse_index_base_b
		.amdhsa_group_segment_fixed_size 2048
		.amdhsa_private_segment_fixed_size 0
		.amdhsa_kernarg_size 120
		.amdhsa_user_sgpr_count 8
		.amdhsa_user_sgpr_private_segment_buffer 1
		.amdhsa_user_sgpr_dispatch_ptr 1
		.amdhsa_user_sgpr_queue_ptr 0
		.amdhsa_user_sgpr_kernarg_segment_ptr 1
		.amdhsa_user_sgpr_dispatch_id 0
		.amdhsa_user_sgpr_flat_scratch_init 0
		.amdhsa_user_sgpr_kernarg_preload_length 0
		.amdhsa_user_sgpr_kernarg_preload_offset 0
		.amdhsa_user_sgpr_private_segment_size 0
		.amdhsa_uses_dynamic_stack 0
		.amdhsa_system_sgpr_private_segment_wavefront_offset 0
		.amdhsa_system_sgpr_workgroup_id_x 1
		.amdhsa_system_sgpr_workgroup_id_y 0
		.amdhsa_system_sgpr_workgroup_id_z 0
		.amdhsa_system_sgpr_workgroup_info 0
		.amdhsa_system_vgpr_workitem_id 2
		.amdhsa_next_free_vgpr 124
		.amdhsa_next_free_sgpr 23
		.amdhsa_accum_offset 124
		.amdhsa_reserve_vcc 1
		.amdhsa_reserve_flat_scratch 0
		.amdhsa_float_round_mode_32 0
		.amdhsa_float_round_mode_16_64 0
		.amdhsa_float_denorm_mode_32 3
		.amdhsa_float_denorm_mode_16_64 3
		.amdhsa_dx10_clamp 1
		.amdhsa_ieee_mode 1
		.amdhsa_fp16_overflow 0
		.amdhsa_tg_split 0
		.amdhsa_exception_fp_ieee_invalid_op 0
		.amdhsa_exception_fp_denorm_src 0
		.amdhsa_exception_fp_ieee_div_zero 0
		.amdhsa_exception_fp_ieee_overflow 0
		.amdhsa_exception_fp_ieee_underflow 0
		.amdhsa_exception_fp_ieee_inexact 0
		.amdhsa_exception_int_div_zero 0
	.end_amdhsa_kernel
	.section	.text._ZN9rocsparseL18bsrxmvn_4x4_kernelILj128ELj64E21rocsparse_complex_numIdEllS2_S2_S2_EEvT3_20rocsparse_direction_NS_24const_host_device_scalarIT1_EES3_PKS3_PKT2_SC_S9_PKT4_PKT5_S7_PT6_21rocsparse_index_base_b,"axG",@progbits,_ZN9rocsparseL18bsrxmvn_4x4_kernelILj128ELj64E21rocsparse_complex_numIdEllS2_S2_S2_EEvT3_20rocsparse_direction_NS_24const_host_device_scalarIT1_EES3_PKS3_PKT2_SC_S9_PKT4_PKT5_S7_PT6_21rocsparse_index_base_b,comdat
.Lfunc_end59:
	.size	_ZN9rocsparseL18bsrxmvn_4x4_kernelILj128ELj64E21rocsparse_complex_numIdEllS2_S2_S2_EEvT3_20rocsparse_direction_NS_24const_host_device_scalarIT1_EES3_PKS3_PKT2_SC_S9_PKT4_PKT5_S7_PT6_21rocsparse_index_base_b, .Lfunc_end59-_ZN9rocsparseL18bsrxmvn_4x4_kernelILj128ELj64E21rocsparse_complex_numIdEllS2_S2_S2_EEvT3_20rocsparse_direction_NS_24const_host_device_scalarIT1_EES3_PKS3_PKT2_SC_S9_PKT4_PKT5_S7_PT6_21rocsparse_index_base_b
                                        ; -- End function
	.section	.AMDGPU.csdata,"",@progbits
; Kernel info:
; codeLenInByte = 8920
; NumSgprs: 27
; NumVgprs: 124
; NumAgprs: 0
; TotalNumVgprs: 124
; ScratchSize: 0
; MemoryBound: 1
; FloatMode: 240
; IeeeMode: 1
; LDSByteSize: 2048 bytes/workgroup (compile time only)
; SGPRBlocks: 3
; VGPRBlocks: 15
; NumSGPRsForWavesPerEU: 27
; NumVGPRsForWavesPerEU: 124
; AccumOffset: 124
; Occupancy: 4
; WaveLimiterHint : 1
; COMPUTE_PGM_RSRC2:SCRATCH_EN: 0
; COMPUTE_PGM_RSRC2:USER_SGPR: 8
; COMPUTE_PGM_RSRC2:TRAP_HANDLER: 0
; COMPUTE_PGM_RSRC2:TGID_X_EN: 1
; COMPUTE_PGM_RSRC2:TGID_Y_EN: 0
; COMPUTE_PGM_RSRC2:TGID_Z_EN: 0
; COMPUTE_PGM_RSRC2:TIDIG_COMP_CNT: 2
; COMPUTE_PGM_RSRC3_GFX90A:ACCUM_OFFSET: 30
; COMPUTE_PGM_RSRC3_GFX90A:TG_SPLIT: 0
	.section	.text._ZN9rocsparseL18bsrxmvn_4x4_kernelILj128ELj4EiiiaaiEEvT3_20rocsparse_direction_NS_24const_host_device_scalarIT1_EES1_PKS1_PKT2_SA_S7_PKT4_PKT5_S5_PT6_21rocsparse_index_base_b,"axG",@progbits,_ZN9rocsparseL18bsrxmvn_4x4_kernelILj128ELj4EiiiaaiEEvT3_20rocsparse_direction_NS_24const_host_device_scalarIT1_EES1_PKS1_PKT2_SA_S7_PKT4_PKT5_S5_PT6_21rocsparse_index_base_b,comdat
	.globl	_ZN9rocsparseL18bsrxmvn_4x4_kernelILj128ELj4EiiiaaiEEvT3_20rocsparse_direction_NS_24const_host_device_scalarIT1_EES1_PKS1_PKT2_SA_S7_PKT4_PKT5_S5_PT6_21rocsparse_index_base_b ; -- Begin function _ZN9rocsparseL18bsrxmvn_4x4_kernelILj128ELj4EiiiaaiEEvT3_20rocsparse_direction_NS_24const_host_device_scalarIT1_EES1_PKS1_PKT2_SA_S7_PKT4_PKT5_S5_PT6_21rocsparse_index_base_b
	.p2align	8
	.type	_ZN9rocsparseL18bsrxmvn_4x4_kernelILj128ELj4EiiiaaiEEvT3_20rocsparse_direction_NS_24const_host_device_scalarIT1_EES1_PKS1_PKT2_SA_S7_PKT4_PKT5_S5_PT6_21rocsparse_index_base_b,@function
_ZN9rocsparseL18bsrxmvn_4x4_kernelILj128ELj4EiiiaaiEEvT3_20rocsparse_direction_NS_24const_host_device_scalarIT1_EES1_PKS1_PKT2_SA_S7_PKT4_PKT5_S5_PT6_21rocsparse_index_base_b: ; @_ZN9rocsparseL18bsrxmvn_4x4_kernelILj128ELj4EiiiaaiEEvT3_20rocsparse_direction_NS_24const_host_device_scalarIT1_EES1_PKS1_PKT2_SA_S7_PKT4_PKT5_S5_PT6_21rocsparse_index_base_b
; %bb.0:
	s_load_dwordx2 s[16:17], s[4:5], 0x58
	s_load_dwordx2 s[8:9], s[4:5], 0x8
	s_mov_b64 s[10:11], -1
	s_waitcnt lgkmcnt(0)
	s_bitcmp1_b32 s17, 0
	s_cselect_b64 s[0:1], -1, 0
	s_xor_b64 s[2:3], s[0:1], -1
	s_and_b64 vcc, exec, s[2:3]
                                        ; implicit-def: $sgpr17
	s_cbranch_vccnz .LBB60_4
; %bb.1:
	s_load_dwordx2 s[0:1], s[4:5], 0x48
	s_andn2_b64 vcc, exec, s[10:11]
	s_cbranch_vccz .LBB60_5
.LBB60_2:
	s_and_b64 vcc, exec, s[2:3]
	s_cbranch_vccz .LBB60_6
.LBB60_3:
	s_waitcnt lgkmcnt(0)
	s_load_dword s22, s[0:1], 0x0
	s_cbranch_execz .LBB60_7
	s_branch .LBB60_8
.LBB60_4:
	s_load_dword s17, s[8:9], 0x0
	s_load_dwordx2 s[0:1], s[4:5], 0x48
	s_cbranch_execnz .LBB60_2
.LBB60_5:
	s_waitcnt lgkmcnt(0)
	s_mov_b32 s17, s8
	s_and_b64 vcc, exec, s[2:3]
	s_cbranch_vccnz .LBB60_3
.LBB60_6:
                                        ; implicit-def: $sgpr22
.LBB60_7:
	s_waitcnt lgkmcnt(0)
	s_mov_b32 s22, s0
.LBB60_8:
	s_waitcnt lgkmcnt(0)
	s_cmp_lg_u32 s17, 0
	s_cselect_b64 s[0:1], -1, 0
	s_cmp_lg_u32 s22, 1
	s_cselect_b64 s[2:3], -1, 0
	s_or_b64 s[0:1], s[0:1], s[2:3]
	s_andn2_b64 vcc, exec, s[0:1]
	s_cbranch_vccnz .LBB60_14
; %bb.9:
	s_load_dwordx2 s[8:9], s[4:5], 0x18
	s_load_dwordx2 s[0:1], s[4:5], 0x0
	v_lshrrev_b32_e32 v1, 2, v0
	v_lshl_or_b32 v4, s6, 5, v1
	s_mov_b64 s[2:3], 0
	s_waitcnt lgkmcnt(0)
	s_cmp_lg_u64 s[8:9], 0
	s_cbranch_scc0 .LBB60_15
; %bb.10:
	s_load_dword s6, s[4:5], 0x10
                                        ; implicit-def: $vgpr1
	s_waitcnt lgkmcnt(0)
	v_cmp_gt_i32_e32 vcc, s6, v4
	s_and_saveexec_b64 s[6:7], vcc
	s_xor_b64 s[6:7], exec, s[6:7]
	s_cbranch_execz .LBB60_12
; %bb.11:
	v_ashrrev_i32_e32 v5, 31, v4
	v_lshlrev_b64 v[2:3], 2, v[4:5]
	v_mov_b32_e32 v1, s9
	v_add_co_u32_e32 v2, vcc, s8, v2
	v_addc_co_u32_e32 v3, vcc, v1, v3, vcc
	global_load_dword v1, v[2:3], off
	s_mov_b64 s[2:3], exec
	s_waitcnt vmcnt(0)
	v_subrev_u32_e32 v1, s16, v1
.LBB60_12:
	s_or_b64 exec, exec, s[6:7]
	s_branch .LBB60_16
.LBB60_13:
	v_cmp_gt_i32_e32 vcc, s0, v4
	s_andn2_b64 s[2:3], s[2:3], exec
	s_and_b64 s[6:7], vcc, exec
	s_or_b64 s[2:3], s[2:3], s[6:7]
	s_and_saveexec_b64 s[6:7], s[2:3]
	s_cbranch_execnz .LBB60_17
.LBB60_14:
	s_endpgm
.LBB60_15:
                                        ; implicit-def: $vgpr1
	s_cbranch_execnz .LBB60_13
.LBB60_16:
	v_mov_b32_e32 v4, v1
	s_and_saveexec_b64 s[6:7], s[2:3]
	s_cbranch_execz .LBB60_14
.LBB60_17:
	s_load_dwordx8 s[8:15], s[4:5], 0x20
	v_ashrrev_i32_e32 v5, 31, v4
	v_lshlrev_b64 v[2:3], 2, v[4:5]
	s_waitcnt lgkmcnt(0)
	v_mov_b32_e32 v1, s9
	v_add_co_u32_e32 v6, vcc, s8, v2
	v_addc_co_u32_e32 v7, vcc, v1, v3, vcc
	v_add_co_u32_e32 v1, vcc, 4, v6
	v_addc_co_u32_e32 v5, vcc, 0, v7, vcc
	global_load_dword v14, v[6:7], off
	v_mov_b32_e32 v6, s11
	v_add_co_u32_e32 v2, vcc, s10, v2
	s_cmp_eq_u64 s[10:11], 0
	v_addc_co_u32_e32 v3, vcc, v6, v3, vcc
	s_cselect_b64 vcc, -1, 0
	v_cndmask_b32_e32 v3, v3, v5, vcc
	v_cndmask_b32_e32 v2, v2, v1, vcc
	global_load_dword v1, v[2:3], off
	v_and_b32_e32 v5, 3, v0
	s_load_dwordx2 s[10:11], s[4:5], 0x40
	v_mov_b32_e32 v6, s15
	s_cmp_eq_u32 s1, 1
	s_waitcnt vmcnt(1)
	v_subrev_u32_e32 v0, s16, v14
	v_add_u32_e32 v0, v0, v5
	s_waitcnt vmcnt(0)
	v_subrev_u32_e32 v15, s16, v1
	v_ashrrev_i32_e32 v1, 31, v0
	v_lshlrev_b64 v[2:3], 4, v[0:1]
	v_add_co_u32_e32 v2, vcc, s14, v2
	v_addc_co_u32_e32 v3, vcc, v6, v3, vcc
	v_cmp_lt_i32_e64 s[0:1], v0, v15
	s_cbranch_scc1 .LBB60_29
; %bb.18:
	v_mov_b32_e32 v10, 0
	v_mov_b32_e32 v11, 0
	;; [unrolled: 1-line block ×4, first 2 shown]
	s_and_saveexec_b64 s[14:15], s[0:1]
	s_cbranch_execz .LBB60_28
; %bb.19:
	v_add_u32_e32 v1, v14, v5
	v_subrev_u32_e32 v1, s16, v1
	v_add_u32_e32 v1, 4, v1
	v_max_i32_e32 v1, v1, v15
	v_not_b32_e32 v6, v14
	v_add3_u32 v1, v1, s16, v6
	v_sub_u32_e32 v6, v1, v5
	v_lshrrev_b32_e32 v1, 2, v6
	v_add_u32_e32 v1, 1, v1
	v_cmp_lt_u32_e32 vcc, 11, v6
	v_mov_b32_e32 v13, 0
	v_mov_b32_e32 v12, 0
	;; [unrolled: 1-line block ×5, first 2 shown]
	v_pk_mov_b32 v[8:9], v[2:3], v[2:3] op_sel:[0,1]
	s_and_saveexec_b64 s[18:19], vcc
	s_cbranch_execz .LBB60_23
; %bb.20:
	v_and_b32_e32 v16, 0x7ffffffc, v1
	s_mov_b64 s[20:21], 0
	v_mov_b32_e32 v10, 0
	v_mov_b32_e32 v17, s13
	s_waitcnt lgkmcnt(0)
	v_mov_b32_e32 v18, s11
	v_pk_mov_b32 v[8:9], v[2:3], v[2:3] op_sel:[0,1]
	v_mov_b32_e32 v6, v0
	v_mov_b32_e32 v11, 0
	;; [unrolled: 1-line block ×4, first 2 shown]
.LBB60_21:                              ; =>This Inner Loop Header: Depth=1
	v_ashrrev_i32_e32 v7, 31, v6
	v_lshlrev_b64 v[20:21], 2, v[6:7]
	v_add_co_u32_e32 v36, vcc, s12, v20
	v_addc_co_u32_e32 v37, vcc, v17, v21, vcc
	global_load_dword v7, v[36:37], off
	global_load_dword v19, v[36:37], off offset:16
	global_load_dword v38, v[36:37], off offset:32
	;; [unrolled: 1-line block ×3, first 2 shown]
	global_load_dwordx4 v[20:23], v[8:9], off
	global_load_dwordx4 v[24:27], v[8:9], off offset:64
	global_load_dwordx4 v[28:31], v[8:9], off offset:128
	;; [unrolled: 1-line block ×3, first 2 shown]
	v_add_u32_e32 v16, -4, v16
	v_add_u32_e32 v6, 16, v6
	s_waitcnt vmcnt(7)
	v_subrev_u32_e32 v7, s16, v7
	s_waitcnt vmcnt(6)
	v_subrev_u32_e32 v19, s16, v19
	;; [unrolled: 2-line block ×4, first 2 shown]
	v_lshlrev_b32_e32 v7, 2, v7
	v_lshlrev_b32_e32 v19, 2, v19
	;; [unrolled: 1-line block ×4, first 2 shown]
	v_ashrrev_i32_e32 v39, 31, v7
	v_add_co_u32_e64 v42, s[8:9], s10, v7
	v_ashrrev_i32_e32 v41, 31, v19
	v_add_co_u32_e32 v36, vcc, s10, v19
	v_ashrrev_i32_e32 v19, 31, v38
	v_add_co_u32_e64 v38, s[2:3], s10, v38
	v_ashrrev_i32_e32 v44, 31, v37
	v_add_co_u32_e64 v40, s[6:7], s10, v37
	v_addc_co_u32_e64 v43, s[8:9], v18, v39, s[8:9]
	v_addc_co_u32_e32 v37, vcc, v18, v41, vcc
	v_addc_co_u32_e64 v39, vcc, v18, v19, s[2:3]
	v_addc_co_u32_e64 v41, vcc, v18, v44, s[6:7]
	global_load_dword v7, v[42:43], off
	global_load_dword v19, v[36:37], off
	;; [unrolled: 1-line block ×4, first 2 shown]
	s_waitcnt vmcnt(7)
	v_lshrrev_b16_e32 v36, 8, v20
	v_bfe_i32 v37, v20, 0, 8
	s_waitcnt vmcnt(6)
	v_lshrrev_b16_e32 v38, 8, v24
	v_bfe_i32 v36, v36, 0, 8
	v_bfe_i32 v39, v24, 0, 8
	s_waitcnt vmcnt(5)
	v_lshrrev_b16_e32 v40, 8, v28
	v_bfe_i32 v38, v38, 0, 8
	v_add_co_u32_e32 v8, vcc, 0x100, v8
	v_bfe_i32 v41, v28, 0, 8
	s_waitcnt vmcnt(4)
	v_lshrrev_b16_e32 v42, 8, v32
	v_bfe_i32 v40, v40, 0, 8
	v_addc_co_u32_e32 v9, vcc, 0, v9, vcc
	v_bfe_i32 v43, v32, 0, 8
	v_bfe_i32 v42, v42, 0, 8
	v_cmp_eq_u32_e32 vcc, 0, v16
	s_or_b64 s[20:21], vcc, s[20:21]
	s_waitcnt vmcnt(3)
	v_lshrrev_b16_e32 v46, 8, v7
	v_bfe_i32 v47, v7, 0, 8
	v_mul_i32_i24_sdwa v48, sext(v7), sext(v20) dst_sel:DWORD dst_unused:UNUSED_PAD src0_sel:BYTE_2 src1_sel:BYTE_2
	v_mul_i32_i24_sdwa v20, sext(v7), sext(v20) dst_sel:DWORD dst_unused:UNUSED_PAD src0_sel:BYTE_3 src1_sel:BYTE_3
	v_dot4c_i32_i8_e32 v12, v7, v21
	v_dot4c_i32_i8_e32 v11, v7, v22
	;; [unrolled: 1-line block ×3, first 2 shown]
	s_waitcnt vmcnt(2)
	v_lshrrev_b16_e32 v7, 8, v19
	v_bfe_i32 v46, v46, 0, 8
	v_bfe_i32 v21, v19, 0, 8
	v_mul_i32_i24_sdwa v22, sext(v19), sext(v24) dst_sel:DWORD dst_unused:UNUSED_PAD src0_sel:BYTE_2 src1_sel:BYTE_2
	v_mul_i32_i24_sdwa v23, sext(v19), sext(v24) dst_sel:DWORD dst_unused:UNUSED_PAD src0_sel:BYTE_3 src1_sel:BYTE_3
	s_waitcnt vmcnt(1)
	v_lshrrev_b16_e32 v24, 8, v44
	v_mad_i32_i24 v37, v47, v37, v48
	v_bfe_i32 v7, v7, 0, 8
	v_mad_i32_i24 v20, v46, v36, v20
	v_bfe_i32 v49, v44, 0, 8
	v_mul_i32_i24_sdwa v50, sext(v44), sext(v28) dst_sel:DWORD dst_unused:UNUSED_PAD src0_sel:BYTE_2 src1_sel:BYTE_2
	v_mul_i32_i24_sdwa v28, sext(v44), sext(v28) dst_sel:DWORD dst_unused:UNUSED_PAD src0_sel:BYTE_3 src1_sel:BYTE_3
	s_waitcnt vmcnt(0)
	v_lshrrev_b16_e32 v51, 8, v45
	v_mad_i32_i24 v21, v21, v39, v22
	v_dot4c_i32_i8_e32 v12, v19, v25
	v_dot4c_i32_i8_e32 v11, v19, v26
	;; [unrolled: 1-line block ×3, first 2 shown]
	v_bfe_i32 v19, v24, 0, 8
	v_mad_i32_i24 v7, v7, v38, v23
	v_add3_u32 v13, v37, v20, v13
	v_bfe_i32 v52, v45, 0, 8
	v_mul_i32_i24_sdwa v53, sext(v45), sext(v32) dst_sel:DWORD dst_unused:UNUSED_PAD src0_sel:BYTE_2 src1_sel:BYTE_2
	v_mul_i32_i24_sdwa v32, sext(v45), sext(v32) dst_sel:DWORD dst_unused:UNUSED_PAD src0_sel:BYTE_3 src1_sel:BYTE_3
	v_mad_i32_i24 v22, v49, v41, v50
	v_bfe_i32 v24, v51, 0, 8
	v_mad_i32_i24 v19, v19, v40, v28
	v_add3_u32 v7, v21, v7, v13
	v_mad_i32_i24 v25, v52, v43, v53
	v_dot4c_i32_i8_e32 v12, v44, v29
	v_dot4c_i32_i8_e32 v11, v44, v30
	;; [unrolled: 1-line block ×3, first 2 shown]
	v_mad_i32_i24 v23, v24, v42, v32
	v_add3_u32 v7, v22, v19, v7
	v_dot4c_i32_i8_e32 v12, v45, v33
	v_dot4c_i32_i8_e32 v11, v45, v34
	;; [unrolled: 1-line block ×3, first 2 shown]
	v_add3_u32 v13, v25, v23, v7
	s_andn2_b64 exec, exec, s[20:21]
	s_cbranch_execnz .LBB60_21
; %bb.22:
	s_or_b64 exec, exec, s[20:21]
.LBB60_23:
	s_or_b64 exec, exec, s[18:19]
	v_and_b32_e32 v1, 3, v1
	v_cmp_ne_u32_e32 vcc, 0, v1
	s_and_saveexec_b64 s[2:3], vcc
	s_cbranch_execz .LBB60_27
; %bb.24:
	v_lshlrev_b32_e32 v1, 4, v1
	s_mov_b64 s[6:7], 0
	v_mov_b32_e32 v16, s13
	s_waitcnt lgkmcnt(0)
	v_mov_b32_e32 v17, s11
.LBB60_25:                              ; =>This Inner Loop Header: Depth=1
	v_ashrrev_i32_e32 v7, 31, v6
	v_lshlrev_b64 v[18:19], 2, v[6:7]
	v_add_co_u32_e32 v22, vcc, s12, v18
	v_addc_co_u32_e32 v23, vcc, v16, v19, vcc
	global_load_dword v7, v[22:23], off
	global_load_dwordx4 v[18:21], v[8:9], off
	v_add_u32_e32 v1, -16, v1
	v_add_u32_e32 v6, 4, v6
	s_waitcnt vmcnt(1)
	v_subrev_u32_e32 v7, s16, v7
	v_lshlrev_b32_e32 v7, 2, v7
	v_ashrrev_i32_e32 v23, 31, v7
	v_add_co_u32_e32 v22, vcc, s10, v7
	v_addc_co_u32_e32 v23, vcc, v17, v23, vcc
	global_load_dword v7, v[22:23], off
	v_add_co_u32_e32 v8, vcc, 64, v8
	s_waitcnt vmcnt(1)
	v_lshrrev_b16_e32 v22, 8, v18
	v_addc_co_u32_e32 v9, vcc, 0, v9, vcc
	v_bfe_i32 v23, v18, 0, 8
	v_bfe_i32 v22, v22, 0, 8
	v_cmp_eq_u32_e32 vcc, 0, v1
	s_or_b64 s[6:7], vcc, s[6:7]
	s_waitcnt vmcnt(0)
	v_lshrrev_b16_e32 v24, 8, v7
	v_bfe_i32 v25, v7, 0, 8
	v_mul_i32_i24_sdwa v26, sext(v7), sext(v18) dst_sel:DWORD dst_unused:UNUSED_PAD src0_sel:BYTE_2 src1_sel:BYTE_2
	v_mul_i32_i24_sdwa v18, sext(v7), sext(v18) dst_sel:DWORD dst_unused:UNUSED_PAD src0_sel:BYTE_3 src1_sel:BYTE_3
	v_dot4c_i32_i8_e32 v12, v7, v19
	v_dot4c_i32_i8_e32 v11, v7, v20
	;; [unrolled: 1-line block ×3, first 2 shown]
	v_bfe_i32 v7, v24, 0, 8
	v_mad_i32_i24 v19, v25, v23, v26
	v_mad_i32_i24 v7, v7, v22, v18
	v_add3_u32 v13, v19, v7, v13
	s_andn2_b64 exec, exec, s[6:7]
	s_cbranch_execnz .LBB60_25
; %bb.26:
	s_or_b64 exec, exec, s[6:7]
.LBB60_27:
	s_or_b64 exec, exec, s[2:3]
.LBB60_28:
	s_or_b64 exec, exec, s[14:15]
	s_cbranch_execz .LBB60_30
	s_branch .LBB60_41
.LBB60_29:
                                        ; implicit-def: $vgpr10
                                        ; implicit-def: $vgpr11
                                        ; implicit-def: $vgpr12
                                        ; implicit-def: $vgpr13
.LBB60_30:
	v_mov_b32_e32 v10, 0
	v_mov_b32_e32 v11, 0
	;; [unrolled: 1-line block ×4, first 2 shown]
	s_and_saveexec_b64 s[8:9], s[0:1]
	s_cbranch_execz .LBB60_40
; %bb.31:
	v_add_u32_e32 v1, v14, v5
	v_subrev_u32_e32 v1, s16, v1
	v_add_u32_e32 v1, 4, v1
	v_max_i32_e32 v1, v1, v15
	v_not_b32_e32 v6, v14
	v_add3_u32 v1, v1, s16, v6
	v_sub_u32_e32 v1, v1, v5
	v_lshrrev_b32_e32 v6, 2, v1
	v_add_u32_e32 v6, 1, v6
	v_cmp_lt_u32_e32 vcc, 11, v1
	v_mov_b32_e32 v13, 0
	v_mov_b32_e32 v12, 0
	;; [unrolled: 1-line block ×4, first 2 shown]
	s_and_saveexec_b64 s[14:15], vcc
	s_cbranch_execz .LBB60_35
; %bb.32:
	v_and_b32_e32 v7, 0x7ffffffc, v6
	s_mov_b64 s[18:19], 0
	v_mov_b32_e32 v10, 0
	v_mov_b32_e32 v8, s13
	s_waitcnt lgkmcnt(0)
	v_mov_b32_e32 v9, s11
	s_mov_b32 s20, 0xc0c0400
	s_mov_b32 s21, 0x4000c0c
	;; [unrolled: 1-line block ×8, first 2 shown]
	v_mov_b32_e32 v11, 0
	v_mov_b32_e32 v12, 0
	;; [unrolled: 1-line block ×3, first 2 shown]
.LBB60_33:                              ; =>This Inner Loop Header: Depth=1
	v_ashrrev_i32_e32 v1, 31, v0
	v_lshlrev_b64 v[14:15], 2, v[0:1]
	v_add_co_u32_e32 v30, vcc, s12, v14
	v_addc_co_u32_e32 v31, vcc, v8, v15, vcc
	global_load_dword v1, v[30:31], off
	global_load_dword v32, v[30:31], off offset:16
	global_load_dword v33, v[30:31], off offset:32
	;; [unrolled: 1-line block ×3, first 2 shown]
	global_load_dwordx4 v[14:17], v[2:3], off
	global_load_dwordx4 v[18:21], v[2:3], off offset:64
	global_load_dwordx4 v[22:25], v[2:3], off offset:128
	;; [unrolled: 1-line block ×3, first 2 shown]
	v_add_u32_e32 v7, -4, v7
	v_add_u32_e32 v0, 16, v0
	s_waitcnt vmcnt(7)
	v_subrev_u32_e32 v1, s16, v1
	s_waitcnt vmcnt(6)
	v_subrev_u32_e32 v30, s16, v32
	;; [unrolled: 2-line block ×4, first 2 shown]
	v_lshlrev_b32_e32 v1, 2, v1
	v_lshlrev_b32_e32 v30, 2, v30
	;; [unrolled: 1-line block ×4, first 2 shown]
	v_ashrrev_i32_e32 v35, 31, v1
	v_add_co_u32_e64 v36, s[6:7], s10, v1
	v_ashrrev_i32_e32 v38, 31, v30
	v_add_co_u32_e32 v30, vcc, s10, v30
	v_ashrrev_i32_e32 v39, 31, v31
	v_add_co_u32_e64 v32, s[0:1], s10, v31
	v_ashrrev_i32_e32 v40, 31, v33
	v_add_co_u32_e64 v34, s[2:3], s10, v33
	v_addc_co_u32_e64 v37, s[6:7], v9, v35, s[6:7]
	v_addc_co_u32_e32 v31, vcc, v9, v38, vcc
	v_addc_co_u32_e64 v33, vcc, v9, v39, s[0:1]
	v_addc_co_u32_e64 v35, vcc, v9, v40, s[2:3]
	global_load_dword v1, v[36:37], off
	global_load_dword v38, v[30:31], off
	;; [unrolled: 1-line block ×4, first 2 shown]
	s_waitcnt vmcnt(7)
	v_perm_b32 v30, v15, v14, s20
	v_perm_b32 v31, v17, v16, s21
	v_perm_b32 v32, v15, v14, s23
	v_perm_b32 v33, v17, v16, s24
	v_perm_b32 v34, v15, v14, s25
	v_perm_b32 v35, v17, v16, s26
	v_perm_b32 v14, v15, v14, s27
	v_perm_b32 v15, v17, v16, s28
	s_waitcnt vmcnt(6)
	v_perm_b32 v16, v19, v18, s20
	v_perm_b32 v17, v21, v20, s21
	v_perm_b32 v36, v19, v18, s23
	v_perm_b32 v37, v21, v20, s24
	v_perm_b32 v41, v19, v18, s25
	v_perm_b32 v42, v21, v20, s26
	v_perm_b32 v18, v19, v18, s27
	v_perm_b32 v19, v21, v20, s28
	;; [unrolled: 9-line block ×4, first 2 shown]
	v_or_b32_e32 v28, v31, v30
	v_or_b32_e32 v29, v33, v32
	;; [unrolled: 1-line block ×4, first 2 shown]
	v_add_co_u32_e32 v2, vcc, 0x100, v2
	v_or_b32_e32 v15, v17, v16
	v_or_b32_e32 v16, v37, v36
	;; [unrolled: 1-line block ×4, first 2 shown]
	v_addc_co_u32_e32 v3, vcc, 0, v3, vcc
	v_or_b32_e32 v19, v21, v20
	v_or_b32_e32 v20, v44, v43
	;; [unrolled: 1-line block ×4, first 2 shown]
	v_cmp_eq_u32_e32 vcc, 0, v7
	v_or_b32_e32 v23, v25, v24
	v_or_b32_e32 v24, v48, v47
	;; [unrolled: 1-line block ×4, first 2 shown]
	s_or_b64 s[18:19], vcc, s[18:19]
	s_waitcnt vmcnt(3)
	v_dot4c_i32_i8_e32 v13, v1, v28
	v_dot4c_i32_i8_e32 v12, v29, v1
	v_dot4c_i32_i8_e32 v11, v30, v1
	v_dot4c_i32_i8_e32 v10, v14, v1
	s_waitcnt vmcnt(2)
	v_dot4c_i32_i8_e32 v13, v38, v15
	v_dot4c_i32_i8_e32 v12, v16, v38
	v_dot4c_i32_i8_e32 v11, v17, v38
	v_dot4c_i32_i8_e32 v10, v18, v38
	;; [unrolled: 5-line block ×4, first 2 shown]
	s_andn2_b64 exec, exec, s[18:19]
	s_cbranch_execnz .LBB60_33
; %bb.34:
	s_or_b64 exec, exec, s[18:19]
.LBB60_35:
	s_or_b64 exec, exec, s[14:15]
	v_and_b32_e32 v1, 3, v6
	v_cmp_ne_u32_e32 vcc, 0, v1
	s_and_saveexec_b64 s[0:1], vcc
	s_cbranch_execz .LBB60_39
; %bb.36:
	v_lshlrev_b32_e32 v6, 4, v1
	s_mov_b64 s[2:3], 0
	v_mov_b32_e32 v7, s13
	s_waitcnt lgkmcnt(0)
	v_mov_b32_e32 v8, s11
	s_mov_b32 s6, 0xc0c0400
	s_mov_b32 s7, 0x4000c0c
	;; [unrolled: 1-line block ×8, first 2 shown]
.LBB60_37:                              ; =>This Inner Loop Header: Depth=1
	v_ashrrev_i32_e32 v1, 31, v0
	v_lshlrev_b64 v[14:15], 2, v[0:1]
	v_add_co_u32_e32 v18, vcc, s12, v14
	v_addc_co_u32_e32 v19, vcc, v7, v15, vcc
	global_load_dword v1, v[18:19], off
	global_load_dwordx4 v[14:17], v[2:3], off
	v_add_u32_e32 v6, -16, v6
	v_add_u32_e32 v0, 4, v0
	s_waitcnt vmcnt(1)
	v_subrev_u32_e32 v1, s16, v1
	v_lshlrev_b32_e32 v1, 2, v1
	v_ashrrev_i32_e32 v9, 31, v1
	v_add_co_u32_e32 v18, vcc, s10, v1
	v_addc_co_u32_e32 v19, vcc, v8, v9, vcc
	global_load_dword v1, v[18:19], off
	v_add_co_u32_e32 v2, vcc, 64, v2
	v_addc_co_u32_e32 v3, vcc, 0, v3, vcc
	s_waitcnt vmcnt(1)
	v_perm_b32 v9, v15, v14, s6
	v_perm_b32 v18, v17, v16, s7
	;; [unrolled: 1-line block ×8, first 2 shown]
	v_cmp_eq_u32_e32 vcc, 0, v6
	v_or_b32_e32 v9, v18, v9
	v_or_b32_e32 v16, v20, v19
	;; [unrolled: 1-line block ×4, first 2 shown]
	s_or_b64 s[2:3], vcc, s[2:3]
	s_waitcnt vmcnt(0)
	v_dot4c_i32_i8_e32 v13, v1, v9
	v_dot4c_i32_i8_e32 v12, v16, v1
	;; [unrolled: 1-line block ×4, first 2 shown]
	s_andn2_b64 exec, exec, s[2:3]
	s_cbranch_execnz .LBB60_37
; %bb.38:
	s_or_b64 exec, exec, s[2:3]
.LBB60_39:
	s_or_b64 exec, exec, s[0:1]
.LBB60_40:
	s_or_b64 exec, exec, s[8:9]
.LBB60_41:
	v_mov_b32_dpp v0, v13 row_shr:1 row_mask:0xf bank_mask:0xf
	v_mov_b32_dpp v2, v12 row_shr:1 row_mask:0xf bank_mask:0xf
	v_mov_b32_dpp v6, v11 row_shr:1 row_mask:0xf bank_mask:0xf
	v_mov_b32_dpp v8, v10 row_shr:1 row_mask:0xf bank_mask:0xf
	v_add_u32_e32 v0, v0, v13
	v_add_u32_e32 v2, v2, v12
	;; [unrolled: 1-line block ×4, first 2 shown]
	v_mov_b32_dpp v1, v0 row_shr:2 row_mask:0xf bank_mask:0xf
	v_mov_b32_dpp v3, v2 row_shr:2 row_mask:0xf bank_mask:0xf
	;; [unrolled: 1-line block ×4, first 2 shown]
	v_cmp_eq_u32_e32 vcc, 3, v5
	s_and_b64 exec, exec, vcc
	s_cbranch_execz .LBB60_14
; %bb.42:
	s_load_dwordx2 s[0:1], s[4:5], 0x50
	v_add_u32_e32 v0, v0, v1
	v_add_u32_e32 v1, v2, v3
	;; [unrolled: 1-line block ×4, first 2 shown]
	s_cmp_eq_u32 s22, 0
	v_mul_lo_u32 v0, v0, s17
	v_mul_lo_u32 v8, v1, s17
	;; [unrolled: 1-line block ×4, first 2 shown]
	v_lshlrev_b32_e32 v4, 2, v4
	s_cbranch_scc1 .LBB60_44
; %bb.43:
	v_ashrrev_i32_e32 v5, 31, v4
	v_lshlrev_b64 v[10:11], 2, v[4:5]
	s_waitcnt lgkmcnt(0)
	v_mov_b32_e32 v1, s1
	v_add_co_u32_e32 v18, vcc, s0, v10
	v_addc_co_u32_e32 v19, vcc, v1, v11, vcc
	global_load_dwordx4 v[10:13], v[18:19], off
	s_waitcnt vmcnt(0)
	v_mad_u64_u32 v[14:15], s[2:3], v10, s22, v[0:1]
	v_mad_u64_u32 v[10:11], s[2:3], v11, s22, v[8:9]
	;; [unrolled: 1-line block ×4, first 2 shown]
	v_mov_b32_e32 v15, v10
	v_mov_b32_e32 v17, v12
	global_store_dwordx4 v[18:19], v[14:17], off
	s_cbranch_execnz .LBB60_14
	s_branch .LBB60_45
.LBB60_44:
.LBB60_45:
	v_ashrrev_i32_e32 v5, 31, v4
	v_lshlrev_b64 v[4:5], 2, v[4:5]
	s_waitcnt lgkmcnt(0)
	v_mov_b32_e32 v1, s1
	v_add_co_u32_e32 v4, vcc, s0, v4
	v_addc_co_u32_e32 v5, vcc, v1, v5, vcc
	v_mov_b32_e32 v1, v8
	v_mov_b32_e32 v3, v6
	global_store_dwordx4 v[4:5], v[0:3], off
	s_endpgm
	.section	.rodata,"a",@progbits
	.p2align	6, 0x0
	.amdhsa_kernel _ZN9rocsparseL18bsrxmvn_4x4_kernelILj128ELj4EiiiaaiEEvT3_20rocsparse_direction_NS_24const_host_device_scalarIT1_EES1_PKS1_PKT2_SA_S7_PKT4_PKT5_S5_PT6_21rocsparse_index_base_b
		.amdhsa_group_segment_fixed_size 0
		.amdhsa_private_segment_fixed_size 0
		.amdhsa_kernarg_size 96
		.amdhsa_user_sgpr_count 6
		.amdhsa_user_sgpr_private_segment_buffer 1
		.amdhsa_user_sgpr_dispatch_ptr 0
		.amdhsa_user_sgpr_queue_ptr 0
		.amdhsa_user_sgpr_kernarg_segment_ptr 1
		.amdhsa_user_sgpr_dispatch_id 0
		.amdhsa_user_sgpr_flat_scratch_init 0
		.amdhsa_user_sgpr_kernarg_preload_length 0
		.amdhsa_user_sgpr_kernarg_preload_offset 0
		.amdhsa_user_sgpr_private_segment_size 0
		.amdhsa_uses_dynamic_stack 0
		.amdhsa_system_sgpr_private_segment_wavefront_offset 0
		.amdhsa_system_sgpr_workgroup_id_x 1
		.amdhsa_system_sgpr_workgroup_id_y 0
		.amdhsa_system_sgpr_workgroup_id_z 0
		.amdhsa_system_sgpr_workgroup_info 0
		.amdhsa_system_vgpr_workitem_id 0
		.amdhsa_next_free_vgpr 54
		.amdhsa_next_free_sgpr 29
		.amdhsa_accum_offset 56
		.amdhsa_reserve_vcc 1
		.amdhsa_reserve_flat_scratch 0
		.amdhsa_float_round_mode_32 0
		.amdhsa_float_round_mode_16_64 0
		.amdhsa_float_denorm_mode_32 3
		.amdhsa_float_denorm_mode_16_64 3
		.amdhsa_dx10_clamp 1
		.amdhsa_ieee_mode 1
		.amdhsa_fp16_overflow 0
		.amdhsa_tg_split 0
		.amdhsa_exception_fp_ieee_invalid_op 0
		.amdhsa_exception_fp_denorm_src 0
		.amdhsa_exception_fp_ieee_div_zero 0
		.amdhsa_exception_fp_ieee_overflow 0
		.amdhsa_exception_fp_ieee_underflow 0
		.amdhsa_exception_fp_ieee_inexact 0
		.amdhsa_exception_int_div_zero 0
	.end_amdhsa_kernel
	.section	.text._ZN9rocsparseL18bsrxmvn_4x4_kernelILj128ELj4EiiiaaiEEvT3_20rocsparse_direction_NS_24const_host_device_scalarIT1_EES1_PKS1_PKT2_SA_S7_PKT4_PKT5_S5_PT6_21rocsparse_index_base_b,"axG",@progbits,_ZN9rocsparseL18bsrxmvn_4x4_kernelILj128ELj4EiiiaaiEEvT3_20rocsparse_direction_NS_24const_host_device_scalarIT1_EES1_PKS1_PKT2_SA_S7_PKT4_PKT5_S5_PT6_21rocsparse_index_base_b,comdat
.Lfunc_end60:
	.size	_ZN9rocsparseL18bsrxmvn_4x4_kernelILj128ELj4EiiiaaiEEvT3_20rocsparse_direction_NS_24const_host_device_scalarIT1_EES1_PKS1_PKT2_SA_S7_PKT4_PKT5_S5_PT6_21rocsparse_index_base_b, .Lfunc_end60-_ZN9rocsparseL18bsrxmvn_4x4_kernelILj128ELj4EiiiaaiEEvT3_20rocsparse_direction_NS_24const_host_device_scalarIT1_EES1_PKS1_PKT2_SA_S7_PKT4_PKT5_S5_PT6_21rocsparse_index_base_b
                                        ; -- End function
	.section	.AMDGPU.csdata,"",@progbits
; Kernel info:
; codeLenInByte = 3096
; NumSgprs: 33
; NumVgprs: 54
; NumAgprs: 0
; TotalNumVgprs: 54
; ScratchSize: 0
; MemoryBound: 0
; FloatMode: 240
; IeeeMode: 1
; LDSByteSize: 0 bytes/workgroup (compile time only)
; SGPRBlocks: 4
; VGPRBlocks: 6
; NumSGPRsForWavesPerEU: 33
; NumVGPRsForWavesPerEU: 54
; AccumOffset: 56
; Occupancy: 8
; WaveLimiterHint : 1
; COMPUTE_PGM_RSRC2:SCRATCH_EN: 0
; COMPUTE_PGM_RSRC2:USER_SGPR: 6
; COMPUTE_PGM_RSRC2:TRAP_HANDLER: 0
; COMPUTE_PGM_RSRC2:TGID_X_EN: 1
; COMPUTE_PGM_RSRC2:TGID_Y_EN: 0
; COMPUTE_PGM_RSRC2:TGID_Z_EN: 0
; COMPUTE_PGM_RSRC2:TIDIG_COMP_CNT: 0
; COMPUTE_PGM_RSRC3_GFX90A:ACCUM_OFFSET: 13
; COMPUTE_PGM_RSRC3_GFX90A:TG_SPLIT: 0
	.section	.text._ZN9rocsparseL18bsrxmvn_4x4_kernelILj128ELj8EiiiaaiEEvT3_20rocsparse_direction_NS_24const_host_device_scalarIT1_EES1_PKS1_PKT2_SA_S7_PKT4_PKT5_S5_PT6_21rocsparse_index_base_b,"axG",@progbits,_ZN9rocsparseL18bsrxmvn_4x4_kernelILj128ELj8EiiiaaiEEvT3_20rocsparse_direction_NS_24const_host_device_scalarIT1_EES1_PKS1_PKT2_SA_S7_PKT4_PKT5_S5_PT6_21rocsparse_index_base_b,comdat
	.globl	_ZN9rocsparseL18bsrxmvn_4x4_kernelILj128ELj8EiiiaaiEEvT3_20rocsparse_direction_NS_24const_host_device_scalarIT1_EES1_PKS1_PKT2_SA_S7_PKT4_PKT5_S5_PT6_21rocsparse_index_base_b ; -- Begin function _ZN9rocsparseL18bsrxmvn_4x4_kernelILj128ELj8EiiiaaiEEvT3_20rocsparse_direction_NS_24const_host_device_scalarIT1_EES1_PKS1_PKT2_SA_S7_PKT4_PKT5_S5_PT6_21rocsparse_index_base_b
	.p2align	8
	.type	_ZN9rocsparseL18bsrxmvn_4x4_kernelILj128ELj8EiiiaaiEEvT3_20rocsparse_direction_NS_24const_host_device_scalarIT1_EES1_PKS1_PKT2_SA_S7_PKT4_PKT5_S5_PT6_21rocsparse_index_base_b,@function
_ZN9rocsparseL18bsrxmvn_4x4_kernelILj128ELj8EiiiaaiEEvT3_20rocsparse_direction_NS_24const_host_device_scalarIT1_EES1_PKS1_PKT2_SA_S7_PKT4_PKT5_S5_PT6_21rocsparse_index_base_b: ; @_ZN9rocsparseL18bsrxmvn_4x4_kernelILj128ELj8EiiiaaiEEvT3_20rocsparse_direction_NS_24const_host_device_scalarIT1_EES1_PKS1_PKT2_SA_S7_PKT4_PKT5_S5_PT6_21rocsparse_index_base_b
; %bb.0:
	s_load_dwordx2 s[16:17], s[4:5], 0x58
	s_load_dwordx2 s[8:9], s[4:5], 0x8
	s_mov_b64 s[10:11], -1
	s_waitcnt lgkmcnt(0)
	s_bitcmp1_b32 s17, 0
	s_cselect_b64 s[0:1], -1, 0
	s_xor_b64 s[2:3], s[0:1], -1
	s_and_b64 vcc, exec, s[2:3]
                                        ; implicit-def: $sgpr17
	s_cbranch_vccnz .LBB61_4
; %bb.1:
	s_load_dwordx2 s[0:1], s[4:5], 0x48
	s_andn2_b64 vcc, exec, s[10:11]
	s_cbranch_vccz .LBB61_5
.LBB61_2:
	s_and_b64 vcc, exec, s[2:3]
	s_cbranch_vccz .LBB61_6
.LBB61_3:
	s_waitcnt lgkmcnt(0)
	s_load_dword s22, s[0:1], 0x0
	s_cbranch_execz .LBB61_7
	s_branch .LBB61_8
.LBB61_4:
	s_load_dword s17, s[8:9], 0x0
	s_load_dwordx2 s[0:1], s[4:5], 0x48
	s_cbranch_execnz .LBB61_2
.LBB61_5:
	s_waitcnt lgkmcnt(0)
	s_mov_b32 s17, s8
	s_and_b64 vcc, exec, s[2:3]
	s_cbranch_vccnz .LBB61_3
.LBB61_6:
                                        ; implicit-def: $sgpr22
.LBB61_7:
	s_waitcnt lgkmcnt(0)
	s_mov_b32 s22, s0
.LBB61_8:
	s_waitcnt lgkmcnt(0)
	s_cmp_lg_u32 s17, 0
	s_cselect_b64 s[0:1], -1, 0
	s_cmp_lg_u32 s22, 1
	s_cselect_b64 s[2:3], -1, 0
	s_or_b64 s[0:1], s[0:1], s[2:3]
	s_andn2_b64 vcc, exec, s[0:1]
	s_cbranch_vccnz .LBB61_14
; %bb.9:
	s_load_dwordx2 s[8:9], s[4:5], 0x18
	s_load_dwordx2 s[0:1], s[4:5], 0x0
	v_lshrrev_b32_e32 v1, 3, v0
	v_lshl_or_b32 v4, s6, 4, v1
	s_mov_b64 s[2:3], 0
	s_waitcnt lgkmcnt(0)
	s_cmp_lg_u64 s[8:9], 0
	s_cbranch_scc0 .LBB61_15
; %bb.10:
	s_load_dword s6, s[4:5], 0x10
                                        ; implicit-def: $vgpr1
	s_waitcnt lgkmcnt(0)
	v_cmp_gt_i32_e32 vcc, s6, v4
	s_and_saveexec_b64 s[6:7], vcc
	s_xor_b64 s[6:7], exec, s[6:7]
	s_cbranch_execz .LBB61_12
; %bb.11:
	v_ashrrev_i32_e32 v5, 31, v4
	v_lshlrev_b64 v[2:3], 2, v[4:5]
	v_mov_b32_e32 v1, s9
	v_add_co_u32_e32 v2, vcc, s8, v2
	v_addc_co_u32_e32 v3, vcc, v1, v3, vcc
	global_load_dword v1, v[2:3], off
	s_mov_b64 s[2:3], exec
	s_waitcnt vmcnt(0)
	v_subrev_u32_e32 v1, s16, v1
.LBB61_12:
	s_or_b64 exec, exec, s[6:7]
	s_branch .LBB61_16
.LBB61_13:
	v_cmp_gt_i32_e32 vcc, s0, v4
	s_andn2_b64 s[2:3], s[2:3], exec
	s_and_b64 s[6:7], vcc, exec
	s_or_b64 s[2:3], s[2:3], s[6:7]
	s_and_saveexec_b64 s[6:7], s[2:3]
	s_cbranch_execnz .LBB61_17
.LBB61_14:
	s_endpgm
.LBB61_15:
                                        ; implicit-def: $vgpr1
	s_cbranch_execnz .LBB61_13
.LBB61_16:
	v_mov_b32_e32 v4, v1
	s_and_saveexec_b64 s[6:7], s[2:3]
	s_cbranch_execz .LBB61_14
.LBB61_17:
	s_load_dwordx8 s[8:15], s[4:5], 0x20
	v_ashrrev_i32_e32 v5, 31, v4
	v_lshlrev_b64 v[2:3], 2, v[4:5]
	s_waitcnt lgkmcnt(0)
	v_mov_b32_e32 v1, s9
	v_add_co_u32_e32 v6, vcc, s8, v2
	v_addc_co_u32_e32 v7, vcc, v1, v3, vcc
	v_add_co_u32_e32 v1, vcc, 4, v6
	v_addc_co_u32_e32 v5, vcc, 0, v7, vcc
	global_load_dword v14, v[6:7], off
	v_mov_b32_e32 v6, s11
	v_add_co_u32_e32 v2, vcc, s10, v2
	s_cmp_eq_u64 s[10:11], 0
	v_addc_co_u32_e32 v3, vcc, v6, v3, vcc
	s_cselect_b64 vcc, -1, 0
	v_cndmask_b32_e32 v3, v3, v5, vcc
	v_cndmask_b32_e32 v2, v2, v1, vcc
	global_load_dword v1, v[2:3], off
	v_and_b32_e32 v5, 7, v0
	s_load_dwordx2 s[10:11], s[4:5], 0x40
	v_mov_b32_e32 v6, s15
	s_cmp_eq_u32 s1, 1
	s_waitcnt vmcnt(1)
	v_subrev_u32_e32 v0, s16, v14
	v_add_u32_e32 v0, v0, v5
	s_waitcnt vmcnt(0)
	v_subrev_u32_e32 v15, s16, v1
	v_ashrrev_i32_e32 v1, 31, v0
	v_lshlrev_b64 v[2:3], 4, v[0:1]
	v_add_co_u32_e32 v2, vcc, s14, v2
	v_addc_co_u32_e32 v3, vcc, v6, v3, vcc
	v_cmp_lt_i32_e64 s[0:1], v0, v15
	s_cbranch_scc1 .LBB61_29
; %bb.18:
	v_mov_b32_e32 v10, 0
	v_mov_b32_e32 v11, 0
	;; [unrolled: 1-line block ×4, first 2 shown]
	s_and_saveexec_b64 s[14:15], s[0:1]
	s_cbranch_execz .LBB61_28
; %bb.19:
	v_add_u32_e32 v1, v14, v5
	v_subrev_u32_e32 v1, s16, v1
	v_add_u32_e32 v1, 8, v1
	v_max_i32_e32 v1, v1, v15
	v_not_b32_e32 v6, v14
	v_add3_u32 v1, v1, s16, v6
	v_sub_u32_e32 v6, v1, v5
	v_lshrrev_b32_e32 v1, 3, v6
	v_add_u32_e32 v1, 1, v1
	v_cmp_lt_u32_e32 vcc, 23, v6
	v_mov_b32_e32 v13, 0
	v_mov_b32_e32 v12, 0
	;; [unrolled: 1-line block ×5, first 2 shown]
	v_pk_mov_b32 v[8:9], v[2:3], v[2:3] op_sel:[0,1]
	s_and_saveexec_b64 s[18:19], vcc
	s_cbranch_execz .LBB61_23
; %bb.20:
	v_and_b32_e32 v16, 0x3ffffffc, v1
	s_mov_b64 s[20:21], 0
	v_mov_b32_e32 v10, 0
	v_mov_b32_e32 v17, s13
	s_waitcnt lgkmcnt(0)
	v_mov_b32_e32 v18, s11
	v_pk_mov_b32 v[8:9], v[2:3], v[2:3] op_sel:[0,1]
	v_mov_b32_e32 v6, v0
	v_mov_b32_e32 v11, 0
	;; [unrolled: 1-line block ×4, first 2 shown]
.LBB61_21:                              ; =>This Inner Loop Header: Depth=1
	v_ashrrev_i32_e32 v7, 31, v6
	v_lshlrev_b64 v[20:21], 2, v[6:7]
	v_add_co_u32_e32 v36, vcc, s12, v20
	v_addc_co_u32_e32 v37, vcc, v17, v21, vcc
	global_load_dword v7, v[36:37], off
	global_load_dword v19, v[36:37], off offset:32
	global_load_dword v38, v[36:37], off offset:64
	;; [unrolled: 1-line block ×3, first 2 shown]
	global_load_dwordx4 v[20:23], v[8:9], off
	global_load_dwordx4 v[24:27], v[8:9], off offset:128
	global_load_dwordx4 v[28:31], v[8:9], off offset:256
	;; [unrolled: 1-line block ×3, first 2 shown]
	v_add_u32_e32 v16, -4, v16
	v_add_u32_e32 v6, 32, v6
	s_waitcnt vmcnt(7)
	v_subrev_u32_e32 v7, s16, v7
	s_waitcnt vmcnt(6)
	v_subrev_u32_e32 v19, s16, v19
	;; [unrolled: 2-line block ×4, first 2 shown]
	v_lshlrev_b32_e32 v7, 2, v7
	v_lshlrev_b32_e32 v19, 2, v19
	;; [unrolled: 1-line block ×4, first 2 shown]
	v_ashrrev_i32_e32 v39, 31, v7
	v_add_co_u32_e64 v42, s[8:9], s10, v7
	v_ashrrev_i32_e32 v41, 31, v19
	v_add_co_u32_e32 v36, vcc, s10, v19
	v_ashrrev_i32_e32 v19, 31, v38
	v_add_co_u32_e64 v38, s[2:3], s10, v38
	v_ashrrev_i32_e32 v44, 31, v37
	v_add_co_u32_e64 v40, s[6:7], s10, v37
	v_addc_co_u32_e64 v43, s[8:9], v18, v39, s[8:9]
	v_addc_co_u32_e32 v37, vcc, v18, v41, vcc
	v_addc_co_u32_e64 v39, vcc, v18, v19, s[2:3]
	v_addc_co_u32_e64 v41, vcc, v18, v44, s[6:7]
	global_load_dword v7, v[42:43], off
	global_load_dword v19, v[36:37], off
	;; [unrolled: 1-line block ×4, first 2 shown]
	s_waitcnt vmcnt(7)
	v_lshrrev_b16_e32 v36, 8, v20
	v_bfe_i32 v37, v20, 0, 8
	s_waitcnt vmcnt(6)
	v_lshrrev_b16_e32 v38, 8, v24
	v_bfe_i32 v36, v36, 0, 8
	v_bfe_i32 v39, v24, 0, 8
	s_waitcnt vmcnt(5)
	v_lshrrev_b16_e32 v40, 8, v28
	v_bfe_i32 v38, v38, 0, 8
	v_add_co_u32_e32 v8, vcc, 0x200, v8
	v_bfe_i32 v41, v28, 0, 8
	s_waitcnt vmcnt(4)
	v_lshrrev_b16_e32 v42, 8, v32
	v_bfe_i32 v40, v40, 0, 8
	v_addc_co_u32_e32 v9, vcc, 0, v9, vcc
	v_bfe_i32 v43, v32, 0, 8
	v_bfe_i32 v42, v42, 0, 8
	v_cmp_eq_u32_e32 vcc, 0, v16
	s_or_b64 s[20:21], vcc, s[20:21]
	s_waitcnt vmcnt(3)
	v_lshrrev_b16_e32 v46, 8, v7
	v_bfe_i32 v47, v7, 0, 8
	v_mul_i32_i24_sdwa v48, sext(v7), sext(v20) dst_sel:DWORD dst_unused:UNUSED_PAD src0_sel:BYTE_2 src1_sel:BYTE_2
	v_mul_i32_i24_sdwa v20, sext(v7), sext(v20) dst_sel:DWORD dst_unused:UNUSED_PAD src0_sel:BYTE_3 src1_sel:BYTE_3
	v_dot4c_i32_i8_e32 v12, v7, v21
	v_dot4c_i32_i8_e32 v11, v7, v22
	;; [unrolled: 1-line block ×3, first 2 shown]
	s_waitcnt vmcnt(2)
	v_lshrrev_b16_e32 v7, 8, v19
	v_bfe_i32 v46, v46, 0, 8
	v_bfe_i32 v21, v19, 0, 8
	v_mul_i32_i24_sdwa v22, sext(v19), sext(v24) dst_sel:DWORD dst_unused:UNUSED_PAD src0_sel:BYTE_2 src1_sel:BYTE_2
	v_mul_i32_i24_sdwa v23, sext(v19), sext(v24) dst_sel:DWORD dst_unused:UNUSED_PAD src0_sel:BYTE_3 src1_sel:BYTE_3
	s_waitcnt vmcnt(1)
	v_lshrrev_b16_e32 v24, 8, v44
	v_mad_i32_i24 v37, v47, v37, v48
	v_bfe_i32 v7, v7, 0, 8
	v_mad_i32_i24 v20, v46, v36, v20
	v_bfe_i32 v49, v44, 0, 8
	v_mul_i32_i24_sdwa v50, sext(v44), sext(v28) dst_sel:DWORD dst_unused:UNUSED_PAD src0_sel:BYTE_2 src1_sel:BYTE_2
	v_mul_i32_i24_sdwa v28, sext(v44), sext(v28) dst_sel:DWORD dst_unused:UNUSED_PAD src0_sel:BYTE_3 src1_sel:BYTE_3
	s_waitcnt vmcnt(0)
	v_lshrrev_b16_e32 v51, 8, v45
	v_mad_i32_i24 v21, v21, v39, v22
	v_dot4c_i32_i8_e32 v12, v19, v25
	v_dot4c_i32_i8_e32 v11, v19, v26
	;; [unrolled: 1-line block ×3, first 2 shown]
	v_bfe_i32 v19, v24, 0, 8
	v_mad_i32_i24 v7, v7, v38, v23
	v_add3_u32 v13, v37, v20, v13
	v_bfe_i32 v52, v45, 0, 8
	v_mul_i32_i24_sdwa v53, sext(v45), sext(v32) dst_sel:DWORD dst_unused:UNUSED_PAD src0_sel:BYTE_2 src1_sel:BYTE_2
	v_mul_i32_i24_sdwa v32, sext(v45), sext(v32) dst_sel:DWORD dst_unused:UNUSED_PAD src0_sel:BYTE_3 src1_sel:BYTE_3
	v_mad_i32_i24 v22, v49, v41, v50
	v_bfe_i32 v24, v51, 0, 8
	v_mad_i32_i24 v19, v19, v40, v28
	v_add3_u32 v7, v21, v7, v13
	v_mad_i32_i24 v25, v52, v43, v53
	v_dot4c_i32_i8_e32 v12, v44, v29
	v_dot4c_i32_i8_e32 v11, v44, v30
	;; [unrolled: 1-line block ×3, first 2 shown]
	v_mad_i32_i24 v23, v24, v42, v32
	v_add3_u32 v7, v22, v19, v7
	v_dot4c_i32_i8_e32 v12, v45, v33
	v_dot4c_i32_i8_e32 v11, v45, v34
	;; [unrolled: 1-line block ×3, first 2 shown]
	v_add3_u32 v13, v25, v23, v7
	s_andn2_b64 exec, exec, s[20:21]
	s_cbranch_execnz .LBB61_21
; %bb.22:
	s_or_b64 exec, exec, s[20:21]
.LBB61_23:
	s_or_b64 exec, exec, s[18:19]
	v_and_b32_e32 v1, 3, v1
	v_cmp_ne_u32_e32 vcc, 0, v1
	s_and_saveexec_b64 s[2:3], vcc
	s_cbranch_execz .LBB61_27
; %bb.24:
	v_lshlrev_b32_e32 v1, 4, v1
	s_mov_b64 s[6:7], 0
	v_mov_b32_e32 v16, s13
	s_waitcnt lgkmcnt(0)
	v_mov_b32_e32 v17, s11
.LBB61_25:                              ; =>This Inner Loop Header: Depth=1
	v_ashrrev_i32_e32 v7, 31, v6
	v_lshlrev_b64 v[18:19], 2, v[6:7]
	v_add_co_u32_e32 v22, vcc, s12, v18
	v_addc_co_u32_e32 v23, vcc, v16, v19, vcc
	global_load_dword v7, v[22:23], off
	global_load_dwordx4 v[18:21], v[8:9], off
	v_add_u32_e32 v1, -16, v1
	v_add_u32_e32 v6, 8, v6
	s_waitcnt vmcnt(1)
	v_subrev_u32_e32 v7, s16, v7
	v_lshlrev_b32_e32 v7, 2, v7
	v_ashrrev_i32_e32 v23, 31, v7
	v_add_co_u32_e32 v22, vcc, s10, v7
	v_addc_co_u32_e32 v23, vcc, v17, v23, vcc
	global_load_dword v7, v[22:23], off
	v_add_co_u32_e32 v8, vcc, 0x80, v8
	s_waitcnt vmcnt(1)
	v_lshrrev_b16_e32 v22, 8, v18
	v_addc_co_u32_e32 v9, vcc, 0, v9, vcc
	v_bfe_i32 v23, v18, 0, 8
	v_bfe_i32 v22, v22, 0, 8
	v_cmp_eq_u32_e32 vcc, 0, v1
	s_or_b64 s[6:7], vcc, s[6:7]
	s_waitcnt vmcnt(0)
	v_lshrrev_b16_e32 v24, 8, v7
	v_bfe_i32 v25, v7, 0, 8
	v_mul_i32_i24_sdwa v26, sext(v7), sext(v18) dst_sel:DWORD dst_unused:UNUSED_PAD src0_sel:BYTE_2 src1_sel:BYTE_2
	v_mul_i32_i24_sdwa v18, sext(v7), sext(v18) dst_sel:DWORD dst_unused:UNUSED_PAD src0_sel:BYTE_3 src1_sel:BYTE_3
	v_dot4c_i32_i8_e32 v12, v7, v19
	v_dot4c_i32_i8_e32 v11, v7, v20
	v_dot4c_i32_i8_e32 v10, v7, v21
	v_bfe_i32 v7, v24, 0, 8
	v_mad_i32_i24 v19, v25, v23, v26
	v_mad_i32_i24 v7, v7, v22, v18
	v_add3_u32 v13, v19, v7, v13
	s_andn2_b64 exec, exec, s[6:7]
	s_cbranch_execnz .LBB61_25
; %bb.26:
	s_or_b64 exec, exec, s[6:7]
.LBB61_27:
	s_or_b64 exec, exec, s[2:3]
.LBB61_28:
	s_or_b64 exec, exec, s[14:15]
	s_cbranch_execz .LBB61_30
	s_branch .LBB61_41
.LBB61_29:
                                        ; implicit-def: $vgpr10
                                        ; implicit-def: $vgpr11
                                        ; implicit-def: $vgpr12
                                        ; implicit-def: $vgpr13
.LBB61_30:
	v_mov_b32_e32 v10, 0
	v_mov_b32_e32 v11, 0
	;; [unrolled: 1-line block ×4, first 2 shown]
	s_and_saveexec_b64 s[8:9], s[0:1]
	s_cbranch_execz .LBB61_40
; %bb.31:
	v_add_u32_e32 v1, v14, v5
	v_subrev_u32_e32 v1, s16, v1
	v_add_u32_e32 v1, 8, v1
	v_max_i32_e32 v1, v1, v15
	v_not_b32_e32 v6, v14
	v_add3_u32 v1, v1, s16, v6
	v_sub_u32_e32 v1, v1, v5
	v_lshrrev_b32_e32 v6, 3, v1
	v_add_u32_e32 v6, 1, v6
	v_cmp_lt_u32_e32 vcc, 23, v1
	v_mov_b32_e32 v13, 0
	v_mov_b32_e32 v12, 0
	;; [unrolled: 1-line block ×4, first 2 shown]
	s_and_saveexec_b64 s[14:15], vcc
	s_cbranch_execz .LBB61_35
; %bb.32:
	v_and_b32_e32 v7, 0x3ffffffc, v6
	s_mov_b64 s[18:19], 0
	v_mov_b32_e32 v10, 0
	v_mov_b32_e32 v8, s13
	s_waitcnt lgkmcnt(0)
	v_mov_b32_e32 v9, s11
	s_mov_b32 s20, 0xc0c0400
	s_mov_b32 s21, 0x4000c0c
	;; [unrolled: 1-line block ×8, first 2 shown]
	v_mov_b32_e32 v11, 0
	v_mov_b32_e32 v12, 0
	;; [unrolled: 1-line block ×3, first 2 shown]
.LBB61_33:                              ; =>This Inner Loop Header: Depth=1
	v_ashrrev_i32_e32 v1, 31, v0
	v_lshlrev_b64 v[14:15], 2, v[0:1]
	v_add_co_u32_e32 v30, vcc, s12, v14
	v_addc_co_u32_e32 v31, vcc, v8, v15, vcc
	global_load_dword v1, v[30:31], off
	global_load_dword v32, v[30:31], off offset:32
	global_load_dword v33, v[30:31], off offset:64
	;; [unrolled: 1-line block ×3, first 2 shown]
	global_load_dwordx4 v[14:17], v[2:3], off
	global_load_dwordx4 v[18:21], v[2:3], off offset:128
	global_load_dwordx4 v[22:25], v[2:3], off offset:256
	;; [unrolled: 1-line block ×3, first 2 shown]
	v_add_u32_e32 v7, -4, v7
	v_add_u32_e32 v0, 32, v0
	s_waitcnt vmcnt(7)
	v_subrev_u32_e32 v1, s16, v1
	s_waitcnt vmcnt(6)
	v_subrev_u32_e32 v30, s16, v32
	;; [unrolled: 2-line block ×4, first 2 shown]
	v_lshlrev_b32_e32 v1, 2, v1
	v_lshlrev_b32_e32 v30, 2, v30
	;; [unrolled: 1-line block ×4, first 2 shown]
	v_ashrrev_i32_e32 v35, 31, v1
	v_add_co_u32_e64 v36, s[6:7], s10, v1
	v_ashrrev_i32_e32 v38, 31, v30
	v_add_co_u32_e32 v30, vcc, s10, v30
	v_ashrrev_i32_e32 v39, 31, v31
	v_add_co_u32_e64 v32, s[0:1], s10, v31
	v_ashrrev_i32_e32 v40, 31, v33
	v_add_co_u32_e64 v34, s[2:3], s10, v33
	v_addc_co_u32_e64 v37, s[6:7], v9, v35, s[6:7]
	v_addc_co_u32_e32 v31, vcc, v9, v38, vcc
	v_addc_co_u32_e64 v33, vcc, v9, v39, s[0:1]
	v_addc_co_u32_e64 v35, vcc, v9, v40, s[2:3]
	global_load_dword v1, v[36:37], off
	global_load_dword v38, v[30:31], off
	;; [unrolled: 1-line block ×4, first 2 shown]
	s_waitcnt vmcnt(7)
	v_perm_b32 v30, v15, v14, s20
	v_perm_b32 v31, v17, v16, s21
	v_perm_b32 v32, v15, v14, s23
	v_perm_b32 v33, v17, v16, s24
	v_perm_b32 v34, v15, v14, s25
	v_perm_b32 v35, v17, v16, s26
	v_perm_b32 v14, v15, v14, s27
	v_perm_b32 v15, v17, v16, s28
	s_waitcnt vmcnt(6)
	v_perm_b32 v16, v19, v18, s20
	v_perm_b32 v17, v21, v20, s21
	v_perm_b32 v36, v19, v18, s23
	v_perm_b32 v37, v21, v20, s24
	v_perm_b32 v41, v19, v18, s25
	v_perm_b32 v42, v21, v20, s26
	v_perm_b32 v18, v19, v18, s27
	v_perm_b32 v19, v21, v20, s28
	;; [unrolled: 9-line block ×4, first 2 shown]
	v_or_b32_e32 v28, v31, v30
	v_or_b32_e32 v29, v33, v32
	;; [unrolled: 1-line block ×4, first 2 shown]
	v_add_co_u32_e32 v2, vcc, 0x200, v2
	v_or_b32_e32 v15, v17, v16
	v_or_b32_e32 v16, v37, v36
	;; [unrolled: 1-line block ×4, first 2 shown]
	v_addc_co_u32_e32 v3, vcc, 0, v3, vcc
	v_or_b32_e32 v19, v21, v20
	v_or_b32_e32 v20, v44, v43
	;; [unrolled: 1-line block ×4, first 2 shown]
	v_cmp_eq_u32_e32 vcc, 0, v7
	v_or_b32_e32 v23, v25, v24
	v_or_b32_e32 v24, v48, v47
	;; [unrolled: 1-line block ×4, first 2 shown]
	s_or_b64 s[18:19], vcc, s[18:19]
	s_waitcnt vmcnt(3)
	v_dot4c_i32_i8_e32 v13, v1, v28
	v_dot4c_i32_i8_e32 v12, v29, v1
	v_dot4c_i32_i8_e32 v11, v30, v1
	v_dot4c_i32_i8_e32 v10, v14, v1
	s_waitcnt vmcnt(2)
	v_dot4c_i32_i8_e32 v13, v38, v15
	v_dot4c_i32_i8_e32 v12, v16, v38
	v_dot4c_i32_i8_e32 v11, v17, v38
	v_dot4c_i32_i8_e32 v10, v18, v38
	;; [unrolled: 5-line block ×4, first 2 shown]
	s_andn2_b64 exec, exec, s[18:19]
	s_cbranch_execnz .LBB61_33
; %bb.34:
	s_or_b64 exec, exec, s[18:19]
.LBB61_35:
	s_or_b64 exec, exec, s[14:15]
	v_and_b32_e32 v1, 3, v6
	v_cmp_ne_u32_e32 vcc, 0, v1
	s_and_saveexec_b64 s[0:1], vcc
	s_cbranch_execz .LBB61_39
; %bb.36:
	v_lshlrev_b32_e32 v6, 4, v1
	s_mov_b64 s[2:3], 0
	v_mov_b32_e32 v7, s13
	s_waitcnt lgkmcnt(0)
	v_mov_b32_e32 v8, s11
	s_mov_b32 s6, 0xc0c0400
	s_mov_b32 s7, 0x4000c0c
	;; [unrolled: 1-line block ×8, first 2 shown]
.LBB61_37:                              ; =>This Inner Loop Header: Depth=1
	v_ashrrev_i32_e32 v1, 31, v0
	v_lshlrev_b64 v[14:15], 2, v[0:1]
	v_add_co_u32_e32 v18, vcc, s12, v14
	v_addc_co_u32_e32 v19, vcc, v7, v15, vcc
	global_load_dword v1, v[18:19], off
	global_load_dwordx4 v[14:17], v[2:3], off
	v_add_u32_e32 v6, -16, v6
	v_add_u32_e32 v0, 8, v0
	s_waitcnt vmcnt(1)
	v_subrev_u32_e32 v1, s16, v1
	v_lshlrev_b32_e32 v1, 2, v1
	v_ashrrev_i32_e32 v9, 31, v1
	v_add_co_u32_e32 v18, vcc, s10, v1
	v_addc_co_u32_e32 v19, vcc, v8, v9, vcc
	global_load_dword v1, v[18:19], off
	v_add_co_u32_e32 v2, vcc, 0x80, v2
	v_addc_co_u32_e32 v3, vcc, 0, v3, vcc
	s_waitcnt vmcnt(1)
	v_perm_b32 v9, v15, v14, s6
	v_perm_b32 v18, v17, v16, s7
	;; [unrolled: 1-line block ×8, first 2 shown]
	v_cmp_eq_u32_e32 vcc, 0, v6
	v_or_b32_e32 v9, v18, v9
	v_or_b32_e32 v16, v20, v19
	;; [unrolled: 1-line block ×4, first 2 shown]
	s_or_b64 s[2:3], vcc, s[2:3]
	s_waitcnt vmcnt(0)
	v_dot4c_i32_i8_e32 v13, v1, v9
	v_dot4c_i32_i8_e32 v12, v16, v1
	;; [unrolled: 1-line block ×4, first 2 shown]
	s_andn2_b64 exec, exec, s[2:3]
	s_cbranch_execnz .LBB61_37
; %bb.38:
	s_or_b64 exec, exec, s[2:3]
.LBB61_39:
	s_or_b64 exec, exec, s[0:1]
.LBB61_40:
	s_or_b64 exec, exec, s[8:9]
.LBB61_41:
	v_mov_b32_dpp v0, v13 row_shr:1 row_mask:0xf bank_mask:0xf
	v_mov_b32_dpp v2, v12 row_shr:1 row_mask:0xf bank_mask:0xf
	v_mov_b32_dpp v6, v11 row_shr:1 row_mask:0xf bank_mask:0xf
	v_mov_b32_dpp v8, v10 row_shr:1 row_mask:0xf bank_mask:0xf
	v_add_u32_e32 v0, v0, v13
	v_add_u32_e32 v2, v2, v12
	;; [unrolled: 1-line block ×4, first 2 shown]
	v_mov_b32_dpp v1, v0 row_shr:2 row_mask:0xf bank_mask:0xf
	v_mov_b32_dpp v3, v2 row_shr:2 row_mask:0xf bank_mask:0xf
	;; [unrolled: 1-line block ×4, first 2 shown]
	v_add_u32_e32 v0, v0, v1
	v_add_u32_e32 v2, v2, v3
	;; [unrolled: 1-line block ×4, first 2 shown]
	v_mov_b32_dpp v1, v0 row_shr:4 row_mask:0xf bank_mask:0xe
	v_mov_b32_dpp v3, v2 row_shr:4 row_mask:0xf bank_mask:0xe
	;; [unrolled: 1-line block ×4, first 2 shown]
	v_cmp_eq_u32_e32 vcc, 7, v5
	s_and_b64 exec, exec, vcc
	s_cbranch_execz .LBB61_14
; %bb.42:
	s_load_dwordx2 s[0:1], s[4:5], 0x50
	v_add_u32_e32 v0, v0, v1
	v_add_u32_e32 v1, v2, v3
	;; [unrolled: 1-line block ×4, first 2 shown]
	s_cmp_eq_u32 s22, 0
	v_mul_lo_u32 v0, v0, s17
	v_mul_lo_u32 v8, v1, s17
	;; [unrolled: 1-line block ×4, first 2 shown]
	v_lshlrev_b32_e32 v4, 2, v4
	s_cbranch_scc1 .LBB61_44
; %bb.43:
	v_ashrrev_i32_e32 v5, 31, v4
	v_lshlrev_b64 v[10:11], 2, v[4:5]
	s_waitcnt lgkmcnt(0)
	v_mov_b32_e32 v1, s1
	v_add_co_u32_e32 v18, vcc, s0, v10
	v_addc_co_u32_e32 v19, vcc, v1, v11, vcc
	global_load_dwordx4 v[10:13], v[18:19], off
	s_waitcnt vmcnt(0)
	v_mad_u64_u32 v[14:15], s[2:3], v10, s22, v[0:1]
	v_mad_u64_u32 v[10:11], s[2:3], v11, s22, v[8:9]
	;; [unrolled: 1-line block ×4, first 2 shown]
	v_mov_b32_e32 v15, v10
	v_mov_b32_e32 v17, v12
	global_store_dwordx4 v[18:19], v[14:17], off
	s_cbranch_execnz .LBB61_14
	s_branch .LBB61_45
.LBB61_44:
.LBB61_45:
	v_ashrrev_i32_e32 v5, 31, v4
	v_lshlrev_b64 v[4:5], 2, v[4:5]
	s_waitcnt lgkmcnt(0)
	v_mov_b32_e32 v1, s1
	v_add_co_u32_e32 v4, vcc, s0, v4
	v_addc_co_u32_e32 v5, vcc, v1, v5, vcc
	v_mov_b32_e32 v1, v8
	v_mov_b32_e32 v3, v6
	global_store_dwordx4 v[4:5], v[0:3], off
	s_endpgm
	.section	.rodata,"a",@progbits
	.p2align	6, 0x0
	.amdhsa_kernel _ZN9rocsparseL18bsrxmvn_4x4_kernelILj128ELj8EiiiaaiEEvT3_20rocsparse_direction_NS_24const_host_device_scalarIT1_EES1_PKS1_PKT2_SA_S7_PKT4_PKT5_S5_PT6_21rocsparse_index_base_b
		.amdhsa_group_segment_fixed_size 0
		.amdhsa_private_segment_fixed_size 0
		.amdhsa_kernarg_size 96
		.amdhsa_user_sgpr_count 6
		.amdhsa_user_sgpr_private_segment_buffer 1
		.amdhsa_user_sgpr_dispatch_ptr 0
		.amdhsa_user_sgpr_queue_ptr 0
		.amdhsa_user_sgpr_kernarg_segment_ptr 1
		.amdhsa_user_sgpr_dispatch_id 0
		.amdhsa_user_sgpr_flat_scratch_init 0
		.amdhsa_user_sgpr_kernarg_preload_length 0
		.amdhsa_user_sgpr_kernarg_preload_offset 0
		.amdhsa_user_sgpr_private_segment_size 0
		.amdhsa_uses_dynamic_stack 0
		.amdhsa_system_sgpr_private_segment_wavefront_offset 0
		.amdhsa_system_sgpr_workgroup_id_x 1
		.amdhsa_system_sgpr_workgroup_id_y 0
		.amdhsa_system_sgpr_workgroup_id_z 0
		.amdhsa_system_sgpr_workgroup_info 0
		.amdhsa_system_vgpr_workitem_id 0
		.amdhsa_next_free_vgpr 54
		.amdhsa_next_free_sgpr 29
		.amdhsa_accum_offset 56
		.amdhsa_reserve_vcc 1
		.amdhsa_reserve_flat_scratch 0
		.amdhsa_float_round_mode_32 0
		.amdhsa_float_round_mode_16_64 0
		.amdhsa_float_denorm_mode_32 3
		.amdhsa_float_denorm_mode_16_64 3
		.amdhsa_dx10_clamp 1
		.amdhsa_ieee_mode 1
		.amdhsa_fp16_overflow 0
		.amdhsa_tg_split 0
		.amdhsa_exception_fp_ieee_invalid_op 0
		.amdhsa_exception_fp_denorm_src 0
		.amdhsa_exception_fp_ieee_div_zero 0
		.amdhsa_exception_fp_ieee_overflow 0
		.amdhsa_exception_fp_ieee_underflow 0
		.amdhsa_exception_fp_ieee_inexact 0
		.amdhsa_exception_int_div_zero 0
	.end_amdhsa_kernel
	.section	.text._ZN9rocsparseL18bsrxmvn_4x4_kernelILj128ELj8EiiiaaiEEvT3_20rocsparse_direction_NS_24const_host_device_scalarIT1_EES1_PKS1_PKT2_SA_S7_PKT4_PKT5_S5_PT6_21rocsparse_index_base_b,"axG",@progbits,_ZN9rocsparseL18bsrxmvn_4x4_kernelILj128ELj8EiiiaaiEEvT3_20rocsparse_direction_NS_24const_host_device_scalarIT1_EES1_PKS1_PKT2_SA_S7_PKT4_PKT5_S5_PT6_21rocsparse_index_base_b,comdat
.Lfunc_end61:
	.size	_ZN9rocsparseL18bsrxmvn_4x4_kernelILj128ELj8EiiiaaiEEvT3_20rocsparse_direction_NS_24const_host_device_scalarIT1_EES1_PKS1_PKT2_SA_S7_PKT4_PKT5_S5_PT6_21rocsparse_index_base_b, .Lfunc_end61-_ZN9rocsparseL18bsrxmvn_4x4_kernelILj128ELj8EiiiaaiEEvT3_20rocsparse_direction_NS_24const_host_device_scalarIT1_EES1_PKS1_PKT2_SA_S7_PKT4_PKT5_S5_PT6_21rocsparse_index_base_b
                                        ; -- End function
	.section	.AMDGPU.csdata,"",@progbits
; Kernel info:
; codeLenInByte = 3152
; NumSgprs: 33
; NumVgprs: 54
; NumAgprs: 0
; TotalNumVgprs: 54
; ScratchSize: 0
; MemoryBound: 0
; FloatMode: 240
; IeeeMode: 1
; LDSByteSize: 0 bytes/workgroup (compile time only)
; SGPRBlocks: 4
; VGPRBlocks: 6
; NumSGPRsForWavesPerEU: 33
; NumVGPRsForWavesPerEU: 54
; AccumOffset: 56
; Occupancy: 8
; WaveLimiterHint : 1
; COMPUTE_PGM_RSRC2:SCRATCH_EN: 0
; COMPUTE_PGM_RSRC2:USER_SGPR: 6
; COMPUTE_PGM_RSRC2:TRAP_HANDLER: 0
; COMPUTE_PGM_RSRC2:TGID_X_EN: 1
; COMPUTE_PGM_RSRC2:TGID_Y_EN: 0
; COMPUTE_PGM_RSRC2:TGID_Z_EN: 0
; COMPUTE_PGM_RSRC2:TIDIG_COMP_CNT: 0
; COMPUTE_PGM_RSRC3_GFX90A:ACCUM_OFFSET: 13
; COMPUTE_PGM_RSRC3_GFX90A:TG_SPLIT: 0
	.section	.text._ZN9rocsparseL18bsrxmvn_4x4_kernelILj128ELj16EiiiaaiEEvT3_20rocsparse_direction_NS_24const_host_device_scalarIT1_EES1_PKS1_PKT2_SA_S7_PKT4_PKT5_S5_PT6_21rocsparse_index_base_b,"axG",@progbits,_ZN9rocsparseL18bsrxmvn_4x4_kernelILj128ELj16EiiiaaiEEvT3_20rocsparse_direction_NS_24const_host_device_scalarIT1_EES1_PKS1_PKT2_SA_S7_PKT4_PKT5_S5_PT6_21rocsparse_index_base_b,comdat
	.globl	_ZN9rocsparseL18bsrxmvn_4x4_kernelILj128ELj16EiiiaaiEEvT3_20rocsparse_direction_NS_24const_host_device_scalarIT1_EES1_PKS1_PKT2_SA_S7_PKT4_PKT5_S5_PT6_21rocsparse_index_base_b ; -- Begin function _ZN9rocsparseL18bsrxmvn_4x4_kernelILj128ELj16EiiiaaiEEvT3_20rocsparse_direction_NS_24const_host_device_scalarIT1_EES1_PKS1_PKT2_SA_S7_PKT4_PKT5_S5_PT6_21rocsparse_index_base_b
	.p2align	8
	.type	_ZN9rocsparseL18bsrxmvn_4x4_kernelILj128ELj16EiiiaaiEEvT3_20rocsparse_direction_NS_24const_host_device_scalarIT1_EES1_PKS1_PKT2_SA_S7_PKT4_PKT5_S5_PT6_21rocsparse_index_base_b,@function
_ZN9rocsparseL18bsrxmvn_4x4_kernelILj128ELj16EiiiaaiEEvT3_20rocsparse_direction_NS_24const_host_device_scalarIT1_EES1_PKS1_PKT2_SA_S7_PKT4_PKT5_S5_PT6_21rocsparse_index_base_b: ; @_ZN9rocsparseL18bsrxmvn_4x4_kernelILj128ELj16EiiiaaiEEvT3_20rocsparse_direction_NS_24const_host_device_scalarIT1_EES1_PKS1_PKT2_SA_S7_PKT4_PKT5_S5_PT6_21rocsparse_index_base_b
; %bb.0:
	s_load_dwordx2 s[16:17], s[4:5], 0x58
	s_load_dwordx2 s[8:9], s[4:5], 0x8
	s_mov_b64 s[10:11], -1
	s_waitcnt lgkmcnt(0)
	s_bitcmp1_b32 s17, 0
	s_cselect_b64 s[0:1], -1, 0
	s_xor_b64 s[2:3], s[0:1], -1
	s_and_b64 vcc, exec, s[2:3]
                                        ; implicit-def: $sgpr17
	s_cbranch_vccnz .LBB62_4
; %bb.1:
	s_load_dwordx2 s[0:1], s[4:5], 0x48
	s_andn2_b64 vcc, exec, s[10:11]
	s_cbranch_vccz .LBB62_5
.LBB62_2:
	s_and_b64 vcc, exec, s[2:3]
	s_cbranch_vccz .LBB62_6
.LBB62_3:
	s_waitcnt lgkmcnt(0)
	s_load_dword s22, s[0:1], 0x0
	s_cbranch_execz .LBB62_7
	s_branch .LBB62_8
.LBB62_4:
	s_load_dword s17, s[8:9], 0x0
	s_load_dwordx2 s[0:1], s[4:5], 0x48
	s_cbranch_execnz .LBB62_2
.LBB62_5:
	s_waitcnt lgkmcnt(0)
	s_mov_b32 s17, s8
	s_and_b64 vcc, exec, s[2:3]
	s_cbranch_vccnz .LBB62_3
.LBB62_6:
                                        ; implicit-def: $sgpr22
.LBB62_7:
	s_waitcnt lgkmcnt(0)
	s_mov_b32 s22, s0
.LBB62_8:
	s_waitcnt lgkmcnt(0)
	s_cmp_lg_u32 s17, 0
	s_cselect_b64 s[0:1], -1, 0
	s_cmp_lg_u32 s22, 1
	s_cselect_b64 s[2:3], -1, 0
	s_or_b64 s[0:1], s[0:1], s[2:3]
	s_andn2_b64 vcc, exec, s[0:1]
	s_cbranch_vccnz .LBB62_14
; %bb.9:
	s_load_dwordx2 s[8:9], s[4:5], 0x18
	s_load_dwordx2 s[0:1], s[4:5], 0x0
	v_lshrrev_b32_e32 v1, 4, v0
	v_lshl_or_b32 v4, s6, 3, v1
	s_mov_b64 s[2:3], 0
	s_waitcnt lgkmcnt(0)
	s_cmp_lg_u64 s[8:9], 0
	s_cbranch_scc0 .LBB62_15
; %bb.10:
	s_load_dword s6, s[4:5], 0x10
                                        ; implicit-def: $vgpr1
	s_waitcnt lgkmcnt(0)
	v_cmp_gt_i32_e32 vcc, s6, v4
	s_and_saveexec_b64 s[6:7], vcc
	s_xor_b64 s[6:7], exec, s[6:7]
	s_cbranch_execz .LBB62_12
; %bb.11:
	v_ashrrev_i32_e32 v5, 31, v4
	v_lshlrev_b64 v[2:3], 2, v[4:5]
	v_mov_b32_e32 v1, s9
	v_add_co_u32_e32 v2, vcc, s8, v2
	v_addc_co_u32_e32 v3, vcc, v1, v3, vcc
	global_load_dword v1, v[2:3], off
	s_mov_b64 s[2:3], exec
	s_waitcnt vmcnt(0)
	v_subrev_u32_e32 v1, s16, v1
.LBB62_12:
	s_or_b64 exec, exec, s[6:7]
	s_branch .LBB62_16
.LBB62_13:
	v_cmp_gt_i32_e32 vcc, s0, v4
	s_andn2_b64 s[2:3], s[2:3], exec
	s_and_b64 s[6:7], vcc, exec
	s_or_b64 s[2:3], s[2:3], s[6:7]
	s_and_saveexec_b64 s[6:7], s[2:3]
	s_cbranch_execnz .LBB62_17
.LBB62_14:
	s_endpgm
.LBB62_15:
                                        ; implicit-def: $vgpr1
	s_cbranch_execnz .LBB62_13
.LBB62_16:
	v_mov_b32_e32 v4, v1
	s_and_saveexec_b64 s[6:7], s[2:3]
	s_cbranch_execz .LBB62_14
.LBB62_17:
	s_load_dwordx8 s[8:15], s[4:5], 0x20
	v_ashrrev_i32_e32 v5, 31, v4
	v_lshlrev_b64 v[2:3], 2, v[4:5]
	s_waitcnt lgkmcnt(0)
	v_mov_b32_e32 v1, s9
	v_add_co_u32_e32 v6, vcc, s8, v2
	v_addc_co_u32_e32 v7, vcc, v1, v3, vcc
	v_add_co_u32_e32 v1, vcc, 4, v6
	v_addc_co_u32_e32 v5, vcc, 0, v7, vcc
	global_load_dword v14, v[6:7], off
	v_mov_b32_e32 v6, s11
	v_add_co_u32_e32 v2, vcc, s10, v2
	s_cmp_eq_u64 s[10:11], 0
	v_addc_co_u32_e32 v3, vcc, v6, v3, vcc
	s_cselect_b64 vcc, -1, 0
	v_cndmask_b32_e32 v3, v3, v5, vcc
	v_cndmask_b32_e32 v2, v2, v1, vcc
	global_load_dword v1, v[2:3], off
	v_and_b32_e32 v5, 15, v0
	s_load_dwordx2 s[10:11], s[4:5], 0x40
	v_mov_b32_e32 v6, s15
	s_cmp_eq_u32 s1, 1
	s_waitcnt vmcnt(1)
	v_subrev_u32_e32 v0, s16, v14
	v_add_u32_e32 v0, v0, v5
	s_waitcnt vmcnt(0)
	v_subrev_u32_e32 v15, s16, v1
	v_ashrrev_i32_e32 v1, 31, v0
	v_lshlrev_b64 v[2:3], 4, v[0:1]
	v_add_co_u32_e32 v2, vcc, s14, v2
	v_addc_co_u32_e32 v3, vcc, v6, v3, vcc
	v_cmp_lt_i32_e64 s[0:1], v0, v15
	s_cbranch_scc1 .LBB62_29
; %bb.18:
	v_mov_b32_e32 v10, 0
	v_mov_b32_e32 v11, 0
	;; [unrolled: 1-line block ×4, first 2 shown]
	s_and_saveexec_b64 s[14:15], s[0:1]
	s_cbranch_execz .LBB62_28
; %bb.19:
	v_add_u32_e32 v1, v14, v5
	v_subrev_u32_e32 v1, s16, v1
	v_add_u32_e32 v1, 16, v1
	v_max_i32_e32 v1, v1, v15
	v_not_b32_e32 v6, v14
	v_add3_u32 v1, v1, s16, v6
	v_sub_u32_e32 v6, v1, v5
	v_lshrrev_b32_e32 v1, 4, v6
	v_add_u32_e32 v1, 1, v1
	v_cmp_lt_u32_e32 vcc, 47, v6
	v_mov_b32_e32 v13, 0
	v_mov_b32_e32 v12, 0
	;; [unrolled: 1-line block ×5, first 2 shown]
	v_pk_mov_b32 v[8:9], v[2:3], v[2:3] op_sel:[0,1]
	s_and_saveexec_b64 s[18:19], vcc
	s_cbranch_execz .LBB62_23
; %bb.20:
	v_and_b32_e32 v16, 0x1ffffffc, v1
	s_mov_b64 s[20:21], 0
	v_mov_b32_e32 v10, 0
	v_mov_b32_e32 v17, s13
	s_waitcnt lgkmcnt(0)
	v_mov_b32_e32 v18, s11
	v_pk_mov_b32 v[8:9], v[2:3], v[2:3] op_sel:[0,1]
	v_mov_b32_e32 v6, v0
	v_mov_b32_e32 v11, 0
	;; [unrolled: 1-line block ×4, first 2 shown]
.LBB62_21:                              ; =>This Inner Loop Header: Depth=1
	v_ashrrev_i32_e32 v7, 31, v6
	v_lshlrev_b64 v[20:21], 2, v[6:7]
	v_add_co_u32_e32 v36, vcc, s12, v20
	v_addc_co_u32_e32 v37, vcc, v17, v21, vcc
	global_load_dword v7, v[36:37], off
	global_load_dword v19, v[36:37], off offset:64
	global_load_dword v38, v[36:37], off offset:128
	;; [unrolled: 1-line block ×3, first 2 shown]
	global_load_dwordx4 v[20:23], v[8:9], off
	global_load_dwordx4 v[24:27], v[8:9], off offset:256
	global_load_dwordx4 v[28:31], v[8:9], off offset:512
	;; [unrolled: 1-line block ×3, first 2 shown]
	v_add_u32_e32 v16, -4, v16
	v_add_u32_e32 v6, 64, v6
	s_waitcnt vmcnt(7)
	v_subrev_u32_e32 v7, s16, v7
	s_waitcnt vmcnt(6)
	v_subrev_u32_e32 v19, s16, v19
	;; [unrolled: 2-line block ×4, first 2 shown]
	v_lshlrev_b32_e32 v7, 2, v7
	v_lshlrev_b32_e32 v19, 2, v19
	;; [unrolled: 1-line block ×4, first 2 shown]
	v_ashrrev_i32_e32 v39, 31, v7
	v_add_co_u32_e64 v42, s[8:9], s10, v7
	v_ashrrev_i32_e32 v41, 31, v19
	v_add_co_u32_e32 v36, vcc, s10, v19
	v_ashrrev_i32_e32 v19, 31, v38
	v_add_co_u32_e64 v38, s[2:3], s10, v38
	v_ashrrev_i32_e32 v44, 31, v37
	v_add_co_u32_e64 v40, s[6:7], s10, v37
	v_addc_co_u32_e64 v43, s[8:9], v18, v39, s[8:9]
	v_addc_co_u32_e32 v37, vcc, v18, v41, vcc
	v_addc_co_u32_e64 v39, vcc, v18, v19, s[2:3]
	v_addc_co_u32_e64 v41, vcc, v18, v44, s[6:7]
	global_load_dword v7, v[42:43], off
	global_load_dword v19, v[36:37], off
	;; [unrolled: 1-line block ×4, first 2 shown]
	s_waitcnt vmcnt(7)
	v_lshrrev_b16_e32 v36, 8, v20
	v_bfe_i32 v37, v20, 0, 8
	s_waitcnt vmcnt(6)
	v_lshrrev_b16_e32 v38, 8, v24
	v_bfe_i32 v36, v36, 0, 8
	v_bfe_i32 v39, v24, 0, 8
	s_waitcnt vmcnt(5)
	v_lshrrev_b16_e32 v40, 8, v28
	v_bfe_i32 v38, v38, 0, 8
	v_add_co_u32_e32 v8, vcc, 0x400, v8
	v_bfe_i32 v41, v28, 0, 8
	s_waitcnt vmcnt(4)
	v_lshrrev_b16_e32 v42, 8, v32
	v_bfe_i32 v40, v40, 0, 8
	v_addc_co_u32_e32 v9, vcc, 0, v9, vcc
	v_bfe_i32 v43, v32, 0, 8
	v_bfe_i32 v42, v42, 0, 8
	v_cmp_eq_u32_e32 vcc, 0, v16
	s_or_b64 s[20:21], vcc, s[20:21]
	s_waitcnt vmcnt(3)
	v_lshrrev_b16_e32 v46, 8, v7
	v_bfe_i32 v47, v7, 0, 8
	v_mul_i32_i24_sdwa v48, sext(v7), sext(v20) dst_sel:DWORD dst_unused:UNUSED_PAD src0_sel:BYTE_2 src1_sel:BYTE_2
	v_mul_i32_i24_sdwa v20, sext(v7), sext(v20) dst_sel:DWORD dst_unused:UNUSED_PAD src0_sel:BYTE_3 src1_sel:BYTE_3
	v_dot4c_i32_i8_e32 v12, v7, v21
	v_dot4c_i32_i8_e32 v11, v7, v22
	;; [unrolled: 1-line block ×3, first 2 shown]
	s_waitcnt vmcnt(2)
	v_lshrrev_b16_e32 v7, 8, v19
	v_bfe_i32 v46, v46, 0, 8
	v_bfe_i32 v21, v19, 0, 8
	v_mul_i32_i24_sdwa v22, sext(v19), sext(v24) dst_sel:DWORD dst_unused:UNUSED_PAD src0_sel:BYTE_2 src1_sel:BYTE_2
	v_mul_i32_i24_sdwa v23, sext(v19), sext(v24) dst_sel:DWORD dst_unused:UNUSED_PAD src0_sel:BYTE_3 src1_sel:BYTE_3
	s_waitcnt vmcnt(1)
	v_lshrrev_b16_e32 v24, 8, v44
	v_mad_i32_i24 v37, v47, v37, v48
	v_bfe_i32 v7, v7, 0, 8
	v_mad_i32_i24 v20, v46, v36, v20
	v_bfe_i32 v49, v44, 0, 8
	v_mul_i32_i24_sdwa v50, sext(v44), sext(v28) dst_sel:DWORD dst_unused:UNUSED_PAD src0_sel:BYTE_2 src1_sel:BYTE_2
	v_mul_i32_i24_sdwa v28, sext(v44), sext(v28) dst_sel:DWORD dst_unused:UNUSED_PAD src0_sel:BYTE_3 src1_sel:BYTE_3
	s_waitcnt vmcnt(0)
	v_lshrrev_b16_e32 v51, 8, v45
	v_mad_i32_i24 v21, v21, v39, v22
	v_dot4c_i32_i8_e32 v12, v19, v25
	v_dot4c_i32_i8_e32 v11, v19, v26
	;; [unrolled: 1-line block ×3, first 2 shown]
	v_bfe_i32 v19, v24, 0, 8
	v_mad_i32_i24 v7, v7, v38, v23
	v_add3_u32 v13, v37, v20, v13
	v_bfe_i32 v52, v45, 0, 8
	v_mul_i32_i24_sdwa v53, sext(v45), sext(v32) dst_sel:DWORD dst_unused:UNUSED_PAD src0_sel:BYTE_2 src1_sel:BYTE_2
	v_mul_i32_i24_sdwa v32, sext(v45), sext(v32) dst_sel:DWORD dst_unused:UNUSED_PAD src0_sel:BYTE_3 src1_sel:BYTE_3
	v_mad_i32_i24 v22, v49, v41, v50
	v_bfe_i32 v24, v51, 0, 8
	v_mad_i32_i24 v19, v19, v40, v28
	v_add3_u32 v7, v21, v7, v13
	v_mad_i32_i24 v25, v52, v43, v53
	v_dot4c_i32_i8_e32 v12, v44, v29
	v_dot4c_i32_i8_e32 v11, v44, v30
	;; [unrolled: 1-line block ×3, first 2 shown]
	v_mad_i32_i24 v23, v24, v42, v32
	v_add3_u32 v7, v22, v19, v7
	v_dot4c_i32_i8_e32 v12, v45, v33
	v_dot4c_i32_i8_e32 v11, v45, v34
	;; [unrolled: 1-line block ×3, first 2 shown]
	v_add3_u32 v13, v25, v23, v7
	s_andn2_b64 exec, exec, s[20:21]
	s_cbranch_execnz .LBB62_21
; %bb.22:
	s_or_b64 exec, exec, s[20:21]
.LBB62_23:
	s_or_b64 exec, exec, s[18:19]
	v_and_b32_e32 v1, 3, v1
	v_cmp_ne_u32_e32 vcc, 0, v1
	s_and_saveexec_b64 s[2:3], vcc
	s_cbranch_execz .LBB62_27
; %bb.24:
	v_lshlrev_b32_e32 v1, 4, v1
	s_mov_b64 s[6:7], 0
	v_mov_b32_e32 v16, s13
	s_waitcnt lgkmcnt(0)
	v_mov_b32_e32 v17, s11
.LBB62_25:                              ; =>This Inner Loop Header: Depth=1
	v_ashrrev_i32_e32 v7, 31, v6
	v_lshlrev_b64 v[18:19], 2, v[6:7]
	v_add_co_u32_e32 v22, vcc, s12, v18
	v_addc_co_u32_e32 v23, vcc, v16, v19, vcc
	global_load_dword v7, v[22:23], off
	global_load_dwordx4 v[18:21], v[8:9], off
	v_add_u32_e32 v1, -16, v1
	v_add_u32_e32 v6, 16, v6
	s_waitcnt vmcnt(1)
	v_subrev_u32_e32 v7, s16, v7
	v_lshlrev_b32_e32 v7, 2, v7
	v_ashrrev_i32_e32 v23, 31, v7
	v_add_co_u32_e32 v22, vcc, s10, v7
	v_addc_co_u32_e32 v23, vcc, v17, v23, vcc
	global_load_dword v7, v[22:23], off
	v_add_co_u32_e32 v8, vcc, 0x100, v8
	s_waitcnt vmcnt(1)
	v_lshrrev_b16_e32 v22, 8, v18
	v_addc_co_u32_e32 v9, vcc, 0, v9, vcc
	v_bfe_i32 v23, v18, 0, 8
	v_bfe_i32 v22, v22, 0, 8
	v_cmp_eq_u32_e32 vcc, 0, v1
	s_or_b64 s[6:7], vcc, s[6:7]
	s_waitcnt vmcnt(0)
	v_lshrrev_b16_e32 v24, 8, v7
	v_bfe_i32 v25, v7, 0, 8
	v_mul_i32_i24_sdwa v26, sext(v7), sext(v18) dst_sel:DWORD dst_unused:UNUSED_PAD src0_sel:BYTE_2 src1_sel:BYTE_2
	v_mul_i32_i24_sdwa v18, sext(v7), sext(v18) dst_sel:DWORD dst_unused:UNUSED_PAD src0_sel:BYTE_3 src1_sel:BYTE_3
	v_dot4c_i32_i8_e32 v12, v7, v19
	v_dot4c_i32_i8_e32 v11, v7, v20
	;; [unrolled: 1-line block ×3, first 2 shown]
	v_bfe_i32 v7, v24, 0, 8
	v_mad_i32_i24 v19, v25, v23, v26
	v_mad_i32_i24 v7, v7, v22, v18
	v_add3_u32 v13, v19, v7, v13
	s_andn2_b64 exec, exec, s[6:7]
	s_cbranch_execnz .LBB62_25
; %bb.26:
	s_or_b64 exec, exec, s[6:7]
.LBB62_27:
	s_or_b64 exec, exec, s[2:3]
.LBB62_28:
	s_or_b64 exec, exec, s[14:15]
	s_cbranch_execz .LBB62_30
	s_branch .LBB62_41
.LBB62_29:
                                        ; implicit-def: $vgpr10
                                        ; implicit-def: $vgpr11
                                        ; implicit-def: $vgpr12
                                        ; implicit-def: $vgpr13
.LBB62_30:
	v_mov_b32_e32 v10, 0
	v_mov_b32_e32 v11, 0
	;; [unrolled: 1-line block ×4, first 2 shown]
	s_and_saveexec_b64 s[8:9], s[0:1]
	s_cbranch_execz .LBB62_40
; %bb.31:
	v_add_u32_e32 v1, v14, v5
	v_subrev_u32_e32 v1, s16, v1
	v_add_u32_e32 v1, 16, v1
	v_max_i32_e32 v1, v1, v15
	v_not_b32_e32 v6, v14
	v_add3_u32 v1, v1, s16, v6
	v_sub_u32_e32 v1, v1, v5
	v_lshrrev_b32_e32 v6, 4, v1
	v_add_u32_e32 v6, 1, v6
	v_cmp_lt_u32_e32 vcc, 47, v1
	v_mov_b32_e32 v13, 0
	v_mov_b32_e32 v12, 0
	;; [unrolled: 1-line block ×4, first 2 shown]
	s_and_saveexec_b64 s[14:15], vcc
	s_cbranch_execz .LBB62_35
; %bb.32:
	v_and_b32_e32 v7, 0x1ffffffc, v6
	s_mov_b64 s[18:19], 0
	v_mov_b32_e32 v10, 0
	v_mov_b32_e32 v8, s13
	s_waitcnt lgkmcnt(0)
	v_mov_b32_e32 v9, s11
	s_mov_b32 s20, 0xc0c0400
	s_mov_b32 s21, 0x4000c0c
	;; [unrolled: 1-line block ×8, first 2 shown]
	v_mov_b32_e32 v11, 0
	v_mov_b32_e32 v12, 0
	;; [unrolled: 1-line block ×3, first 2 shown]
.LBB62_33:                              ; =>This Inner Loop Header: Depth=1
	v_ashrrev_i32_e32 v1, 31, v0
	v_lshlrev_b64 v[14:15], 2, v[0:1]
	v_add_co_u32_e32 v30, vcc, s12, v14
	v_addc_co_u32_e32 v31, vcc, v8, v15, vcc
	global_load_dword v1, v[30:31], off
	global_load_dword v32, v[30:31], off offset:64
	global_load_dword v33, v[30:31], off offset:128
	global_load_dword v34, v[30:31], off offset:192
	global_load_dwordx4 v[14:17], v[2:3], off
	global_load_dwordx4 v[18:21], v[2:3], off offset:256
	global_load_dwordx4 v[22:25], v[2:3], off offset:512
	;; [unrolled: 1-line block ×3, first 2 shown]
	v_add_u32_e32 v7, -4, v7
	v_add_u32_e32 v0, 64, v0
	s_waitcnt vmcnt(7)
	v_subrev_u32_e32 v1, s16, v1
	s_waitcnt vmcnt(6)
	v_subrev_u32_e32 v30, s16, v32
	s_waitcnt vmcnt(5)
	v_subrev_u32_e32 v31, s16, v33
	s_waitcnt vmcnt(4)
	v_subrev_u32_e32 v32, s16, v34
	v_lshlrev_b32_e32 v1, 2, v1
	v_lshlrev_b32_e32 v30, 2, v30
	;; [unrolled: 1-line block ×4, first 2 shown]
	v_ashrrev_i32_e32 v35, 31, v1
	v_add_co_u32_e64 v36, s[6:7], s10, v1
	v_ashrrev_i32_e32 v38, 31, v30
	v_add_co_u32_e32 v30, vcc, s10, v30
	v_ashrrev_i32_e32 v39, 31, v31
	v_add_co_u32_e64 v32, s[0:1], s10, v31
	v_ashrrev_i32_e32 v40, 31, v33
	v_add_co_u32_e64 v34, s[2:3], s10, v33
	v_addc_co_u32_e64 v37, s[6:7], v9, v35, s[6:7]
	v_addc_co_u32_e32 v31, vcc, v9, v38, vcc
	v_addc_co_u32_e64 v33, vcc, v9, v39, s[0:1]
	v_addc_co_u32_e64 v35, vcc, v9, v40, s[2:3]
	global_load_dword v1, v[36:37], off
	global_load_dword v38, v[30:31], off
	global_load_dword v39, v[32:33], off
	global_load_dword v40, v[34:35], off
	s_waitcnt vmcnt(7)
	v_perm_b32 v30, v15, v14, s20
	v_perm_b32 v31, v17, v16, s21
	v_perm_b32 v32, v15, v14, s23
	v_perm_b32 v33, v17, v16, s24
	v_perm_b32 v34, v15, v14, s25
	v_perm_b32 v35, v17, v16, s26
	v_perm_b32 v14, v15, v14, s27
	v_perm_b32 v15, v17, v16, s28
	s_waitcnt vmcnt(6)
	v_perm_b32 v16, v19, v18, s20
	v_perm_b32 v17, v21, v20, s21
	v_perm_b32 v36, v19, v18, s23
	v_perm_b32 v37, v21, v20, s24
	v_perm_b32 v41, v19, v18, s25
	v_perm_b32 v42, v21, v20, s26
	v_perm_b32 v18, v19, v18, s27
	v_perm_b32 v19, v21, v20, s28
	s_waitcnt vmcnt(5)
	v_perm_b32 v20, v23, v22, s20
	v_perm_b32 v21, v25, v24, s21
	v_perm_b32 v43, v23, v22, s23
	v_perm_b32 v44, v25, v24, s24
	v_perm_b32 v45, v23, v22, s25
	v_perm_b32 v46, v25, v24, s26
	v_perm_b32 v22, v23, v22, s27
	v_perm_b32 v23, v25, v24, s28
	s_waitcnt vmcnt(4)
	v_perm_b32 v24, v27, v26, s20
	v_perm_b32 v25, v29, v28, s21
	v_perm_b32 v47, v27, v26, s23
	v_perm_b32 v48, v29, v28, s24
	v_perm_b32 v49, v27, v26, s25
	v_perm_b32 v50, v29, v28, s26
	v_perm_b32 v26, v27, v26, s27
	v_perm_b32 v27, v29, v28, s28
	v_or_b32_e32 v28, v31, v30
	v_or_b32_e32 v29, v33, v32
	;; [unrolled: 1-line block ×4, first 2 shown]
	v_add_co_u32_e32 v2, vcc, 0x400, v2
	v_or_b32_e32 v15, v17, v16
	v_or_b32_e32 v16, v37, v36
	;; [unrolled: 1-line block ×4, first 2 shown]
	v_addc_co_u32_e32 v3, vcc, 0, v3, vcc
	v_or_b32_e32 v19, v21, v20
	v_or_b32_e32 v20, v44, v43
	;; [unrolled: 1-line block ×4, first 2 shown]
	v_cmp_eq_u32_e32 vcc, 0, v7
	v_or_b32_e32 v23, v25, v24
	v_or_b32_e32 v24, v48, v47
	;; [unrolled: 1-line block ×4, first 2 shown]
	s_or_b64 s[18:19], vcc, s[18:19]
	s_waitcnt vmcnt(3)
	v_dot4c_i32_i8_e32 v13, v1, v28
	v_dot4c_i32_i8_e32 v12, v29, v1
	v_dot4c_i32_i8_e32 v11, v30, v1
	v_dot4c_i32_i8_e32 v10, v14, v1
	s_waitcnt vmcnt(2)
	v_dot4c_i32_i8_e32 v13, v38, v15
	v_dot4c_i32_i8_e32 v12, v16, v38
	v_dot4c_i32_i8_e32 v11, v17, v38
	v_dot4c_i32_i8_e32 v10, v18, v38
	;; [unrolled: 5-line block ×4, first 2 shown]
	s_andn2_b64 exec, exec, s[18:19]
	s_cbranch_execnz .LBB62_33
; %bb.34:
	s_or_b64 exec, exec, s[18:19]
.LBB62_35:
	s_or_b64 exec, exec, s[14:15]
	v_and_b32_e32 v1, 3, v6
	v_cmp_ne_u32_e32 vcc, 0, v1
	s_and_saveexec_b64 s[0:1], vcc
	s_cbranch_execz .LBB62_39
; %bb.36:
	v_lshlrev_b32_e32 v6, 4, v1
	s_mov_b64 s[2:3], 0
	v_mov_b32_e32 v7, s13
	s_waitcnt lgkmcnt(0)
	v_mov_b32_e32 v8, s11
	s_mov_b32 s6, 0xc0c0400
	s_mov_b32 s7, 0x4000c0c
	;; [unrolled: 1-line block ×8, first 2 shown]
.LBB62_37:                              ; =>This Inner Loop Header: Depth=1
	v_ashrrev_i32_e32 v1, 31, v0
	v_lshlrev_b64 v[14:15], 2, v[0:1]
	v_add_co_u32_e32 v18, vcc, s12, v14
	v_addc_co_u32_e32 v19, vcc, v7, v15, vcc
	global_load_dword v1, v[18:19], off
	global_load_dwordx4 v[14:17], v[2:3], off
	v_add_u32_e32 v6, -16, v6
	v_add_u32_e32 v0, 16, v0
	s_waitcnt vmcnt(1)
	v_subrev_u32_e32 v1, s16, v1
	v_lshlrev_b32_e32 v1, 2, v1
	v_ashrrev_i32_e32 v9, 31, v1
	v_add_co_u32_e32 v18, vcc, s10, v1
	v_addc_co_u32_e32 v19, vcc, v8, v9, vcc
	global_load_dword v1, v[18:19], off
	v_add_co_u32_e32 v2, vcc, 0x100, v2
	v_addc_co_u32_e32 v3, vcc, 0, v3, vcc
	s_waitcnt vmcnt(1)
	v_perm_b32 v9, v15, v14, s6
	v_perm_b32 v18, v17, v16, s7
	;; [unrolled: 1-line block ×8, first 2 shown]
	v_cmp_eq_u32_e32 vcc, 0, v6
	v_or_b32_e32 v9, v18, v9
	v_or_b32_e32 v16, v20, v19
	;; [unrolled: 1-line block ×4, first 2 shown]
	s_or_b64 s[2:3], vcc, s[2:3]
	s_waitcnt vmcnt(0)
	v_dot4c_i32_i8_e32 v13, v1, v9
	v_dot4c_i32_i8_e32 v12, v16, v1
	v_dot4c_i32_i8_e32 v11, v17, v1
	v_dot4c_i32_i8_e32 v10, v14, v1
	s_andn2_b64 exec, exec, s[2:3]
	s_cbranch_execnz .LBB62_37
; %bb.38:
	s_or_b64 exec, exec, s[2:3]
.LBB62_39:
	s_or_b64 exec, exec, s[0:1]
.LBB62_40:
	s_or_b64 exec, exec, s[8:9]
.LBB62_41:
	v_mov_b32_dpp v0, v13 row_shr:1 row_mask:0xf bank_mask:0xf
	v_mov_b32_dpp v2, v12 row_shr:1 row_mask:0xf bank_mask:0xf
	v_mov_b32_dpp v6, v11 row_shr:1 row_mask:0xf bank_mask:0xf
	v_mov_b32_dpp v8, v10 row_shr:1 row_mask:0xf bank_mask:0xf
	v_add_u32_e32 v0, v0, v13
	v_add_u32_e32 v2, v2, v12
	v_add_u32_e32 v6, v6, v11
	v_add_u32_e32 v8, v8, v10
	v_mov_b32_dpp v1, v0 row_shr:2 row_mask:0xf bank_mask:0xf
	v_mov_b32_dpp v3, v2 row_shr:2 row_mask:0xf bank_mask:0xf
	v_mov_b32_dpp v7, v6 row_shr:2 row_mask:0xf bank_mask:0xf
	v_mov_b32_dpp v9, v8 row_shr:2 row_mask:0xf bank_mask:0xf
	v_add_u32_e32 v0, v0, v1
	v_add_u32_e32 v2, v2, v3
	v_add_u32_e32 v6, v6, v7
	v_add_u32_e32 v8, v8, v9
	;; [unrolled: 8-line block ×3, first 2 shown]
	v_mov_b32_dpp v1, v0 row_shr:8 row_mask:0xf bank_mask:0xc
	v_mov_b32_dpp v3, v2 row_shr:8 row_mask:0xf bank_mask:0xc
	;; [unrolled: 1-line block ×4, first 2 shown]
	v_cmp_eq_u32_e32 vcc, 15, v5
	s_and_b64 exec, exec, vcc
	s_cbranch_execz .LBB62_14
; %bb.42:
	s_load_dwordx2 s[0:1], s[4:5], 0x50
	v_add_u32_e32 v0, v0, v1
	v_add_u32_e32 v1, v2, v3
	;; [unrolled: 1-line block ×4, first 2 shown]
	s_cmp_eq_u32 s22, 0
	v_mul_lo_u32 v0, v0, s17
	v_mul_lo_u32 v8, v1, s17
	v_mul_lo_u32 v2, v2, s17
	v_mul_lo_u32 v6, v3, s17
	v_lshlrev_b32_e32 v4, 2, v4
	s_cbranch_scc1 .LBB62_44
; %bb.43:
	v_ashrrev_i32_e32 v5, 31, v4
	v_lshlrev_b64 v[10:11], 2, v[4:5]
	s_waitcnt lgkmcnt(0)
	v_mov_b32_e32 v1, s1
	v_add_co_u32_e32 v18, vcc, s0, v10
	v_addc_co_u32_e32 v19, vcc, v1, v11, vcc
	global_load_dwordx4 v[10:13], v[18:19], off
	s_waitcnt vmcnt(0)
	v_mad_u64_u32 v[14:15], s[2:3], v10, s22, v[0:1]
	v_mad_u64_u32 v[10:11], s[2:3], v11, s22, v[8:9]
	;; [unrolled: 1-line block ×4, first 2 shown]
	v_mov_b32_e32 v15, v10
	v_mov_b32_e32 v17, v12
	global_store_dwordx4 v[18:19], v[14:17], off
	s_cbranch_execnz .LBB62_14
	s_branch .LBB62_45
.LBB62_44:
.LBB62_45:
	v_ashrrev_i32_e32 v5, 31, v4
	v_lshlrev_b64 v[4:5], 2, v[4:5]
	s_waitcnt lgkmcnt(0)
	v_mov_b32_e32 v1, s1
	v_add_co_u32_e32 v4, vcc, s0, v4
	v_addc_co_u32_e32 v5, vcc, v1, v5, vcc
	v_mov_b32_e32 v1, v8
	v_mov_b32_e32 v3, v6
	global_store_dwordx4 v[4:5], v[0:3], off
	s_endpgm
	.section	.rodata,"a",@progbits
	.p2align	6, 0x0
	.amdhsa_kernel _ZN9rocsparseL18bsrxmvn_4x4_kernelILj128ELj16EiiiaaiEEvT3_20rocsparse_direction_NS_24const_host_device_scalarIT1_EES1_PKS1_PKT2_SA_S7_PKT4_PKT5_S5_PT6_21rocsparse_index_base_b
		.amdhsa_group_segment_fixed_size 0
		.amdhsa_private_segment_fixed_size 0
		.amdhsa_kernarg_size 96
		.amdhsa_user_sgpr_count 6
		.amdhsa_user_sgpr_private_segment_buffer 1
		.amdhsa_user_sgpr_dispatch_ptr 0
		.amdhsa_user_sgpr_queue_ptr 0
		.amdhsa_user_sgpr_kernarg_segment_ptr 1
		.amdhsa_user_sgpr_dispatch_id 0
		.amdhsa_user_sgpr_flat_scratch_init 0
		.amdhsa_user_sgpr_kernarg_preload_length 0
		.amdhsa_user_sgpr_kernarg_preload_offset 0
		.amdhsa_user_sgpr_private_segment_size 0
		.amdhsa_uses_dynamic_stack 0
		.amdhsa_system_sgpr_private_segment_wavefront_offset 0
		.amdhsa_system_sgpr_workgroup_id_x 1
		.amdhsa_system_sgpr_workgroup_id_y 0
		.amdhsa_system_sgpr_workgroup_id_z 0
		.amdhsa_system_sgpr_workgroup_info 0
		.amdhsa_system_vgpr_workitem_id 0
		.amdhsa_next_free_vgpr 54
		.amdhsa_next_free_sgpr 29
		.amdhsa_accum_offset 56
		.amdhsa_reserve_vcc 1
		.amdhsa_reserve_flat_scratch 0
		.amdhsa_float_round_mode_32 0
		.amdhsa_float_round_mode_16_64 0
		.amdhsa_float_denorm_mode_32 3
		.amdhsa_float_denorm_mode_16_64 3
		.amdhsa_dx10_clamp 1
		.amdhsa_ieee_mode 1
		.amdhsa_fp16_overflow 0
		.amdhsa_tg_split 0
		.amdhsa_exception_fp_ieee_invalid_op 0
		.amdhsa_exception_fp_denorm_src 0
		.amdhsa_exception_fp_ieee_div_zero 0
		.amdhsa_exception_fp_ieee_overflow 0
		.amdhsa_exception_fp_ieee_underflow 0
		.amdhsa_exception_fp_ieee_inexact 0
		.amdhsa_exception_int_div_zero 0
	.end_amdhsa_kernel
	.section	.text._ZN9rocsparseL18bsrxmvn_4x4_kernelILj128ELj16EiiiaaiEEvT3_20rocsparse_direction_NS_24const_host_device_scalarIT1_EES1_PKS1_PKT2_SA_S7_PKT4_PKT5_S5_PT6_21rocsparse_index_base_b,"axG",@progbits,_ZN9rocsparseL18bsrxmvn_4x4_kernelILj128ELj16EiiiaaiEEvT3_20rocsparse_direction_NS_24const_host_device_scalarIT1_EES1_PKS1_PKT2_SA_S7_PKT4_PKT5_S5_PT6_21rocsparse_index_base_b,comdat
.Lfunc_end62:
	.size	_ZN9rocsparseL18bsrxmvn_4x4_kernelILj128ELj16EiiiaaiEEvT3_20rocsparse_direction_NS_24const_host_device_scalarIT1_EES1_PKS1_PKT2_SA_S7_PKT4_PKT5_S5_PT6_21rocsparse_index_base_b, .Lfunc_end62-_ZN9rocsparseL18bsrxmvn_4x4_kernelILj128ELj16EiiiaaiEEvT3_20rocsparse_direction_NS_24const_host_device_scalarIT1_EES1_PKS1_PKT2_SA_S7_PKT4_PKT5_S5_PT6_21rocsparse_index_base_b
                                        ; -- End function
	.section	.AMDGPU.csdata,"",@progbits
; Kernel info:
; codeLenInByte = 3200
; NumSgprs: 33
; NumVgprs: 54
; NumAgprs: 0
; TotalNumVgprs: 54
; ScratchSize: 0
; MemoryBound: 0
; FloatMode: 240
; IeeeMode: 1
; LDSByteSize: 0 bytes/workgroup (compile time only)
; SGPRBlocks: 4
; VGPRBlocks: 6
; NumSGPRsForWavesPerEU: 33
; NumVGPRsForWavesPerEU: 54
; AccumOffset: 56
; Occupancy: 8
; WaveLimiterHint : 1
; COMPUTE_PGM_RSRC2:SCRATCH_EN: 0
; COMPUTE_PGM_RSRC2:USER_SGPR: 6
; COMPUTE_PGM_RSRC2:TRAP_HANDLER: 0
; COMPUTE_PGM_RSRC2:TGID_X_EN: 1
; COMPUTE_PGM_RSRC2:TGID_Y_EN: 0
; COMPUTE_PGM_RSRC2:TGID_Z_EN: 0
; COMPUTE_PGM_RSRC2:TIDIG_COMP_CNT: 0
; COMPUTE_PGM_RSRC3_GFX90A:ACCUM_OFFSET: 13
; COMPUTE_PGM_RSRC3_GFX90A:TG_SPLIT: 0
	.section	.text._ZN9rocsparseL18bsrxmvn_4x4_kernelILj128ELj32EiiiaaiEEvT3_20rocsparse_direction_NS_24const_host_device_scalarIT1_EES1_PKS1_PKT2_SA_S7_PKT4_PKT5_S5_PT6_21rocsparse_index_base_b,"axG",@progbits,_ZN9rocsparseL18bsrxmvn_4x4_kernelILj128ELj32EiiiaaiEEvT3_20rocsparse_direction_NS_24const_host_device_scalarIT1_EES1_PKS1_PKT2_SA_S7_PKT4_PKT5_S5_PT6_21rocsparse_index_base_b,comdat
	.globl	_ZN9rocsparseL18bsrxmvn_4x4_kernelILj128ELj32EiiiaaiEEvT3_20rocsparse_direction_NS_24const_host_device_scalarIT1_EES1_PKS1_PKT2_SA_S7_PKT4_PKT5_S5_PT6_21rocsparse_index_base_b ; -- Begin function _ZN9rocsparseL18bsrxmvn_4x4_kernelILj128ELj32EiiiaaiEEvT3_20rocsparse_direction_NS_24const_host_device_scalarIT1_EES1_PKS1_PKT2_SA_S7_PKT4_PKT5_S5_PT6_21rocsparse_index_base_b
	.p2align	8
	.type	_ZN9rocsparseL18bsrxmvn_4x4_kernelILj128ELj32EiiiaaiEEvT3_20rocsparse_direction_NS_24const_host_device_scalarIT1_EES1_PKS1_PKT2_SA_S7_PKT4_PKT5_S5_PT6_21rocsparse_index_base_b,@function
_ZN9rocsparseL18bsrxmvn_4x4_kernelILj128ELj32EiiiaaiEEvT3_20rocsparse_direction_NS_24const_host_device_scalarIT1_EES1_PKS1_PKT2_SA_S7_PKT4_PKT5_S5_PT6_21rocsparse_index_base_b: ; @_ZN9rocsparseL18bsrxmvn_4x4_kernelILj128ELj32EiiiaaiEEvT3_20rocsparse_direction_NS_24const_host_device_scalarIT1_EES1_PKS1_PKT2_SA_S7_PKT4_PKT5_S5_PT6_21rocsparse_index_base_b
; %bb.0:
	s_load_dwordx2 s[16:17], s[4:5], 0x58
	s_load_dwordx2 s[8:9], s[4:5], 0x8
	s_mov_b64 s[10:11], -1
	s_waitcnt lgkmcnt(0)
	s_bitcmp1_b32 s17, 0
	s_cselect_b64 s[0:1], -1, 0
	s_xor_b64 s[2:3], s[0:1], -1
	s_and_b64 vcc, exec, s[2:3]
                                        ; implicit-def: $sgpr17
	s_cbranch_vccnz .LBB63_4
; %bb.1:
	s_load_dwordx2 s[0:1], s[4:5], 0x48
	s_andn2_b64 vcc, exec, s[10:11]
	s_cbranch_vccz .LBB63_5
.LBB63_2:
	s_and_b64 vcc, exec, s[2:3]
	s_cbranch_vccz .LBB63_6
.LBB63_3:
	s_waitcnt lgkmcnt(0)
	s_load_dword s22, s[0:1], 0x0
	s_cbranch_execz .LBB63_7
	s_branch .LBB63_8
.LBB63_4:
	s_load_dword s17, s[8:9], 0x0
	s_load_dwordx2 s[0:1], s[4:5], 0x48
	s_cbranch_execnz .LBB63_2
.LBB63_5:
	s_waitcnt lgkmcnt(0)
	s_mov_b32 s17, s8
	s_and_b64 vcc, exec, s[2:3]
	s_cbranch_vccnz .LBB63_3
.LBB63_6:
                                        ; implicit-def: $sgpr22
.LBB63_7:
	s_waitcnt lgkmcnt(0)
	s_mov_b32 s22, s0
.LBB63_8:
	s_waitcnt lgkmcnt(0)
	s_cmp_lg_u32 s17, 0
	s_cselect_b64 s[0:1], -1, 0
	s_cmp_lg_u32 s22, 1
	s_cselect_b64 s[2:3], -1, 0
	s_or_b64 s[0:1], s[0:1], s[2:3]
	s_andn2_b64 vcc, exec, s[0:1]
	s_cbranch_vccnz .LBB63_14
; %bb.9:
	s_load_dwordx2 s[8:9], s[4:5], 0x18
	s_load_dwordx2 s[0:1], s[4:5], 0x0
	v_lshrrev_b32_e32 v1, 5, v0
	v_lshl_or_b32 v4, s6, 2, v1
	s_mov_b64 s[2:3], 0
	s_waitcnt lgkmcnt(0)
	s_cmp_lg_u64 s[8:9], 0
	s_cbranch_scc0 .LBB63_15
; %bb.10:
	s_load_dword s6, s[4:5], 0x10
                                        ; implicit-def: $vgpr1
	s_waitcnt lgkmcnt(0)
	v_cmp_gt_i32_e32 vcc, s6, v4
	s_and_saveexec_b64 s[6:7], vcc
	s_xor_b64 s[6:7], exec, s[6:7]
	s_cbranch_execz .LBB63_12
; %bb.11:
	v_ashrrev_i32_e32 v5, 31, v4
	v_lshlrev_b64 v[2:3], 2, v[4:5]
	v_mov_b32_e32 v1, s9
	v_add_co_u32_e32 v2, vcc, s8, v2
	v_addc_co_u32_e32 v3, vcc, v1, v3, vcc
	global_load_dword v1, v[2:3], off
	s_mov_b64 s[2:3], exec
	s_waitcnt vmcnt(0)
	v_subrev_u32_e32 v1, s16, v1
.LBB63_12:
	s_or_b64 exec, exec, s[6:7]
	s_branch .LBB63_16
.LBB63_13:
	v_cmp_gt_i32_e32 vcc, s0, v4
	s_andn2_b64 s[2:3], s[2:3], exec
	s_and_b64 s[6:7], vcc, exec
	s_or_b64 s[2:3], s[2:3], s[6:7]
	s_and_saveexec_b64 s[6:7], s[2:3]
	s_cbranch_execnz .LBB63_17
.LBB63_14:
	s_endpgm
.LBB63_15:
                                        ; implicit-def: $vgpr1
	s_cbranch_execnz .LBB63_13
.LBB63_16:
	v_mov_b32_e32 v4, v1
	s_and_saveexec_b64 s[6:7], s[2:3]
	s_cbranch_execz .LBB63_14
.LBB63_17:
	s_load_dwordx8 s[8:15], s[4:5], 0x20
	v_ashrrev_i32_e32 v5, 31, v4
	v_lshlrev_b64 v[2:3], 2, v[4:5]
	s_waitcnt lgkmcnt(0)
	v_mov_b32_e32 v1, s9
	v_add_co_u32_e32 v6, vcc, s8, v2
	v_addc_co_u32_e32 v7, vcc, v1, v3, vcc
	v_add_co_u32_e32 v1, vcc, 4, v6
	v_addc_co_u32_e32 v5, vcc, 0, v7, vcc
	global_load_dword v14, v[6:7], off
	v_mov_b32_e32 v6, s11
	v_add_co_u32_e32 v2, vcc, s10, v2
	s_cmp_eq_u64 s[10:11], 0
	v_addc_co_u32_e32 v3, vcc, v6, v3, vcc
	s_cselect_b64 vcc, -1, 0
	v_cndmask_b32_e32 v3, v3, v5, vcc
	v_cndmask_b32_e32 v2, v2, v1, vcc
	global_load_dword v1, v[2:3], off
	v_and_b32_e32 v5, 31, v0
	s_load_dwordx2 s[10:11], s[4:5], 0x40
	v_mov_b32_e32 v6, s15
	s_cmp_eq_u32 s1, 1
	s_waitcnt vmcnt(1)
	v_subrev_u32_e32 v0, s16, v14
	v_add_u32_e32 v0, v0, v5
	s_waitcnt vmcnt(0)
	v_subrev_u32_e32 v15, s16, v1
	v_ashrrev_i32_e32 v1, 31, v0
	v_lshlrev_b64 v[2:3], 4, v[0:1]
	v_add_co_u32_e32 v2, vcc, s14, v2
	v_addc_co_u32_e32 v3, vcc, v6, v3, vcc
	v_cmp_lt_i32_e64 s[0:1], v0, v15
	s_cbranch_scc1 .LBB63_29
; %bb.18:
	v_mov_b32_e32 v10, 0
	v_mov_b32_e32 v11, 0
	;; [unrolled: 1-line block ×4, first 2 shown]
	s_and_saveexec_b64 s[14:15], s[0:1]
	s_cbranch_execz .LBB63_28
; %bb.19:
	v_add_u32_e32 v1, v14, v5
	v_subrev_u32_e32 v1, s16, v1
	v_add_u32_e32 v1, 32, v1
	v_max_i32_e32 v1, v1, v15
	v_not_b32_e32 v6, v14
	v_add3_u32 v1, v1, s16, v6
	v_sub_u32_e32 v6, v1, v5
	v_lshrrev_b32_e32 v1, 5, v6
	s_movk_i32 s2, 0x5f
	v_add_u32_e32 v1, 1, v1
	v_cmp_lt_u32_e32 vcc, s2, v6
	v_mov_b32_e32 v13, 0
	v_mov_b32_e32 v12, 0
	v_mov_b32_e32 v11, 0
	v_mov_b32_e32 v10, 0
	v_mov_b32_e32 v6, v0
	v_pk_mov_b32 v[8:9], v[2:3], v[2:3] op_sel:[0,1]
	s_and_saveexec_b64 s[18:19], vcc
	s_cbranch_execz .LBB63_23
; %bb.20:
	v_and_b32_e32 v16, 0xffffffc, v1
	s_mov_b64 s[20:21], 0
	v_mov_b32_e32 v10, 0
	v_mov_b32_e32 v17, s13
	s_waitcnt lgkmcnt(0)
	v_mov_b32_e32 v18, s11
	v_pk_mov_b32 v[8:9], v[2:3], v[2:3] op_sel:[0,1]
	v_mov_b32_e32 v6, v0
	v_mov_b32_e32 v11, 0
	;; [unrolled: 1-line block ×4, first 2 shown]
.LBB63_21:                              ; =>This Inner Loop Header: Depth=1
	v_ashrrev_i32_e32 v7, 31, v6
	v_lshlrev_b64 v[20:21], 2, v[6:7]
	v_add_co_u32_e32 v36, vcc, s12, v20
	v_addc_co_u32_e32 v37, vcc, v17, v21, vcc
	global_load_dword v7, v[36:37], off
	global_load_dword v19, v[36:37], off offset:128
	global_load_dword v38, v[36:37], off offset:256
	;; [unrolled: 1-line block ×3, first 2 shown]
	global_load_dwordx4 v[20:23], v[8:9], off
	global_load_dwordx4 v[24:27], v[8:9], off offset:512
	global_load_dwordx4 v[28:31], v[8:9], off offset:1024
	;; [unrolled: 1-line block ×3, first 2 shown]
	v_add_u32_e32 v16, -4, v16
	v_add_u32_e32 v6, 0x80, v6
	s_waitcnt vmcnt(7)
	v_subrev_u32_e32 v7, s16, v7
	s_waitcnt vmcnt(6)
	v_subrev_u32_e32 v19, s16, v19
	s_waitcnt vmcnt(5)
	v_subrev_u32_e32 v36, s16, v38
	s_waitcnt vmcnt(4)
	v_subrev_u32_e32 v37, s16, v39
	v_lshlrev_b32_e32 v7, 2, v7
	v_lshlrev_b32_e32 v19, 2, v19
	;; [unrolled: 1-line block ×4, first 2 shown]
	v_ashrrev_i32_e32 v39, 31, v7
	v_add_co_u32_e64 v42, s[8:9], s10, v7
	v_ashrrev_i32_e32 v41, 31, v19
	v_add_co_u32_e32 v36, vcc, s10, v19
	v_ashrrev_i32_e32 v19, 31, v38
	v_add_co_u32_e64 v38, s[2:3], s10, v38
	v_ashrrev_i32_e32 v44, 31, v37
	v_add_co_u32_e64 v40, s[6:7], s10, v37
	v_addc_co_u32_e64 v43, s[8:9], v18, v39, s[8:9]
	v_addc_co_u32_e32 v37, vcc, v18, v41, vcc
	v_addc_co_u32_e64 v39, vcc, v18, v19, s[2:3]
	v_addc_co_u32_e64 v41, vcc, v18, v44, s[6:7]
	global_load_dword v7, v[42:43], off
	global_load_dword v19, v[36:37], off
	;; [unrolled: 1-line block ×4, first 2 shown]
	s_waitcnt vmcnt(7)
	v_lshrrev_b16_e32 v36, 8, v20
	v_bfe_i32 v37, v20, 0, 8
	s_waitcnt vmcnt(6)
	v_lshrrev_b16_e32 v38, 8, v24
	v_bfe_i32 v36, v36, 0, 8
	v_bfe_i32 v39, v24, 0, 8
	s_waitcnt vmcnt(5)
	v_lshrrev_b16_e32 v40, 8, v28
	v_bfe_i32 v38, v38, 0, 8
	v_add_co_u32_e32 v8, vcc, 0x800, v8
	v_bfe_i32 v41, v28, 0, 8
	s_waitcnt vmcnt(4)
	v_lshrrev_b16_e32 v42, 8, v32
	v_bfe_i32 v40, v40, 0, 8
	v_addc_co_u32_e32 v9, vcc, 0, v9, vcc
	v_bfe_i32 v43, v32, 0, 8
	v_bfe_i32 v42, v42, 0, 8
	v_cmp_eq_u32_e32 vcc, 0, v16
	s_or_b64 s[20:21], vcc, s[20:21]
	s_waitcnt vmcnt(3)
	v_lshrrev_b16_e32 v46, 8, v7
	v_bfe_i32 v47, v7, 0, 8
	v_mul_i32_i24_sdwa v48, sext(v7), sext(v20) dst_sel:DWORD dst_unused:UNUSED_PAD src0_sel:BYTE_2 src1_sel:BYTE_2
	v_mul_i32_i24_sdwa v20, sext(v7), sext(v20) dst_sel:DWORD dst_unused:UNUSED_PAD src0_sel:BYTE_3 src1_sel:BYTE_3
	v_dot4c_i32_i8_e32 v12, v7, v21
	v_dot4c_i32_i8_e32 v11, v7, v22
	v_dot4c_i32_i8_e32 v10, v7, v23
	s_waitcnt vmcnt(2)
	v_lshrrev_b16_e32 v7, 8, v19
	v_bfe_i32 v46, v46, 0, 8
	v_bfe_i32 v21, v19, 0, 8
	v_mul_i32_i24_sdwa v22, sext(v19), sext(v24) dst_sel:DWORD dst_unused:UNUSED_PAD src0_sel:BYTE_2 src1_sel:BYTE_2
	v_mul_i32_i24_sdwa v23, sext(v19), sext(v24) dst_sel:DWORD dst_unused:UNUSED_PAD src0_sel:BYTE_3 src1_sel:BYTE_3
	s_waitcnt vmcnt(1)
	v_lshrrev_b16_e32 v24, 8, v44
	v_mad_i32_i24 v37, v47, v37, v48
	v_bfe_i32 v7, v7, 0, 8
	v_mad_i32_i24 v20, v46, v36, v20
	v_bfe_i32 v49, v44, 0, 8
	v_mul_i32_i24_sdwa v50, sext(v44), sext(v28) dst_sel:DWORD dst_unused:UNUSED_PAD src0_sel:BYTE_2 src1_sel:BYTE_2
	v_mul_i32_i24_sdwa v28, sext(v44), sext(v28) dst_sel:DWORD dst_unused:UNUSED_PAD src0_sel:BYTE_3 src1_sel:BYTE_3
	s_waitcnt vmcnt(0)
	v_lshrrev_b16_e32 v51, 8, v45
	v_mad_i32_i24 v21, v21, v39, v22
	v_dot4c_i32_i8_e32 v12, v19, v25
	v_dot4c_i32_i8_e32 v11, v19, v26
	;; [unrolled: 1-line block ×3, first 2 shown]
	v_bfe_i32 v19, v24, 0, 8
	v_mad_i32_i24 v7, v7, v38, v23
	v_add3_u32 v13, v37, v20, v13
	v_bfe_i32 v52, v45, 0, 8
	v_mul_i32_i24_sdwa v53, sext(v45), sext(v32) dst_sel:DWORD dst_unused:UNUSED_PAD src0_sel:BYTE_2 src1_sel:BYTE_2
	v_mul_i32_i24_sdwa v32, sext(v45), sext(v32) dst_sel:DWORD dst_unused:UNUSED_PAD src0_sel:BYTE_3 src1_sel:BYTE_3
	v_mad_i32_i24 v22, v49, v41, v50
	v_bfe_i32 v24, v51, 0, 8
	v_mad_i32_i24 v19, v19, v40, v28
	v_add3_u32 v7, v21, v7, v13
	v_mad_i32_i24 v25, v52, v43, v53
	v_dot4c_i32_i8_e32 v12, v44, v29
	v_dot4c_i32_i8_e32 v11, v44, v30
	;; [unrolled: 1-line block ×3, first 2 shown]
	v_mad_i32_i24 v23, v24, v42, v32
	v_add3_u32 v7, v22, v19, v7
	v_dot4c_i32_i8_e32 v12, v45, v33
	v_dot4c_i32_i8_e32 v11, v45, v34
	v_dot4c_i32_i8_e32 v10, v45, v35
	v_add3_u32 v13, v25, v23, v7
	s_andn2_b64 exec, exec, s[20:21]
	s_cbranch_execnz .LBB63_21
; %bb.22:
	s_or_b64 exec, exec, s[20:21]
.LBB63_23:
	s_or_b64 exec, exec, s[18:19]
	v_and_b32_e32 v1, 3, v1
	v_cmp_ne_u32_e32 vcc, 0, v1
	s_and_saveexec_b64 s[2:3], vcc
	s_cbranch_execz .LBB63_27
; %bb.24:
	v_lshlrev_b32_e32 v1, 4, v1
	s_mov_b64 s[6:7], 0
	v_mov_b32_e32 v16, s13
	s_waitcnt lgkmcnt(0)
	v_mov_b32_e32 v17, s11
.LBB63_25:                              ; =>This Inner Loop Header: Depth=1
	v_ashrrev_i32_e32 v7, 31, v6
	v_lshlrev_b64 v[18:19], 2, v[6:7]
	v_add_co_u32_e32 v22, vcc, s12, v18
	v_addc_co_u32_e32 v23, vcc, v16, v19, vcc
	global_load_dword v7, v[22:23], off
	global_load_dwordx4 v[18:21], v[8:9], off
	v_add_u32_e32 v1, -16, v1
	v_add_u32_e32 v6, 32, v6
	s_waitcnt vmcnt(1)
	v_subrev_u32_e32 v7, s16, v7
	v_lshlrev_b32_e32 v7, 2, v7
	v_ashrrev_i32_e32 v23, 31, v7
	v_add_co_u32_e32 v22, vcc, s10, v7
	v_addc_co_u32_e32 v23, vcc, v17, v23, vcc
	global_load_dword v7, v[22:23], off
	v_add_co_u32_e32 v8, vcc, 0x200, v8
	s_waitcnt vmcnt(1)
	v_lshrrev_b16_e32 v22, 8, v18
	v_addc_co_u32_e32 v9, vcc, 0, v9, vcc
	v_bfe_i32 v23, v18, 0, 8
	v_bfe_i32 v22, v22, 0, 8
	v_cmp_eq_u32_e32 vcc, 0, v1
	s_or_b64 s[6:7], vcc, s[6:7]
	s_waitcnt vmcnt(0)
	v_lshrrev_b16_e32 v24, 8, v7
	v_bfe_i32 v25, v7, 0, 8
	v_mul_i32_i24_sdwa v26, sext(v7), sext(v18) dst_sel:DWORD dst_unused:UNUSED_PAD src0_sel:BYTE_2 src1_sel:BYTE_2
	v_mul_i32_i24_sdwa v18, sext(v7), sext(v18) dst_sel:DWORD dst_unused:UNUSED_PAD src0_sel:BYTE_3 src1_sel:BYTE_3
	v_dot4c_i32_i8_e32 v12, v7, v19
	v_dot4c_i32_i8_e32 v11, v7, v20
	;; [unrolled: 1-line block ×3, first 2 shown]
	v_bfe_i32 v7, v24, 0, 8
	v_mad_i32_i24 v19, v25, v23, v26
	v_mad_i32_i24 v7, v7, v22, v18
	v_add3_u32 v13, v19, v7, v13
	s_andn2_b64 exec, exec, s[6:7]
	s_cbranch_execnz .LBB63_25
; %bb.26:
	s_or_b64 exec, exec, s[6:7]
.LBB63_27:
	s_or_b64 exec, exec, s[2:3]
.LBB63_28:
	s_or_b64 exec, exec, s[14:15]
	s_cbranch_execz .LBB63_30
	s_branch .LBB63_41
.LBB63_29:
                                        ; implicit-def: $vgpr10
                                        ; implicit-def: $vgpr11
                                        ; implicit-def: $vgpr12
                                        ; implicit-def: $vgpr13
.LBB63_30:
	v_mov_b32_e32 v10, 0
	v_mov_b32_e32 v11, 0
	;; [unrolled: 1-line block ×4, first 2 shown]
	s_and_saveexec_b64 s[8:9], s[0:1]
	s_cbranch_execz .LBB63_40
; %bb.31:
	v_add_u32_e32 v1, v14, v5
	v_subrev_u32_e32 v1, s16, v1
	v_add_u32_e32 v1, 32, v1
	v_max_i32_e32 v1, v1, v15
	v_not_b32_e32 v6, v14
	v_add3_u32 v1, v1, s16, v6
	v_sub_u32_e32 v1, v1, v5
	v_lshrrev_b32_e32 v6, 5, v1
	s_movk_i32 s0, 0x5f
	v_add_u32_e32 v6, 1, v6
	v_cmp_lt_u32_e32 vcc, s0, v1
	v_mov_b32_e32 v13, 0
	v_mov_b32_e32 v12, 0
	;; [unrolled: 1-line block ×4, first 2 shown]
	s_and_saveexec_b64 s[14:15], vcc
	s_cbranch_execz .LBB63_35
; %bb.32:
	v_and_b32_e32 v7, 0xffffffc, v6
	s_mov_b64 s[18:19], 0
	v_mov_b32_e32 v10, 0
	v_mov_b32_e32 v8, s13
	s_waitcnt lgkmcnt(0)
	v_mov_b32_e32 v9, s11
	s_mov_b32 s20, 0xc0c0400
	s_mov_b32 s21, 0x4000c0c
	;; [unrolled: 1-line block ×8, first 2 shown]
	v_mov_b32_e32 v11, 0
	v_mov_b32_e32 v12, 0
	;; [unrolled: 1-line block ×3, first 2 shown]
.LBB63_33:                              ; =>This Inner Loop Header: Depth=1
	v_ashrrev_i32_e32 v1, 31, v0
	v_lshlrev_b64 v[14:15], 2, v[0:1]
	v_add_co_u32_e32 v30, vcc, s12, v14
	v_addc_co_u32_e32 v31, vcc, v8, v15, vcc
	global_load_dword v1, v[30:31], off
	global_load_dword v32, v[30:31], off offset:128
	global_load_dword v33, v[30:31], off offset:256
	;; [unrolled: 1-line block ×3, first 2 shown]
	global_load_dwordx4 v[14:17], v[2:3], off
	global_load_dwordx4 v[18:21], v[2:3], off offset:512
	global_load_dwordx4 v[22:25], v[2:3], off offset:1024
	;; [unrolled: 1-line block ×3, first 2 shown]
	v_add_u32_e32 v7, -4, v7
	v_add_u32_e32 v0, 0x80, v0
	s_waitcnt vmcnt(7)
	v_subrev_u32_e32 v1, s16, v1
	s_waitcnt vmcnt(6)
	v_subrev_u32_e32 v30, s16, v32
	;; [unrolled: 2-line block ×4, first 2 shown]
	v_lshlrev_b32_e32 v1, 2, v1
	v_lshlrev_b32_e32 v30, 2, v30
	;; [unrolled: 1-line block ×4, first 2 shown]
	v_ashrrev_i32_e32 v35, 31, v1
	v_add_co_u32_e64 v36, s[6:7], s10, v1
	v_ashrrev_i32_e32 v38, 31, v30
	v_add_co_u32_e32 v30, vcc, s10, v30
	v_ashrrev_i32_e32 v39, 31, v31
	v_add_co_u32_e64 v32, s[0:1], s10, v31
	v_ashrrev_i32_e32 v40, 31, v33
	v_add_co_u32_e64 v34, s[2:3], s10, v33
	v_addc_co_u32_e64 v37, s[6:7], v9, v35, s[6:7]
	v_addc_co_u32_e32 v31, vcc, v9, v38, vcc
	v_addc_co_u32_e64 v33, vcc, v9, v39, s[0:1]
	v_addc_co_u32_e64 v35, vcc, v9, v40, s[2:3]
	global_load_dword v1, v[36:37], off
	global_load_dword v38, v[30:31], off
	;; [unrolled: 1-line block ×4, first 2 shown]
	s_waitcnt vmcnt(7)
	v_perm_b32 v30, v15, v14, s20
	v_perm_b32 v31, v17, v16, s21
	v_perm_b32 v32, v15, v14, s23
	v_perm_b32 v33, v17, v16, s24
	v_perm_b32 v34, v15, v14, s25
	v_perm_b32 v35, v17, v16, s26
	v_perm_b32 v14, v15, v14, s27
	v_perm_b32 v15, v17, v16, s28
	s_waitcnt vmcnt(6)
	v_perm_b32 v16, v19, v18, s20
	v_perm_b32 v17, v21, v20, s21
	v_perm_b32 v36, v19, v18, s23
	v_perm_b32 v37, v21, v20, s24
	v_perm_b32 v41, v19, v18, s25
	v_perm_b32 v42, v21, v20, s26
	v_perm_b32 v18, v19, v18, s27
	v_perm_b32 v19, v21, v20, s28
	;; [unrolled: 9-line block ×4, first 2 shown]
	v_or_b32_e32 v28, v31, v30
	v_or_b32_e32 v29, v33, v32
	;; [unrolled: 1-line block ×4, first 2 shown]
	v_add_co_u32_e32 v2, vcc, 0x800, v2
	v_or_b32_e32 v15, v17, v16
	v_or_b32_e32 v16, v37, v36
	;; [unrolled: 1-line block ×4, first 2 shown]
	v_addc_co_u32_e32 v3, vcc, 0, v3, vcc
	v_or_b32_e32 v19, v21, v20
	v_or_b32_e32 v20, v44, v43
	;; [unrolled: 1-line block ×4, first 2 shown]
	v_cmp_eq_u32_e32 vcc, 0, v7
	v_or_b32_e32 v23, v25, v24
	v_or_b32_e32 v24, v48, v47
	;; [unrolled: 1-line block ×4, first 2 shown]
	s_or_b64 s[18:19], vcc, s[18:19]
	s_waitcnt vmcnt(3)
	v_dot4c_i32_i8_e32 v13, v1, v28
	v_dot4c_i32_i8_e32 v12, v29, v1
	v_dot4c_i32_i8_e32 v11, v30, v1
	v_dot4c_i32_i8_e32 v10, v14, v1
	s_waitcnt vmcnt(2)
	v_dot4c_i32_i8_e32 v13, v38, v15
	v_dot4c_i32_i8_e32 v12, v16, v38
	v_dot4c_i32_i8_e32 v11, v17, v38
	v_dot4c_i32_i8_e32 v10, v18, v38
	;; [unrolled: 5-line block ×4, first 2 shown]
	s_andn2_b64 exec, exec, s[18:19]
	s_cbranch_execnz .LBB63_33
; %bb.34:
	s_or_b64 exec, exec, s[18:19]
.LBB63_35:
	s_or_b64 exec, exec, s[14:15]
	v_and_b32_e32 v1, 3, v6
	v_cmp_ne_u32_e32 vcc, 0, v1
	s_and_saveexec_b64 s[0:1], vcc
	s_cbranch_execz .LBB63_39
; %bb.36:
	v_lshlrev_b32_e32 v6, 4, v1
	s_mov_b64 s[2:3], 0
	v_mov_b32_e32 v7, s13
	s_waitcnt lgkmcnt(0)
	v_mov_b32_e32 v8, s11
	s_mov_b32 s6, 0xc0c0400
	s_mov_b32 s7, 0x4000c0c
	;; [unrolled: 1-line block ×8, first 2 shown]
.LBB63_37:                              ; =>This Inner Loop Header: Depth=1
	v_ashrrev_i32_e32 v1, 31, v0
	v_lshlrev_b64 v[14:15], 2, v[0:1]
	v_add_co_u32_e32 v18, vcc, s12, v14
	v_addc_co_u32_e32 v19, vcc, v7, v15, vcc
	global_load_dword v1, v[18:19], off
	global_load_dwordx4 v[14:17], v[2:3], off
	v_add_u32_e32 v6, -16, v6
	v_add_u32_e32 v0, 32, v0
	s_waitcnt vmcnt(1)
	v_subrev_u32_e32 v1, s16, v1
	v_lshlrev_b32_e32 v1, 2, v1
	v_ashrrev_i32_e32 v9, 31, v1
	v_add_co_u32_e32 v18, vcc, s10, v1
	v_addc_co_u32_e32 v19, vcc, v8, v9, vcc
	global_load_dword v1, v[18:19], off
	v_add_co_u32_e32 v2, vcc, 0x200, v2
	v_addc_co_u32_e32 v3, vcc, 0, v3, vcc
	s_waitcnt vmcnt(1)
	v_perm_b32 v9, v15, v14, s6
	v_perm_b32 v18, v17, v16, s7
	;; [unrolled: 1-line block ×8, first 2 shown]
	v_cmp_eq_u32_e32 vcc, 0, v6
	v_or_b32_e32 v9, v18, v9
	v_or_b32_e32 v16, v20, v19
	v_or_b32_e32 v17, v22, v21
	v_or_b32_e32 v14, v15, v14
	s_or_b64 s[2:3], vcc, s[2:3]
	s_waitcnt vmcnt(0)
	v_dot4c_i32_i8_e32 v13, v1, v9
	v_dot4c_i32_i8_e32 v12, v16, v1
	;; [unrolled: 1-line block ×4, first 2 shown]
	s_andn2_b64 exec, exec, s[2:3]
	s_cbranch_execnz .LBB63_37
; %bb.38:
	s_or_b64 exec, exec, s[2:3]
.LBB63_39:
	s_or_b64 exec, exec, s[0:1]
.LBB63_40:
	s_or_b64 exec, exec, s[8:9]
.LBB63_41:
	v_mov_b32_dpp v0, v13 row_shr:1 row_mask:0xf bank_mask:0xf
	v_mov_b32_dpp v2, v12 row_shr:1 row_mask:0xf bank_mask:0xf
	v_mov_b32_dpp v6, v11 row_shr:1 row_mask:0xf bank_mask:0xf
	v_mov_b32_dpp v8, v10 row_shr:1 row_mask:0xf bank_mask:0xf
	v_add_u32_e32 v0, v0, v13
	v_add_u32_e32 v2, v2, v12
	v_add_u32_e32 v6, v6, v11
	v_add_u32_e32 v8, v8, v10
	v_mov_b32_dpp v1, v0 row_shr:2 row_mask:0xf bank_mask:0xf
	v_mov_b32_dpp v3, v2 row_shr:2 row_mask:0xf bank_mask:0xf
	v_mov_b32_dpp v7, v6 row_shr:2 row_mask:0xf bank_mask:0xf
	v_mov_b32_dpp v9, v8 row_shr:2 row_mask:0xf bank_mask:0xf
	v_add_u32_e32 v0, v0, v1
	v_add_u32_e32 v2, v2, v3
	v_add_u32_e32 v6, v6, v7
	v_add_u32_e32 v8, v8, v9
	;; [unrolled: 8-line block ×4, first 2 shown]
	v_mov_b32_dpp v1, v0 row_bcast:15 row_mask:0xa bank_mask:0xf
	v_mov_b32_dpp v3, v2 row_bcast:15 row_mask:0xa bank_mask:0xf
	;; [unrolled: 1-line block ×4, first 2 shown]
	v_cmp_eq_u32_e32 vcc, 31, v5
	s_and_b64 exec, exec, vcc
	s_cbranch_execz .LBB63_14
; %bb.42:
	s_load_dwordx2 s[0:1], s[4:5], 0x50
	v_add_u32_e32 v0, v0, v1
	v_add_u32_e32 v1, v2, v3
	v_add_u32_e32 v2, v6, v7
	v_add_u32_e32 v3, v8, v9
	s_cmp_eq_u32 s22, 0
	v_mul_lo_u32 v0, v0, s17
	v_mul_lo_u32 v8, v1, s17
	;; [unrolled: 1-line block ×4, first 2 shown]
	v_lshlrev_b32_e32 v4, 2, v4
	s_cbranch_scc1 .LBB63_44
; %bb.43:
	v_ashrrev_i32_e32 v5, 31, v4
	v_lshlrev_b64 v[10:11], 2, v[4:5]
	s_waitcnt lgkmcnt(0)
	v_mov_b32_e32 v1, s1
	v_add_co_u32_e32 v18, vcc, s0, v10
	v_addc_co_u32_e32 v19, vcc, v1, v11, vcc
	global_load_dwordx4 v[10:13], v[18:19], off
	s_waitcnt vmcnt(0)
	v_mad_u64_u32 v[14:15], s[2:3], v10, s22, v[0:1]
	v_mad_u64_u32 v[10:11], s[2:3], v11, s22, v[8:9]
	;; [unrolled: 1-line block ×4, first 2 shown]
	v_mov_b32_e32 v15, v10
	v_mov_b32_e32 v17, v12
	global_store_dwordx4 v[18:19], v[14:17], off
	s_cbranch_execnz .LBB63_14
	s_branch .LBB63_45
.LBB63_44:
.LBB63_45:
	v_ashrrev_i32_e32 v5, 31, v4
	v_lshlrev_b64 v[4:5], 2, v[4:5]
	s_waitcnt lgkmcnt(0)
	v_mov_b32_e32 v1, s1
	v_add_co_u32_e32 v4, vcc, s0, v4
	v_addc_co_u32_e32 v5, vcc, v1, v5, vcc
	v_mov_b32_e32 v1, v8
	v_mov_b32_e32 v3, v6
	global_store_dwordx4 v[4:5], v[0:3], off
	s_endpgm
	.section	.rodata,"a",@progbits
	.p2align	6, 0x0
	.amdhsa_kernel _ZN9rocsparseL18bsrxmvn_4x4_kernelILj128ELj32EiiiaaiEEvT3_20rocsparse_direction_NS_24const_host_device_scalarIT1_EES1_PKS1_PKT2_SA_S7_PKT4_PKT5_S5_PT6_21rocsparse_index_base_b
		.amdhsa_group_segment_fixed_size 0
		.amdhsa_private_segment_fixed_size 0
		.amdhsa_kernarg_size 96
		.amdhsa_user_sgpr_count 6
		.amdhsa_user_sgpr_private_segment_buffer 1
		.amdhsa_user_sgpr_dispatch_ptr 0
		.amdhsa_user_sgpr_queue_ptr 0
		.amdhsa_user_sgpr_kernarg_segment_ptr 1
		.amdhsa_user_sgpr_dispatch_id 0
		.amdhsa_user_sgpr_flat_scratch_init 0
		.amdhsa_user_sgpr_kernarg_preload_length 0
		.amdhsa_user_sgpr_kernarg_preload_offset 0
		.amdhsa_user_sgpr_private_segment_size 0
		.amdhsa_uses_dynamic_stack 0
		.amdhsa_system_sgpr_private_segment_wavefront_offset 0
		.amdhsa_system_sgpr_workgroup_id_x 1
		.amdhsa_system_sgpr_workgroup_id_y 0
		.amdhsa_system_sgpr_workgroup_id_z 0
		.amdhsa_system_sgpr_workgroup_info 0
		.amdhsa_system_vgpr_workitem_id 0
		.amdhsa_next_free_vgpr 54
		.amdhsa_next_free_sgpr 29
		.amdhsa_accum_offset 56
		.amdhsa_reserve_vcc 1
		.amdhsa_reserve_flat_scratch 0
		.amdhsa_float_round_mode_32 0
		.amdhsa_float_round_mode_16_64 0
		.amdhsa_float_denorm_mode_32 3
		.amdhsa_float_denorm_mode_16_64 3
		.amdhsa_dx10_clamp 1
		.amdhsa_ieee_mode 1
		.amdhsa_fp16_overflow 0
		.amdhsa_tg_split 0
		.amdhsa_exception_fp_ieee_invalid_op 0
		.amdhsa_exception_fp_denorm_src 0
		.amdhsa_exception_fp_ieee_div_zero 0
		.amdhsa_exception_fp_ieee_overflow 0
		.amdhsa_exception_fp_ieee_underflow 0
		.amdhsa_exception_fp_ieee_inexact 0
		.amdhsa_exception_int_div_zero 0
	.end_amdhsa_kernel
	.section	.text._ZN9rocsparseL18bsrxmvn_4x4_kernelILj128ELj32EiiiaaiEEvT3_20rocsparse_direction_NS_24const_host_device_scalarIT1_EES1_PKS1_PKT2_SA_S7_PKT4_PKT5_S5_PT6_21rocsparse_index_base_b,"axG",@progbits,_ZN9rocsparseL18bsrxmvn_4x4_kernelILj128ELj32EiiiaaiEEvT3_20rocsparse_direction_NS_24const_host_device_scalarIT1_EES1_PKS1_PKT2_SA_S7_PKT4_PKT5_S5_PT6_21rocsparse_index_base_b,comdat
.Lfunc_end63:
	.size	_ZN9rocsparseL18bsrxmvn_4x4_kernelILj128ELj32EiiiaaiEEvT3_20rocsparse_direction_NS_24const_host_device_scalarIT1_EES1_PKS1_PKT2_SA_S7_PKT4_PKT5_S5_PT6_21rocsparse_index_base_b, .Lfunc_end63-_ZN9rocsparseL18bsrxmvn_4x4_kernelILj128ELj32EiiiaaiEEvT3_20rocsparse_direction_NS_24const_host_device_scalarIT1_EES1_PKS1_PKT2_SA_S7_PKT4_PKT5_S5_PT6_21rocsparse_index_base_b
                                        ; -- End function
	.section	.AMDGPU.csdata,"",@progbits
; Kernel info:
; codeLenInByte = 3264
; NumSgprs: 33
; NumVgprs: 54
; NumAgprs: 0
; TotalNumVgprs: 54
; ScratchSize: 0
; MemoryBound: 0
; FloatMode: 240
; IeeeMode: 1
; LDSByteSize: 0 bytes/workgroup (compile time only)
; SGPRBlocks: 4
; VGPRBlocks: 6
; NumSGPRsForWavesPerEU: 33
; NumVGPRsForWavesPerEU: 54
; AccumOffset: 56
; Occupancy: 8
; WaveLimiterHint : 1
; COMPUTE_PGM_RSRC2:SCRATCH_EN: 0
; COMPUTE_PGM_RSRC2:USER_SGPR: 6
; COMPUTE_PGM_RSRC2:TRAP_HANDLER: 0
; COMPUTE_PGM_RSRC2:TGID_X_EN: 1
; COMPUTE_PGM_RSRC2:TGID_Y_EN: 0
; COMPUTE_PGM_RSRC2:TGID_Z_EN: 0
; COMPUTE_PGM_RSRC2:TIDIG_COMP_CNT: 0
; COMPUTE_PGM_RSRC3_GFX90A:ACCUM_OFFSET: 13
; COMPUTE_PGM_RSRC3_GFX90A:TG_SPLIT: 0
	.section	.text._ZN9rocsparseL18bsrxmvn_4x4_kernelILj128ELj64EiiiaaiEEvT3_20rocsparse_direction_NS_24const_host_device_scalarIT1_EES1_PKS1_PKT2_SA_S7_PKT4_PKT5_S5_PT6_21rocsparse_index_base_b,"axG",@progbits,_ZN9rocsparseL18bsrxmvn_4x4_kernelILj128ELj64EiiiaaiEEvT3_20rocsparse_direction_NS_24const_host_device_scalarIT1_EES1_PKS1_PKT2_SA_S7_PKT4_PKT5_S5_PT6_21rocsparse_index_base_b,comdat
	.globl	_ZN9rocsparseL18bsrxmvn_4x4_kernelILj128ELj64EiiiaaiEEvT3_20rocsparse_direction_NS_24const_host_device_scalarIT1_EES1_PKS1_PKT2_SA_S7_PKT4_PKT5_S5_PT6_21rocsparse_index_base_b ; -- Begin function _ZN9rocsparseL18bsrxmvn_4x4_kernelILj128ELj64EiiiaaiEEvT3_20rocsparse_direction_NS_24const_host_device_scalarIT1_EES1_PKS1_PKT2_SA_S7_PKT4_PKT5_S5_PT6_21rocsparse_index_base_b
	.p2align	8
	.type	_ZN9rocsparseL18bsrxmvn_4x4_kernelILj128ELj64EiiiaaiEEvT3_20rocsparse_direction_NS_24const_host_device_scalarIT1_EES1_PKS1_PKT2_SA_S7_PKT4_PKT5_S5_PT6_21rocsparse_index_base_b,@function
_ZN9rocsparseL18bsrxmvn_4x4_kernelILj128ELj64EiiiaaiEEvT3_20rocsparse_direction_NS_24const_host_device_scalarIT1_EES1_PKS1_PKT2_SA_S7_PKT4_PKT5_S5_PT6_21rocsparse_index_base_b: ; @_ZN9rocsparseL18bsrxmvn_4x4_kernelILj128ELj64EiiiaaiEEvT3_20rocsparse_direction_NS_24const_host_device_scalarIT1_EES1_PKS1_PKT2_SA_S7_PKT4_PKT5_S5_PT6_21rocsparse_index_base_b
; %bb.0:
	s_load_dwordx2 s[16:17], s[4:5], 0x58
	s_load_dwordx2 s[8:9], s[4:5], 0x8
	s_mov_b64 s[10:11], -1
	s_waitcnt lgkmcnt(0)
	s_bitcmp1_b32 s17, 0
	s_cselect_b64 s[0:1], -1, 0
	s_xor_b64 s[2:3], s[0:1], -1
	s_and_b64 vcc, exec, s[2:3]
                                        ; implicit-def: $sgpr17
	s_cbranch_vccnz .LBB64_4
; %bb.1:
	s_load_dwordx2 s[0:1], s[4:5], 0x48
	s_andn2_b64 vcc, exec, s[10:11]
	s_cbranch_vccz .LBB64_5
.LBB64_2:
	s_and_b64 vcc, exec, s[2:3]
	s_cbranch_vccz .LBB64_6
.LBB64_3:
	s_waitcnt lgkmcnt(0)
	s_load_dword s22, s[0:1], 0x0
	s_cbranch_execz .LBB64_7
	s_branch .LBB64_8
.LBB64_4:
	s_load_dword s17, s[8:9], 0x0
	s_load_dwordx2 s[0:1], s[4:5], 0x48
	s_cbranch_execnz .LBB64_2
.LBB64_5:
	s_waitcnt lgkmcnt(0)
	s_mov_b32 s17, s8
	s_and_b64 vcc, exec, s[2:3]
	s_cbranch_vccnz .LBB64_3
.LBB64_6:
                                        ; implicit-def: $sgpr22
.LBB64_7:
	s_waitcnt lgkmcnt(0)
	s_mov_b32 s22, s0
.LBB64_8:
	s_waitcnt lgkmcnt(0)
	s_cmp_lg_u32 s17, 0
	s_cselect_b64 s[0:1], -1, 0
	s_cmp_lg_u32 s22, 1
	s_cselect_b64 s[2:3], -1, 0
	s_or_b64 s[0:1], s[0:1], s[2:3]
	s_andn2_b64 vcc, exec, s[0:1]
	s_cbranch_vccnz .LBB64_14
; %bb.9:
	s_load_dwordx2 s[8:9], s[4:5], 0x18
	s_load_dwordx2 s[0:1], s[4:5], 0x0
	v_lshrrev_b32_e32 v1, 6, v0
	v_lshl_or_b32 v2, s6, 1, v1
	s_mov_b64 s[2:3], 0
	s_waitcnt lgkmcnt(0)
	s_cmp_lg_u64 s[8:9], 0
	s_cbranch_scc0 .LBB64_15
; %bb.10:
	s_load_dword s6, s[4:5], 0x10
                                        ; implicit-def: $vgpr1
	s_waitcnt lgkmcnt(0)
	v_cmp_gt_i32_e32 vcc, s6, v2
	s_and_saveexec_b64 s[6:7], vcc
	s_xor_b64 s[6:7], exec, s[6:7]
	s_cbranch_execz .LBB64_12
; %bb.11:
	v_ashrrev_i32_e32 v3, 31, v2
	v_lshlrev_b64 v[4:5], 2, v[2:3]
	v_mov_b32_e32 v1, s9
	v_add_co_u32_e32 v4, vcc, s8, v4
	v_addc_co_u32_e32 v5, vcc, v1, v5, vcc
	global_load_dword v1, v[4:5], off
	s_mov_b64 s[2:3], exec
	s_waitcnt vmcnt(0)
	v_subrev_u32_e32 v1, s16, v1
.LBB64_12:
	s_or_b64 exec, exec, s[6:7]
	s_branch .LBB64_16
.LBB64_13:
	v_cmp_gt_i32_e32 vcc, s0, v2
	s_andn2_b64 s[2:3], s[2:3], exec
	s_and_b64 s[6:7], vcc, exec
	s_or_b64 s[2:3], s[2:3], s[6:7]
	s_and_saveexec_b64 s[6:7], s[2:3]
	s_cbranch_execnz .LBB64_17
.LBB64_14:
	s_endpgm
.LBB64_15:
                                        ; implicit-def: $vgpr1
	s_cbranch_execnz .LBB64_13
.LBB64_16:
	v_mov_b32_e32 v2, v1
	s_and_saveexec_b64 s[6:7], s[2:3]
	s_cbranch_execz .LBB64_14
.LBB64_17:
	s_load_dwordx8 s[8:15], s[4:5], 0x20
	v_ashrrev_i32_e32 v3, 31, v2
	v_lshlrev_b64 v[4:5], 2, v[2:3]
	s_waitcnt lgkmcnt(0)
	v_mov_b32_e32 v1, s9
	v_add_co_u32_e32 v6, vcc, s8, v4
	v_addc_co_u32_e32 v7, vcc, v1, v5, vcc
	v_add_co_u32_e32 v1, vcc, 4, v6
	v_addc_co_u32_e32 v3, vcc, 0, v7, vcc
	global_load_dword v14, v[6:7], off
	v_mov_b32_e32 v6, s11
	v_add_co_u32_e32 v4, vcc, s10, v4
	s_cmp_eq_u64 s[10:11], 0
	v_addc_co_u32_e32 v5, vcc, v6, v5, vcc
	s_cselect_b64 vcc, -1, 0
	v_cndmask_b32_e32 v5, v5, v3, vcc
	v_cndmask_b32_e32 v4, v4, v1, vcc
	global_load_dword v1, v[4:5], off
	v_and_b32_e32 v3, 63, v0
	s_load_dwordx2 s[10:11], s[4:5], 0x40
	v_mov_b32_e32 v6, s15
	s_cmp_eq_u32 s1, 1
	s_waitcnt vmcnt(1)
	v_subrev_u32_e32 v0, s16, v14
	v_add_u32_e32 v0, v0, v3
	s_waitcnt vmcnt(0)
	v_subrev_u32_e32 v15, s16, v1
	v_ashrrev_i32_e32 v1, 31, v0
	v_lshlrev_b64 v[4:5], 4, v[0:1]
	v_add_co_u32_e32 v4, vcc, s14, v4
	v_addc_co_u32_e32 v5, vcc, v6, v5, vcc
	v_cmp_lt_i32_e64 s[0:1], v0, v15
	s_cbranch_scc1 .LBB64_29
; %bb.18:
	v_mov_b32_e32 v10, 0
	v_mov_b32_e32 v11, 0
	;; [unrolled: 1-line block ×4, first 2 shown]
	s_and_saveexec_b64 s[14:15], s[0:1]
	s_cbranch_execz .LBB64_28
; %bb.19:
	v_add_u32_e32 v1, v14, v3
	v_subrev_u32_e32 v1, s16, v1
	v_add_u32_e32 v1, 64, v1
	v_max_i32_e32 v1, v1, v15
	v_not_b32_e32 v6, v14
	v_add3_u32 v1, v1, s16, v6
	v_sub_u32_e32 v6, v1, v3
	v_lshrrev_b32_e32 v1, 6, v6
	s_movk_i32 s2, 0xbf
	v_add_u32_e32 v1, 1, v1
	v_cmp_lt_u32_e32 vcc, s2, v6
	v_mov_b32_e32 v12, 0
	v_mov_b32_e32 v13, 0
	;; [unrolled: 1-line block ×5, first 2 shown]
	v_pk_mov_b32 v[8:9], v[4:5], v[4:5] op_sel:[0,1]
	s_and_saveexec_b64 s[18:19], vcc
	s_cbranch_execz .LBB64_23
; %bb.20:
	v_and_b32_e32 v16, 0x7fffffc, v1
	s_mov_b64 s[20:21], 0
	v_mov_b32_e32 v10, 0
	v_mov_b32_e32 v17, s13
	s_waitcnt lgkmcnt(0)
	v_mov_b32_e32 v18, s11
	v_pk_mov_b32 v[8:9], v[4:5], v[4:5] op_sel:[0,1]
	v_mov_b32_e32 v6, v0
	v_mov_b32_e32 v11, 0
	v_mov_b32_e32 v13, 0
	v_mov_b32_e32 v12, 0
.LBB64_21:                              ; =>This Inner Loop Header: Depth=1
	v_ashrrev_i32_e32 v7, 31, v6
	v_lshlrev_b64 v[20:21], 2, v[6:7]
	v_add_co_u32_e32 v36, vcc, s12, v20
	v_addc_co_u32_e32 v37, vcc, v17, v21, vcc
	global_load_dword v7, v[36:37], off
	global_load_dword v19, v[36:37], off offset:256
	global_load_dword v38, v[36:37], off offset:512
	;; [unrolled: 1-line block ×3, first 2 shown]
	global_load_dwordx4 v[20:23], v[8:9], off
	global_load_dwordx4 v[24:27], v[8:9], off offset:1024
	global_load_dwordx4 v[28:31], v[8:9], off offset:2048
	global_load_dwordx4 v[32:35], v[8:9], off offset:3072
	v_add_u32_e32 v16, -4, v16
	v_add_u32_e32 v6, 0x100, v6
	s_waitcnt vmcnt(7)
	v_subrev_u32_e32 v7, s16, v7
	s_waitcnt vmcnt(6)
	v_subrev_u32_e32 v19, s16, v19
	;; [unrolled: 2-line block ×4, first 2 shown]
	v_lshlrev_b32_e32 v7, 2, v7
	v_lshlrev_b32_e32 v19, 2, v19
	;; [unrolled: 1-line block ×4, first 2 shown]
	v_ashrrev_i32_e32 v39, 31, v7
	v_add_co_u32_e64 v42, s[8:9], s10, v7
	v_ashrrev_i32_e32 v41, 31, v19
	v_add_co_u32_e32 v36, vcc, s10, v19
	v_ashrrev_i32_e32 v19, 31, v38
	v_add_co_u32_e64 v38, s[2:3], s10, v38
	v_ashrrev_i32_e32 v44, 31, v37
	v_add_co_u32_e64 v40, s[6:7], s10, v37
	v_addc_co_u32_e64 v43, s[8:9], v18, v39, s[8:9]
	v_addc_co_u32_e32 v37, vcc, v18, v41, vcc
	v_addc_co_u32_e64 v39, vcc, v18, v19, s[2:3]
	v_addc_co_u32_e64 v41, vcc, v18, v44, s[6:7]
	global_load_dword v7, v[42:43], off
	global_load_dword v19, v[36:37], off
	;; [unrolled: 1-line block ×4, first 2 shown]
	v_add_co_u32_e32 v8, vcc, 0x1000, v8
	v_addc_co_u32_e32 v9, vcc, 0, v9, vcc
	v_cmp_eq_u32_e32 vcc, 0, v16
	s_or_b64 s[20:21], vcc, s[20:21]
	s_waitcnt vmcnt(3)
	v_dot4c_i32_i8_e32 v13, v21, v7
	v_dot4c_i32_i8_e32 v12, v20, v7
	v_dot4c_i32_i8_e32 v10, v23, v7
	v_dot4c_i32_i8_e32 v11, v22, v7
	s_waitcnt vmcnt(2)
	v_dot4c_i32_i8_e32 v12, v24, v19
	v_dot4c_i32_i8_e32 v13, v25, v19
	v_dot4c_i32_i8_e32 v11, v26, v19
	v_dot4c_i32_i8_e32 v10, v27, v19
	;; [unrolled: 5-line block ×4, first 2 shown]
	s_andn2_b64 exec, exec, s[20:21]
	s_cbranch_execnz .LBB64_21
; %bb.22:
	s_or_b64 exec, exec, s[20:21]
.LBB64_23:
	s_or_b64 exec, exec, s[18:19]
	v_and_b32_e32 v1, 3, v1
	v_cmp_ne_u32_e32 vcc, 0, v1
	s_and_saveexec_b64 s[6:7], vcc
	s_cbranch_execz .LBB64_27
; %bb.24:
	v_lshlrev_b32_e32 v1, 4, v1
	s_mov_b64 s[8:9], 0
	v_mov_b32_e32 v16, s13
	s_waitcnt lgkmcnt(0)
	v_mov_b32_e32 v17, s11
.LBB64_25:                              ; =>This Inner Loop Header: Depth=1
	v_ashrrev_i32_e32 v7, 31, v6
	v_lshlrev_b64 v[18:19], 2, v[6:7]
	v_add_co_u32_e32 v22, vcc, s12, v18
	v_addc_co_u32_e32 v23, vcc, v16, v19, vcc
	global_load_dword v7, v[22:23], off
	global_load_dwordx4 v[18:21], v[8:9], off
	v_add_u32_e32 v1, -16, v1
	v_cmp_eq_u32_e64 s[2:3], 0, v1
	v_add_u32_e32 v6, 64, v6
	s_or_b64 s[8:9], s[2:3], s[8:9]
	s_waitcnt vmcnt(1)
	v_subrev_u32_e32 v7, s16, v7
	v_lshlrev_b32_e32 v7, 2, v7
	v_ashrrev_i32_e32 v23, 31, v7
	v_add_co_u32_e32 v22, vcc, s10, v7
	v_addc_co_u32_e32 v23, vcc, v17, v23, vcc
	global_load_dword v7, v[22:23], off
	v_add_co_u32_e32 v8, vcc, 0x400, v8
	v_addc_co_u32_e32 v9, vcc, 0, v9, vcc
	s_waitcnt vmcnt(0)
	v_dot4c_i32_i8_e32 v12, v18, v7
	v_dot4c_i32_i8_e32 v13, v19, v7
	;; [unrolled: 1-line block ×4, first 2 shown]
	s_andn2_b64 exec, exec, s[8:9]
	s_cbranch_execnz .LBB64_25
; %bb.26:
	s_or_b64 exec, exec, s[8:9]
.LBB64_27:
	s_or_b64 exec, exec, s[6:7]
.LBB64_28:
	s_or_b64 exec, exec, s[14:15]
	s_cbranch_execz .LBB64_30
	s_branch .LBB64_41
.LBB64_29:
                                        ; implicit-def: $vgpr10
                                        ; implicit-def: $vgpr11
                                        ; implicit-def: $vgpr13
                                        ; implicit-def: $vgpr12
.LBB64_30:
	v_mov_b32_e32 v10, 0
	v_mov_b32_e32 v11, 0
	;; [unrolled: 1-line block ×4, first 2 shown]
	s_and_saveexec_b64 s[8:9], s[0:1]
	s_cbranch_execz .LBB64_40
; %bb.31:
	v_add_u32_e32 v1, v14, v3
	v_subrev_u32_e32 v1, s16, v1
	v_add_u32_e32 v1, 64, v1
	v_max_i32_e32 v1, v1, v15
	v_not_b32_e32 v6, v14
	v_add3_u32 v1, v1, s16, v6
	v_sub_u32_e32 v1, v1, v3
	v_lshrrev_b32_e32 v6, 6, v1
	s_movk_i32 s0, 0xbf
	v_add_u32_e32 v6, 1, v6
	v_cmp_lt_u32_e32 vcc, s0, v1
	v_mov_b32_e32 v12, 0
	v_mov_b32_e32 v13, 0
	;; [unrolled: 1-line block ×4, first 2 shown]
	s_and_saveexec_b64 s[14:15], vcc
	s_cbranch_execz .LBB64_35
; %bb.32:
	v_and_b32_e32 v7, 0x7fffffc, v6
	s_mov_b64 s[18:19], 0
	v_mov_b32_e32 v10, 0
	v_mov_b32_e32 v8, s13
	s_waitcnt lgkmcnt(0)
	v_mov_b32_e32 v9, s11
	s_mov_b32 s20, 0xc0c0501
	s_mov_b32 s21, 0x5010c0c
	;; [unrolled: 1-line block ×8, first 2 shown]
	v_mov_b32_e32 v11, 0
	v_mov_b32_e32 v13, 0
	;; [unrolled: 1-line block ×3, first 2 shown]
.LBB64_33:                              ; =>This Inner Loop Header: Depth=1
	v_ashrrev_i32_e32 v1, 31, v0
	v_lshlrev_b64 v[14:15], 2, v[0:1]
	v_add_co_u32_e32 v30, vcc, s12, v14
	v_addc_co_u32_e32 v31, vcc, v8, v15, vcc
	global_load_dword v1, v[30:31], off
	global_load_dword v32, v[30:31], off offset:256
	global_load_dword v33, v[30:31], off offset:512
	;; [unrolled: 1-line block ×3, first 2 shown]
	global_load_dwordx4 v[14:17], v[4:5], off
	global_load_dwordx4 v[18:21], v[4:5], off offset:1024
	global_load_dwordx4 v[22:25], v[4:5], off offset:2048
	;; [unrolled: 1-line block ×3, first 2 shown]
	v_add_u32_e32 v7, -4, v7
	v_add_u32_e32 v0, 0x100, v0
	s_waitcnt vmcnt(7)
	v_subrev_u32_e32 v1, s16, v1
	s_waitcnt vmcnt(6)
	v_subrev_u32_e32 v30, s16, v32
	s_waitcnt vmcnt(5)
	v_subrev_u32_e32 v31, s16, v33
	s_waitcnt vmcnt(4)
	v_subrev_u32_e32 v32, s16, v34
	v_lshlrev_b32_e32 v1, 2, v1
	v_lshlrev_b32_e32 v30, 2, v30
	;; [unrolled: 1-line block ×4, first 2 shown]
	v_ashrrev_i32_e32 v35, 31, v1
	v_add_co_u32_e64 v36, s[6:7], s10, v1
	v_ashrrev_i32_e32 v38, 31, v30
	v_add_co_u32_e32 v30, vcc, s10, v30
	v_ashrrev_i32_e32 v39, 31, v31
	v_add_co_u32_e64 v32, s[0:1], s10, v31
	v_ashrrev_i32_e32 v40, 31, v33
	v_add_co_u32_e64 v34, s[2:3], s10, v33
	v_addc_co_u32_e64 v37, s[6:7], v9, v35, s[6:7]
	v_addc_co_u32_e32 v31, vcc, v9, v38, vcc
	v_addc_co_u32_e64 v33, vcc, v9, v39, s[0:1]
	v_addc_co_u32_e64 v35, vcc, v9, v40, s[2:3]
	global_load_dword v1, v[36:37], off
	global_load_dword v38, v[30:31], off
	;; [unrolled: 1-line block ×4, first 2 shown]
	s_waitcnt vmcnt(7)
	v_perm_b32 v30, v15, v14, s20
	v_perm_b32 v31, v17, v16, s21
	v_perm_b32 v32, v15, v14, s23
	v_perm_b32 v33, v17, v16, s24
	v_perm_b32 v34, v15, v14, s25
	v_perm_b32 v35, v17, v16, s26
	v_perm_b32 v14, v15, v14, s27
	v_perm_b32 v15, v17, v16, s28
	s_waitcnt vmcnt(6)
	v_perm_b32 v16, v19, v18, s23
	v_perm_b32 v17, v21, v20, s24
	v_perm_b32 v36, v19, v18, s20
	v_perm_b32 v37, v21, v20, s21
	v_perm_b32 v41, v19, v18, s27
	v_perm_b32 v42, v21, v20, s28
	v_perm_b32 v18, v19, v18, s25
	v_perm_b32 v19, v21, v20, s26
	;; [unrolled: 9-line block ×4, first 2 shown]
	v_or_b32_e32 v28, v31, v30
	v_or_b32_e32 v29, v33, v32
	;; [unrolled: 1-line block ×4, first 2 shown]
	v_add_co_u32_e32 v4, vcc, 0x1000, v4
	v_or_b32_e32 v15, v17, v16
	v_or_b32_e32 v16, v37, v36
	;; [unrolled: 1-line block ×4, first 2 shown]
	v_addc_co_u32_e32 v5, vcc, 0, v5, vcc
	v_or_b32_e32 v19, v21, v20
	v_or_b32_e32 v20, v44, v43
	;; [unrolled: 1-line block ×4, first 2 shown]
	v_cmp_eq_u32_e32 vcc, 0, v7
	v_or_b32_e32 v23, v25, v24
	v_or_b32_e32 v24, v48, v47
	;; [unrolled: 1-line block ×4, first 2 shown]
	s_or_b64 s[18:19], vcc, s[18:19]
	s_waitcnt vmcnt(3)
	v_dot4c_i32_i8_e32 v13, v28, v1
	v_dot4c_i32_i8_e32 v12, v29, v1
	v_dot4c_i32_i8_e32 v10, v30, v1
	v_dot4c_i32_i8_e32 v11, v14, v1
	s_waitcnt vmcnt(2)
	v_dot4c_i32_i8_e32 v12, v15, v38
	v_dot4c_i32_i8_e32 v13, v16, v38
	v_dot4c_i32_i8_e32 v11, v17, v38
	v_dot4c_i32_i8_e32 v10, v18, v38
	;; [unrolled: 5-line block ×4, first 2 shown]
	s_andn2_b64 exec, exec, s[18:19]
	s_cbranch_execnz .LBB64_33
; %bb.34:
	s_or_b64 exec, exec, s[18:19]
.LBB64_35:
	s_or_b64 exec, exec, s[14:15]
	v_and_b32_e32 v1, 3, v6
	v_cmp_ne_u32_e32 vcc, 0, v1
	s_and_saveexec_b64 s[2:3], vcc
	s_cbranch_execz .LBB64_39
; %bb.36:
	v_lshlrev_b32_e32 v6, 4, v1
	s_mov_b64 s[6:7], 0
	v_mov_b32_e32 v7, s13
	s_waitcnt lgkmcnt(0)
	v_mov_b32_e32 v8, s11
	s_mov_b32 s11, 0xc0c0400
	s_mov_b32 s13, 0x4000c0c
	s_mov_b32 s14, 0xc0c0501
	s_mov_b32 s15, 0x5010c0c
	s_mov_b32 s18, 0xc0c0602
	s_mov_b32 s19, 0x6020c0c
	s_mov_b32 s20, 0xc0c0703
	s_mov_b32 s21, 0x7030c0c
.LBB64_37:                              ; =>This Inner Loop Header: Depth=1
	v_ashrrev_i32_e32 v1, 31, v0
	v_lshlrev_b64 v[14:15], 2, v[0:1]
	v_add_co_u32_e32 v18, vcc, s12, v14
	v_addc_co_u32_e32 v19, vcc, v7, v15, vcc
	global_load_dword v1, v[18:19], off
	global_load_dwordx4 v[14:17], v[4:5], off
	v_add_u32_e32 v6, -16, v6
	v_cmp_eq_u32_e64 s[0:1], 0, v6
	v_add_u32_e32 v0, 64, v0
	s_or_b64 s[6:7], s[0:1], s[6:7]
	s_waitcnt vmcnt(1)
	v_subrev_u32_e32 v1, s16, v1
	v_lshlrev_b32_e32 v1, 2, v1
	v_ashrrev_i32_e32 v9, 31, v1
	v_add_co_u32_e32 v18, vcc, s10, v1
	v_addc_co_u32_e32 v19, vcc, v8, v9, vcc
	global_load_dword v1, v[18:19], off
	s_waitcnt vmcnt(1)
	v_perm_b32 v9, v15, v14, s11
	v_perm_b32 v18, v17, v16, s13
	;; [unrolled: 1-line block ×8, first 2 shown]
	v_add_co_u32_e32 v4, vcc, 0x400, v4
	v_or_b32_e32 v9, v18, v9
	v_or_b32_e32 v16, v20, v19
	;; [unrolled: 1-line block ×4, first 2 shown]
	v_addc_co_u32_e32 v5, vcc, 0, v5, vcc
	s_waitcnt vmcnt(0)
	v_dot4c_i32_i8_e32 v12, v9, v1
	v_dot4c_i32_i8_e32 v13, v16, v1
	;; [unrolled: 1-line block ×4, first 2 shown]
	s_andn2_b64 exec, exec, s[6:7]
	s_cbranch_execnz .LBB64_37
; %bb.38:
	s_or_b64 exec, exec, s[6:7]
.LBB64_39:
	s_or_b64 exec, exec, s[2:3]
.LBB64_40:
	s_or_b64 exec, exec, s[8:9]
.LBB64_41:
	v_mov_b32_dpp v0, v12 row_shr:1 row_mask:0xf bank_mask:0xf
	v_mov_b32_dpp v1, v13 row_shr:1 row_mask:0xf bank_mask:0xf
	v_mov_b32_dpp v6, v11 row_shr:1 row_mask:0xf bank_mask:0xf
	v_mov_b32_dpp v7, v10 row_shr:1 row_mask:0xf bank_mask:0xf
	v_add_u32_e32 v1, v1, v13
	v_add_u32_e32 v0, v0, v12
	v_add_u32_e32 v7, v7, v10
	v_add_u32_e32 v6, v6, v11
	v_mov_b32_dpp v4, v0 row_shr:2 row_mask:0xf bank_mask:0xf
	v_mov_b32_dpp v5, v1 row_shr:2 row_mask:0xf bank_mask:0xf
	v_mov_b32_dpp v8, v6 row_shr:2 row_mask:0xf bank_mask:0xf
	v_mov_b32_dpp v9, v7 row_shr:2 row_mask:0xf bank_mask:0xf
	v_add_u32_e32 v1, v1, v5
	v_add_u32_e32 v0, v0, v4
	v_add_u32_e32 v7, v7, v9
	v_add_u32_e32 v6, v6, v8
	;; [unrolled: 8-line block ×4, first 2 shown]
	v_mov_b32_dpp v5, v4 row_bcast:15 row_mask:0xa bank_mask:0xf
	v_mov_b32_dpp v0, v1 row_bcast:15 row_mask:0xa bank_mask:0xf
	v_mov_b32_dpp v9, v8 row_bcast:15 row_mask:0xa bank_mask:0xf
	v_mov_b32_dpp v6, v7 row_bcast:15 row_mask:0xa bank_mask:0xf
	v_add_u32_e32 v0, v1, v0
	v_add_u32_e32 v1, v4, v5
	;; [unrolled: 1-line block ×4, first 2 shown]
	v_mov_b32_dpp v4, v1 row_bcast:31 row_mask:0xc bank_mask:0xf
	v_mov_b32_dpp v5, v0 row_bcast:31 row_mask:0xc bank_mask:0xf
	v_mov_b32_dpp v8, v7 row_bcast:31 row_mask:0xc bank_mask:0xf
	v_mov_b32_dpp v9, v6 row_bcast:31 row_mask:0xc bank_mask:0xf
	v_cmp_eq_u32_e32 vcc, 63, v3
	s_and_b64 exec, exec, vcc
	s_cbranch_execz .LBB64_14
; %bb.42:
	s_load_dwordx2 s[0:1], s[4:5], 0x50
	v_add_u32_e32 v3, v0, v5
	v_add_u32_e32 v0, v1, v4
	;; [unrolled: 1-line block ×4, first 2 shown]
	s_cmp_eq_u32 s22, 0
	v_lshlrev_b32_e32 v8, 2, v2
	v_mul_lo_u32 v0, v0, s17
	v_mul_lo_u32 v6, v3, s17
	;; [unrolled: 1-line block ×4, first 2 shown]
	s_cbranch_scc1 .LBB64_44
; %bb.43:
	v_ashrrev_i32_e32 v9, 31, v8
	v_lshlrev_b64 v[10:11], 2, v[8:9]
	s_waitcnt lgkmcnt(0)
	v_mov_b32_e32 v1, s1
	v_add_co_u32_e32 v14, vcc, s0, v10
	v_addc_co_u32_e32 v15, vcc, v1, v11, vcc
	global_load_dwordx4 v[10:13], v[14:15], off
	s_waitcnt vmcnt(0)
	v_mad_u64_u32 v[16:17], s[2:3], v11, s22, v[6:7]
	v_mad_u64_u32 v[10:11], s[2:3], v10, s22, v[0:1]
	;; [unrolled: 1-line block ×4, first 2 shown]
	v_mov_b32_e32 v11, v16
	v_mov_b32_e32 v13, v18
	global_store_dwordx4 v[14:15], v[10:13], off
	s_cbranch_execnz .LBB64_14
	s_branch .LBB64_45
.LBB64_44:
.LBB64_45:
	v_ashrrev_i32_e32 v9, 31, v8
	v_lshlrev_b64 v[8:9], 2, v[8:9]
	s_waitcnt lgkmcnt(0)
	v_mov_b32_e32 v1, s1
	v_add_co_u32_e32 v8, vcc, s0, v8
	v_addc_co_u32_e32 v9, vcc, v1, v9, vcc
	v_mov_b32_e32 v1, v6
	v_mov_b32_e32 v3, v4
	global_store_dwordx4 v[8:9], v[0:3], off
	s_endpgm
	.section	.rodata,"a",@progbits
	.p2align	6, 0x0
	.amdhsa_kernel _ZN9rocsparseL18bsrxmvn_4x4_kernelILj128ELj64EiiiaaiEEvT3_20rocsparse_direction_NS_24const_host_device_scalarIT1_EES1_PKS1_PKT2_SA_S7_PKT4_PKT5_S5_PT6_21rocsparse_index_base_b
		.amdhsa_group_segment_fixed_size 0
		.amdhsa_private_segment_fixed_size 0
		.amdhsa_kernarg_size 96
		.amdhsa_user_sgpr_count 6
		.amdhsa_user_sgpr_private_segment_buffer 1
		.amdhsa_user_sgpr_dispatch_ptr 0
		.amdhsa_user_sgpr_queue_ptr 0
		.amdhsa_user_sgpr_kernarg_segment_ptr 1
		.amdhsa_user_sgpr_dispatch_id 0
		.amdhsa_user_sgpr_flat_scratch_init 0
		.amdhsa_user_sgpr_kernarg_preload_length 0
		.amdhsa_user_sgpr_kernarg_preload_offset 0
		.amdhsa_user_sgpr_private_segment_size 0
		.amdhsa_uses_dynamic_stack 0
		.amdhsa_system_sgpr_private_segment_wavefront_offset 0
		.amdhsa_system_sgpr_workgroup_id_x 1
		.amdhsa_system_sgpr_workgroup_id_y 0
		.amdhsa_system_sgpr_workgroup_id_z 0
		.amdhsa_system_sgpr_workgroup_info 0
		.amdhsa_system_vgpr_workitem_id 0
		.amdhsa_next_free_vgpr 51
		.amdhsa_next_free_sgpr 29
		.amdhsa_accum_offset 52
		.amdhsa_reserve_vcc 1
		.amdhsa_reserve_flat_scratch 0
		.amdhsa_float_round_mode_32 0
		.amdhsa_float_round_mode_16_64 0
		.amdhsa_float_denorm_mode_32 3
		.amdhsa_float_denorm_mode_16_64 3
		.amdhsa_dx10_clamp 1
		.amdhsa_ieee_mode 1
		.amdhsa_fp16_overflow 0
		.amdhsa_tg_split 0
		.amdhsa_exception_fp_ieee_invalid_op 0
		.amdhsa_exception_fp_denorm_src 0
		.amdhsa_exception_fp_ieee_div_zero 0
		.amdhsa_exception_fp_ieee_overflow 0
		.amdhsa_exception_fp_ieee_underflow 0
		.amdhsa_exception_fp_ieee_inexact 0
		.amdhsa_exception_int_div_zero 0
	.end_amdhsa_kernel
	.section	.text._ZN9rocsparseL18bsrxmvn_4x4_kernelILj128ELj64EiiiaaiEEvT3_20rocsparse_direction_NS_24const_host_device_scalarIT1_EES1_PKS1_PKT2_SA_S7_PKT4_PKT5_S5_PT6_21rocsparse_index_base_b,"axG",@progbits,_ZN9rocsparseL18bsrxmvn_4x4_kernelILj128ELj64EiiiaaiEEvT3_20rocsparse_direction_NS_24const_host_device_scalarIT1_EES1_PKS1_PKT2_SA_S7_PKT4_PKT5_S5_PT6_21rocsparse_index_base_b,comdat
.Lfunc_end64:
	.size	_ZN9rocsparseL18bsrxmvn_4x4_kernelILj128ELj64EiiiaaiEEvT3_20rocsparse_direction_NS_24const_host_device_scalarIT1_EES1_PKS1_PKT2_SA_S7_PKT4_PKT5_S5_PT6_21rocsparse_index_base_b, .Lfunc_end64-_ZN9rocsparseL18bsrxmvn_4x4_kernelILj128ELj64EiiiaaiEEvT3_20rocsparse_direction_NS_24const_host_device_scalarIT1_EES1_PKS1_PKT2_SA_S7_PKT4_PKT5_S5_PT6_21rocsparse_index_base_b
                                        ; -- End function
	.section	.AMDGPU.csdata,"",@progbits
; Kernel info:
; codeLenInByte = 2920
; NumSgprs: 33
; NumVgprs: 51
; NumAgprs: 0
; TotalNumVgprs: 51
; ScratchSize: 0
; MemoryBound: 0
; FloatMode: 240
; IeeeMode: 1
; LDSByteSize: 0 bytes/workgroup (compile time only)
; SGPRBlocks: 4
; VGPRBlocks: 6
; NumSGPRsForWavesPerEU: 33
; NumVGPRsForWavesPerEU: 51
; AccumOffset: 52
; Occupancy: 8
; WaveLimiterHint : 1
; COMPUTE_PGM_RSRC2:SCRATCH_EN: 0
; COMPUTE_PGM_RSRC2:USER_SGPR: 6
; COMPUTE_PGM_RSRC2:TRAP_HANDLER: 0
; COMPUTE_PGM_RSRC2:TGID_X_EN: 1
; COMPUTE_PGM_RSRC2:TGID_Y_EN: 0
; COMPUTE_PGM_RSRC2:TGID_Z_EN: 0
; COMPUTE_PGM_RSRC2:TIDIG_COMP_CNT: 0
; COMPUTE_PGM_RSRC3_GFX90A:ACCUM_OFFSET: 12
; COMPUTE_PGM_RSRC3_GFX90A:TG_SPLIT: 0
	.section	.text._ZN9rocsparseL18bsrxmvn_4x4_kernelILj128ELj4EiliaaiEEvT3_20rocsparse_direction_NS_24const_host_device_scalarIT1_EES1_PKS1_PKT2_SA_S7_PKT4_PKT5_S5_PT6_21rocsparse_index_base_b,"axG",@progbits,_ZN9rocsparseL18bsrxmvn_4x4_kernelILj128ELj4EiliaaiEEvT3_20rocsparse_direction_NS_24const_host_device_scalarIT1_EES1_PKS1_PKT2_SA_S7_PKT4_PKT5_S5_PT6_21rocsparse_index_base_b,comdat
	.globl	_ZN9rocsparseL18bsrxmvn_4x4_kernelILj128ELj4EiliaaiEEvT3_20rocsparse_direction_NS_24const_host_device_scalarIT1_EES1_PKS1_PKT2_SA_S7_PKT4_PKT5_S5_PT6_21rocsparse_index_base_b ; -- Begin function _ZN9rocsparseL18bsrxmvn_4x4_kernelILj128ELj4EiliaaiEEvT3_20rocsparse_direction_NS_24const_host_device_scalarIT1_EES1_PKS1_PKT2_SA_S7_PKT4_PKT5_S5_PT6_21rocsparse_index_base_b
	.p2align	8
	.type	_ZN9rocsparseL18bsrxmvn_4x4_kernelILj128ELj4EiliaaiEEvT3_20rocsparse_direction_NS_24const_host_device_scalarIT1_EES1_PKS1_PKT2_SA_S7_PKT4_PKT5_S5_PT6_21rocsparse_index_base_b,@function
_ZN9rocsparseL18bsrxmvn_4x4_kernelILj128ELj4EiliaaiEEvT3_20rocsparse_direction_NS_24const_host_device_scalarIT1_EES1_PKS1_PKT2_SA_S7_PKT4_PKT5_S5_PT6_21rocsparse_index_base_b: ; @_ZN9rocsparseL18bsrxmvn_4x4_kernelILj128ELj4EiliaaiEEvT3_20rocsparse_direction_NS_24const_host_device_scalarIT1_EES1_PKS1_PKT2_SA_S7_PKT4_PKT5_S5_PT6_21rocsparse_index_base_b
; %bb.0:
	s_load_dwordx2 s[16:17], s[4:5], 0x58
	s_load_dwordx2 s[8:9], s[4:5], 0x8
	s_mov_b64 s[10:11], -1
	s_waitcnt lgkmcnt(0)
	s_bitcmp1_b32 s17, 0
	s_cselect_b64 s[0:1], -1, 0
	s_xor_b64 s[2:3], s[0:1], -1
	s_and_b64 vcc, exec, s[2:3]
                                        ; implicit-def: $sgpr17
	s_cbranch_vccnz .LBB65_4
; %bb.1:
	s_load_dwordx2 s[0:1], s[4:5], 0x48
	s_andn2_b64 vcc, exec, s[10:11]
	s_cbranch_vccz .LBB65_5
.LBB65_2:
	s_and_b64 vcc, exec, s[2:3]
	s_cbranch_vccz .LBB65_6
.LBB65_3:
	s_waitcnt lgkmcnt(0)
	s_load_dword s22, s[0:1], 0x0
	s_cbranch_execz .LBB65_7
	s_branch .LBB65_8
.LBB65_4:
	s_load_dword s17, s[8:9], 0x0
	s_load_dwordx2 s[0:1], s[4:5], 0x48
	s_cbranch_execnz .LBB65_2
.LBB65_5:
	s_waitcnt lgkmcnt(0)
	s_mov_b32 s17, s8
	s_and_b64 vcc, exec, s[2:3]
	s_cbranch_vccnz .LBB65_3
.LBB65_6:
                                        ; implicit-def: $sgpr22
.LBB65_7:
	s_waitcnt lgkmcnt(0)
	s_mov_b32 s22, s0
.LBB65_8:
	s_waitcnt lgkmcnt(0)
	s_cmp_lg_u32 s17, 0
	s_cselect_b64 s[0:1], -1, 0
	s_cmp_lg_u32 s22, 1
	s_cselect_b64 s[2:3], -1, 0
	s_or_b64 s[0:1], s[0:1], s[2:3]
	s_andn2_b64 vcc, exec, s[0:1]
	s_cbranch_vccnz .LBB65_14
; %bb.9:
	s_load_dwordx2 s[8:9], s[4:5], 0x18
	s_load_dwordx2 s[0:1], s[4:5], 0x0
	v_lshrrev_b32_e32 v1, 2, v0
	v_lshl_or_b32 v4, s6, 5, v1
	s_mov_b64 s[2:3], 0
	s_waitcnt lgkmcnt(0)
	s_cmp_lg_u64 s[8:9], 0
	s_cbranch_scc0 .LBB65_15
; %bb.10:
	s_load_dword s6, s[4:5], 0x10
                                        ; implicit-def: $vgpr1
	s_waitcnt lgkmcnt(0)
	v_cmp_gt_i32_e32 vcc, s6, v4
	s_and_saveexec_b64 s[6:7], vcc
	s_xor_b64 s[6:7], exec, s[6:7]
	s_cbranch_execz .LBB65_12
; %bb.11:
	v_ashrrev_i32_e32 v5, 31, v4
	v_lshlrev_b64 v[2:3], 2, v[4:5]
	v_mov_b32_e32 v1, s9
	v_add_co_u32_e32 v2, vcc, s8, v2
	v_addc_co_u32_e32 v3, vcc, v1, v3, vcc
	global_load_dword v1, v[2:3], off
	s_mov_b64 s[2:3], exec
	s_waitcnt vmcnt(0)
	v_subrev_u32_e32 v1, s16, v1
.LBB65_12:
	s_or_b64 exec, exec, s[6:7]
	s_branch .LBB65_16
.LBB65_13:
	v_cmp_gt_i32_e32 vcc, s0, v4
	s_andn2_b64 s[2:3], s[2:3], exec
	s_and_b64 s[6:7], vcc, exec
	s_or_b64 s[2:3], s[2:3], s[6:7]
	s_and_saveexec_b64 s[6:7], s[2:3]
	s_cbranch_execnz .LBB65_17
.LBB65_14:
	s_endpgm
.LBB65_15:
                                        ; implicit-def: $vgpr1
	s_cbranch_execnz .LBB65_13
.LBB65_16:
	v_mov_b32_e32 v4, v1
	s_and_saveexec_b64 s[6:7], s[2:3]
	s_cbranch_execz .LBB65_14
.LBB65_17:
	s_load_dwordx8 s[8:15], s[4:5], 0x20
	v_ashrrev_i32_e32 v5, 31, v4
	v_lshlrev_b64 v[2:3], 3, v[4:5]
	v_and_b32_e32 v0, 3, v0
	s_mov_b32 s23, 0
	s_waitcnt lgkmcnt(0)
	v_mov_b32_e32 v1, s9
	v_add_co_u32_e32 v6, vcc, s8, v2
	v_addc_co_u32_e32 v7, vcc, v1, v3, vcc
	v_add_co_u32_e32 v1, vcc, 8, v6
	v_addc_co_u32_e32 v5, vcc, 0, v7, vcc
	global_load_dwordx2 v[8:9], v[6:7], off
	v_mov_b32_e32 v6, s11
	v_add_co_u32_e32 v2, vcc, s10, v2
	s_cmp_eq_u64 s[10:11], 0
	v_addc_co_u32_e32 v3, vcc, v6, v3, vcc
	s_cselect_b64 vcc, -1, 0
	v_cndmask_b32_e32 v3, v3, v5, vcc
	v_cndmask_b32_e32 v2, v2, v1, vcc
	global_load_dwordx2 v[2:3], v[2:3], off
	s_load_dwordx2 s[10:11], s[4:5], 0x40
	v_mov_b32_e32 v5, s15
	v_mov_b32_e32 v1, 0
	s_cmp_eq_u32 s1, 1
	s_waitcnt vmcnt(1)
	v_subrev_co_u32_e32 v6, vcc, s16, v8
	v_subbrev_co_u32_e32 v7, vcc, 0, v9, vcc
	v_add_co_u32_e32 v6, vcc, v6, v0
	v_addc_co_u32_e32 v7, vcc, 0, v7, vcc
	s_waitcnt vmcnt(0)
	v_subrev_co_u32_e32 v10, vcc, s16, v2
	v_subbrev_co_u32_e32 v11, vcc, 0, v3, vcc
	v_lshlrev_b64 v[2:3], 4, v[6:7]
	v_add_co_u32_e32 v2, vcc, s14, v2
	v_addc_co_u32_e32 v3, vcc, v5, v3, vcc
	v_cmp_lt_i64_e64 s[0:1], v[6:7], v[10:11]
	s_cbranch_scc1 .LBB65_29
; %bb.18:
	v_mov_b32_e32 v5, 0
	v_mov_b32_e32 v20, 0
	;; [unrolled: 1-line block ×3, first 2 shown]
	s_and_saveexec_b64 s[14:15], s[0:1]
	s_cbranch_execz .LBB65_28
; %bb.19:
	v_or_b32_e32 v1, 4, v0
	v_mov_b32_e32 v5, s23
	v_subrev_co_u32_e32 v1, vcc, s16, v1
	v_subb_co_u32_e32 v5, vcc, 0, v5, vcc
	v_add_co_u32_e32 v12, vcc, v1, v8
	v_addc_co_u32_e32 v13, vcc, v5, v9, vcc
	v_cmp_gt_i64_e32 vcc, v[12:13], v[10:11]
	v_cndmask_b32_e32 v1, v11, v13, vcc
	v_cndmask_b32_e32 v5, v10, v12, vcc
	v_mov_b32_e32 v14, s23
	v_sub_co_u32_e32 v15, vcc, s16, v0
	v_not_b32_e32 v13, v8
	v_subbrev_co_u32_e32 v14, vcc, 0, v14, vcc
	v_not_b32_e32 v12, v9
	v_add_co_u32_e32 v13, vcc, v15, v13
	v_addc_co_u32_e32 v14, vcc, v14, v12, vcc
	v_add_co_u32_e32 v12, vcc, v13, v5
	v_addc_co_u32_e32 v13, vcc, v14, v1, vcc
	v_lshrrev_b64 v[14:15], 2, v[12:13]
	v_add_co_u32_e32 v22, vcc, 1, v14
	v_addc_co_u32_e32 v17, vcc, 0, v15, vcc
	v_cmp_lt_u64_e32 vcc, 11, v[12:13]
	v_mov_b32_e32 v21, 0
	v_mov_b32_e32 v20, 0
	;; [unrolled: 1-line block ×4, first 2 shown]
	v_pk_mov_b32 v[14:15], v[6:7], v[6:7] op_sel:[0,1]
	v_pk_mov_b32 v[12:13], v[2:3], v[2:3] op_sel:[0,1]
	s_and_saveexec_b64 s[18:19], vcc
	s_cbranch_execz .LBB65_23
; %bb.20:
	v_lshlrev_b64 v[12:13], 2, v[6:7]
	v_mov_b32_e32 v1, s13
	v_add_co_u32_e32 v5, vcc, s12, v12
	v_addc_co_u32_e32 v1, vcc, v13, v1, vcc
	v_add_co_u32_e32 v18, vcc, 32, v5
	v_and_b32_e32 v16, -4, v22
	v_addc_co_u32_e32 v19, vcc, 0, v1, vcc
	s_mov_b64 s[20:21], 0
	v_mov_b32_e32 v1, 0
	s_waitcnt lgkmcnt(0)
	v_mov_b32_e32 v23, s11
	s_movk_i32 s24, 0x100
	v_pk_mov_b32 v[12:13], v[2:3], v[2:3] op_sel:[0,1]
	v_pk_mov_b32 v[14:15], v[6:7], v[6:7] op_sel:[0,1]
	v_mov_b32_e32 v5, 0
	v_mov_b32_e32 v20, 0
	;; [unrolled: 1-line block ×3, first 2 shown]
.LBB65_21:                              ; =>This Inner Loop Header: Depth=1
	global_load_dword v40, v[18:19], off offset:-32
	global_load_dword v41, v[18:19], off offset:-16
	global_load_dword v42, v[18:19], off
	global_load_dword v43, v[18:19], off offset:16
	global_load_dwordx4 v[24:27], v[12:13], off
	global_load_dwordx4 v[28:31], v[12:13], off offset:64
	global_load_dwordx4 v[32:35], v[12:13], off offset:128
	;; [unrolled: 1-line block ×3, first 2 shown]
	s_waitcnt vmcnt(7)
	v_subrev_u32_e32 v40, s16, v40
	s_waitcnt vmcnt(6)
	v_subrev_u32_e32 v41, s16, v41
	;; [unrolled: 2-line block ×4, first 2 shown]
	v_lshlrev_b32_e32 v45, 2, v40
	v_lshlrev_b32_e32 v40, 2, v41
	;; [unrolled: 1-line block ×4, first 2 shown]
	v_ashrrev_i32_e32 v47, 31, v45
	v_add_co_u32_e64 v46, s[8:9], s10, v45
	v_ashrrev_i32_e32 v48, 31, v40
	v_add_co_u32_e32 v40, vcc, s10, v40
	v_ashrrev_i32_e32 v49, 31, v41
	v_add_co_u32_e64 v42, s[2:3], s10, v41
	v_ashrrev_i32_e32 v50, 31, v43
	v_add_co_u32_e64 v44, s[6:7], s10, v43
	v_addc_co_u32_e64 v47, s[8:9], v23, v47, s[8:9]
	v_addc_co_u32_e32 v41, vcc, v23, v48, vcc
	v_addc_co_u32_e64 v43, vcc, v23, v49, s[2:3]
	v_addc_co_u32_e64 v45, vcc, v23, v50, s[6:7]
	global_load_dword v48, v[46:47], off
	global_load_dword v49, v[40:41], off
	global_load_dword v50, v[42:43], off
	global_load_dword v51, v[44:45], off
	v_add_co_u32_e64 v14, s[2:3], 16, v14
	s_waitcnt vmcnt(7)
	v_lshrrev_b16_e32 v40, 8, v24
	s_waitcnt vmcnt(6)
	v_lshrrev_b16_e32 v41, 8, v28
	s_waitcnt vmcnt(5)
	v_lshrrev_b16_e32 v42, 8, v32
	v_addc_co_u32_e64 v15, s[2:3], 0, v15, s[2:3]
	s_waitcnt vmcnt(4)
	v_lshrrev_b16_e32 v43, 8, v36
	v_bfe_i32 v40, v40, 0, 8
	v_bfe_i32 v41, v41, 0, 8
	;; [unrolled: 1-line block ×3, first 2 shown]
	v_add_co_u32_e32 v12, vcc, s24, v12
	v_add_co_u32_e64 v16, s[2:3], -4, v16
	v_bfe_i32 v43, v43, 0, 8
	v_addc_co_u32_e64 v17, s[2:3], -1, v17, s[2:3]
	v_addc_co_u32_e32 v13, vcc, 0, v13, vcc
	v_add_co_u32_e64 v18, s[2:3], 64, v18
	v_cmp_eq_u64_e32 vcc, 0, v[16:17]
	v_addc_co_u32_e64 v19, s[2:3], 0, v19, s[2:3]
	s_or_b64 s[20:21], vcc, s[20:21]
	s_waitcnt vmcnt(3)
	v_lshrrev_b16_e32 v44, 8, v48
	v_dot4c_i32_i8_e32 v20, v48, v25
	s_waitcnt vmcnt(2)
	v_lshrrev_b16_e32 v25, 8, v49
	s_waitcnt vmcnt(1)
	v_lshrrev_b16_e32 v47, 8, v50
	v_mul_i32_i24_sdwa v45, sext(v48), sext(v24) dst_sel:DWORD dst_unused:UNUSED_PAD src0_sel:BYTE_0 src1_sel:BYTE_0
	v_mul_i32_i24_sdwa v46, sext(v48), sext(v24) dst_sel:DWORD dst_unused:UNUSED_PAD src0_sel:BYTE_2 src1_sel:BYTE_2
	v_mul_i32_i24_sdwa v24, sext(v48), sext(v24) dst_sel:DWORD dst_unused:UNUSED_PAD src0_sel:BYTE_3 src1_sel:BYTE_3
	v_dot4c_i32_i8_e32 v5, v48, v26
	v_dot4c_i32_i8_e32 v1, v48, v27
	v_mul_i32_i24_sdwa v26, sext(v49), sext(v28) dst_sel:DWORD dst_unused:UNUSED_PAD src0_sel:BYTE_0 src1_sel:BYTE_0
	v_mul_i32_i24_sdwa v27, sext(v49), sext(v28) dst_sel:DWORD dst_unused:UNUSED_PAD src0_sel:BYTE_2 src1_sel:BYTE_2
	v_mul_i32_i24_sdwa v28, sext(v49), sext(v28) dst_sel:DWORD dst_unused:UNUSED_PAD src0_sel:BYTE_3 src1_sel:BYTE_3
	v_mul_i32_i24_sdwa v48, sext(v50), sext(v32) dst_sel:DWORD dst_unused:UNUSED_PAD src0_sel:BYTE_0 src1_sel:BYTE_0
	v_mul_i32_i24_sdwa v52, sext(v50), sext(v32) dst_sel:DWORD dst_unused:UNUSED_PAD src0_sel:BYTE_2 src1_sel:BYTE_2
	v_mul_i32_i24_sdwa v32, sext(v50), sext(v32) dst_sel:DWORD dst_unused:UNUSED_PAD src0_sel:BYTE_3 src1_sel:BYTE_3
	s_waitcnt vmcnt(0)
	v_lshrrev_b16_e32 v53, 8, v51
	v_bfe_i32 v44, v44, 0, 8
	v_bfe_i32 v25, v25, 0, 8
	v_dot4c_i32_i8_e32 v20, v49, v29
	v_bfe_i32 v29, v47, 0, 8
	v_mul_i32_i24_sdwa v54, sext(v51), sext(v36) dst_sel:DWORD dst_unused:UNUSED_PAD src0_sel:BYTE_0 src1_sel:BYTE_0
	v_mul_i32_i24_sdwa v55, sext(v51), sext(v36) dst_sel:DWORD dst_unused:UNUSED_PAD src0_sel:BYTE_2 src1_sel:BYTE_2
	v_mul_i32_i24_sdwa v36, sext(v51), sext(v36) dst_sel:DWORD dst_unused:UNUSED_PAD src0_sel:BYTE_3 src1_sel:BYTE_3
	v_dot4c_i32_i8_e32 v5, v49, v30
	v_bfe_i32 v30, v53, 0, 8
	v_mad_i32_i24 v24, v44, v40, v24
	v_mad_i32_i24 v25, v25, v41, v28
	;; [unrolled: 1-line block ×3, first 2 shown]
	v_dot4c_i32_i8_e32 v1, v49, v31
	v_mad_i32_i24 v29, v30, v43, v36
	v_add3_u32 v24, v45, v46, v24
	v_add3_u32 v25, v26, v27, v25
	;; [unrolled: 1-line block ×3, first 2 shown]
	v_dot4c_i32_i8_e32 v20, v50, v33
	v_dot4c_i32_i8_e32 v5, v50, v34
	v_dot4c_i32_i8_e32 v1, v50, v35
	v_add3_u32 v27, v54, v55, v29
	v_add3_u32 v24, v24, v25, v26
	v_dot4c_i32_i8_e32 v20, v51, v37
	v_dot4c_i32_i8_e32 v5, v51, v38
	;; [unrolled: 1-line block ×3, first 2 shown]
	v_add3_u32 v21, v24, v27, v21
	s_andn2_b64 exec, exec, s[20:21]
	s_cbranch_execnz .LBB65_21
; %bb.22:
	s_or_b64 exec, exec, s[20:21]
.LBB65_23:
	s_or_b64 exec, exec, s[18:19]
	v_and_b32_e32 v16, 3, v22
	v_mov_b32_e32 v17, 0
	s_mov_b64 s[6:7], 0
	v_cmp_ne_u64_e32 vcc, 0, v[16:17]
	s_and_saveexec_b64 s[2:3], vcc
	s_cbranch_execz .LBB65_27
; %bb.24:
	v_lshlrev_b64 v[14:15], 2, v[14:15]
	v_mov_b32_e32 v18, s13
	v_add_co_u32_e32 v14, vcc, s12, v14
	v_addc_co_u32_e32 v15, vcc, v18, v15, vcc
	v_lshlrev_b32_e32 v16, 2, v16
	s_waitcnt lgkmcnt(0)
	v_mov_b32_e32 v18, s11
.LBB65_25:                              ; =>This Inner Loop Header: Depth=1
	global_load_dword v19, v[14:15], off
	global_load_dwordx4 v[22:25], v[12:13], off
	s_waitcnt vmcnt(1)
	v_subrev_u32_e32 v19, s16, v19
	v_lshlrev_b32_e32 v19, 2, v19
	v_ashrrev_i32_e32 v27, 31, v19
	v_add_co_u32_e32 v26, vcc, s10, v19
	v_addc_co_u32_e32 v27, vcc, v18, v27, vcc
	global_load_dword v19, v[26:27], off
	v_add_co_u32_e32 v12, vcc, 64, v12
	v_addc_co_u32_e32 v13, vcc, 0, v13, vcc
	v_add_co_u32_e32 v14, vcc, 16, v14
	v_addc_co_u32_e32 v15, vcc, 0, v15, vcc
	v_add_co_u32_e32 v16, vcc, -4, v16
	s_waitcnt vmcnt(1)
	v_lshrrev_b16_e32 v26, 8, v22
	v_addc_co_u32_e32 v17, vcc, -1, v17, vcc
	v_bfe_i32 v27, v22, 0, 8
	v_bfe_i32 v26, v26, 0, 8
	v_cmp_eq_u64_e32 vcc, 0, v[16:17]
	s_or_b64 s[6:7], vcc, s[6:7]
	s_waitcnt vmcnt(0)
	v_lshrrev_b16_e32 v28, 8, v19
	v_bfe_i32 v29, v19, 0, 8
	v_mul_i32_i24_sdwa v30, sext(v19), sext(v22) dst_sel:DWORD dst_unused:UNUSED_PAD src0_sel:BYTE_2 src1_sel:BYTE_2
	v_mul_i32_i24_sdwa v22, sext(v19), sext(v22) dst_sel:DWORD dst_unused:UNUSED_PAD src0_sel:BYTE_3 src1_sel:BYTE_3
	v_dot4c_i32_i8_e32 v20, v19, v23
	v_dot4c_i32_i8_e32 v5, v19, v24
	;; [unrolled: 1-line block ×3, first 2 shown]
	v_bfe_i32 v19, v28, 0, 8
	v_mad_i32_i24 v23, v29, v27, v30
	v_mad_i32_i24 v19, v19, v26, v22
	v_add3_u32 v21, v23, v19, v21
	s_andn2_b64 exec, exec, s[6:7]
	s_cbranch_execnz .LBB65_25
; %bb.26:
	s_or_b64 exec, exec, s[6:7]
.LBB65_27:
	s_or_b64 exec, exec, s[2:3]
.LBB65_28:
	s_or_b64 exec, exec, s[14:15]
	s_cbranch_execz .LBB65_30
	s_branch .LBB65_41
.LBB65_29:
                                        ; implicit-def: $vgpr1
                                        ; implicit-def: $vgpr5
                                        ; implicit-def: $vgpr20
                                        ; implicit-def: $vgpr21
.LBB65_30:
	v_mov_b32_e32 v1, 0
	v_mov_b32_e32 v5, 0
	;; [unrolled: 1-line block ×4, first 2 shown]
	s_and_saveexec_b64 s[14:15], s[0:1]
	s_cbranch_execz .LBB65_40
; %bb.31:
	v_or_b32_e32 v1, 4, v0
	v_mov_b32_e32 v5, s23
	v_subrev_co_u32_e32 v1, vcc, s16, v1
	v_subb_co_u32_e32 v5, vcc, 0, v5, vcc
	v_add_co_u32_e32 v12, vcc, v1, v8
	v_addc_co_u32_e32 v13, vcc, v5, v9, vcc
	v_cmp_gt_i64_e32 vcc, v[12:13], v[10:11]
	v_cndmask_b32_e32 v1, v11, v13, vcc
	v_cndmask_b32_e32 v5, v10, v12, vcc
	v_mov_b32_e32 v10, s23
	v_sub_co_u32_e32 v11, vcc, s16, v0
	v_not_b32_e32 v8, v8
	v_subbrev_co_u32_e32 v10, vcc, 0, v10, vcc
	v_not_b32_e32 v9, v9
	v_add_co_u32_e32 v8, vcc, v11, v8
	v_addc_co_u32_e32 v9, vcc, v10, v9, vcc
	v_add_co_u32_e32 v10, vcc, v8, v5
	v_addc_co_u32_e32 v11, vcc, v9, v1, vcc
	v_lshrrev_b64 v[8:9], 2, v[10:11]
	v_add_co_u32_e32 v12, vcc, 1, v8
	v_addc_co_u32_e32 v9, vcc, 0, v9, vcc
	v_cmp_lt_u64_e32 vcc, 11, v[10:11]
	v_mov_b32_e32 v21, 0
	v_mov_b32_e32 v20, 0
	v_mov_b32_e32 v5, 0
	v_mov_b32_e32 v1, 0
	s_and_saveexec_b64 s[18:19], vcc
	s_cbranch_execz .LBB65_35
; %bb.32:
	v_lshlrev_b64 v[10:11], 2, v[6:7]
	v_mov_b32_e32 v1, s13
	v_add_co_u32_e32 v5, vcc, s12, v10
	v_addc_co_u32_e32 v1, vcc, v11, v1, vcc
	v_add_co_u32_e32 v10, vcc, 32, v5
	v_and_b32_e32 v8, -4, v12
	v_addc_co_u32_e32 v11, vcc, 0, v1, vcc
	s_mov_b64 s[20:21], 0
	v_mov_b32_e32 v1, 0
	s_waitcnt lgkmcnt(0)
	v_mov_b32_e32 v13, s11
	s_mov_b32 s23, 0xc0c0400
	s_mov_b32 s24, 0x4000c0c
	;; [unrolled: 1-line block ×8, first 2 shown]
	s_movk_i32 s31, 0x100
	v_mov_b32_e32 v5, 0
	v_mov_b32_e32 v20, 0
	;; [unrolled: 1-line block ×3, first 2 shown]
.LBB65_33:                              ; =>This Inner Loop Header: Depth=1
	global_load_dword v18, v[10:11], off offset:-32
	global_load_dword v19, v[10:11], off offset:-16
	global_load_dword v34, v[10:11], off
	global_load_dword v35, v[10:11], off offset:16
	global_load_dwordx4 v[14:17], v[2:3], off
	global_load_dwordx4 v[22:25], v[2:3], off offset:64
	global_load_dwordx4 v[26:29], v[2:3], off offset:128
	;; [unrolled: 1-line block ×3, first 2 shown]
	v_add_co_u32_e32 v2, vcc, s31, v2
	v_addc_co_u32_e32 v3, vcc, 0, v3, vcc
	s_waitcnt vmcnt(7)
	v_subrev_u32_e32 v18, s16, v18
	s_waitcnt vmcnt(6)
	v_subrev_u32_e32 v19, s16, v19
	;; [unrolled: 2-line block ×4, first 2 shown]
	v_lshlrev_b32_e32 v37, 2, v18
	v_lshlrev_b32_e32 v18, 2, v19
	v_lshlrev_b32_e32 v19, 2, v34
	v_lshlrev_b32_e32 v35, 2, v35
	v_ashrrev_i32_e32 v39, 31, v37
	v_add_co_u32_e64 v38, s[8:9], s10, v37
	v_ashrrev_i32_e32 v40, 31, v18
	v_add_co_u32_e64 v18, s[0:1], s10, v18
	;; [unrolled: 2-line block ×4, first 2 shown]
	v_addc_co_u32_e64 v39, s[8:9], v13, v39, s[8:9]
	v_addc_co_u32_e64 v19, s[0:1], v13, v40, s[0:1]
	;; [unrolled: 1-line block ×4, first 2 shown]
	global_load_dword v40, v[38:39], off
	global_load_dword v41, v[18:19], off
	;; [unrolled: 1-line block ×4, first 2 shown]
	v_add_co_u32_e64 v6, s[0:1], 16, v6
	s_waitcnt vmcnt(7)
	v_perm_b32 v18, v15, v14, s23
	v_perm_b32 v19, v17, v16, s24
	;; [unrolled: 1-line block ×8, first 2 shown]
	v_addc_co_u32_e64 v7, s[0:1], 0, v7, s[0:1]
	s_waitcnt vmcnt(6)
	v_perm_b32 v16, v23, v22, s23
	v_perm_b32 v17, v25, v24, s24
	v_perm_b32 v38, v23, v22, s25
	v_perm_b32 v39, v25, v24, s26
	v_perm_b32 v44, v23, v22, s27
	v_perm_b32 v45, v25, v24, s28
	v_perm_b32 v22, v23, v22, s29
	v_perm_b32 v23, v25, v24, s30
	s_waitcnt vmcnt(5)
	v_perm_b32 v24, v27, v26, s23
	v_perm_b32 v25, v29, v28, s24
	v_perm_b32 v46, v27, v26, s25
	v_perm_b32 v47, v29, v28, s26
	v_perm_b32 v48, v27, v26, s27
	v_perm_b32 v49, v29, v28, s28
	v_perm_b32 v26, v27, v26, s29
	v_perm_b32 v27, v29, v28, s30
	;; [unrolled: 9-line block ×3, first 2 shown]
	v_or_b32_e32 v18, v19, v18
	v_or_b32_e32 v19, v35, v34
	;; [unrolled: 1-line block ×4, first 2 shown]
	v_add_co_u32_e64 v8, s[0:1], -4, v8
	v_or_b32_e32 v15, v17, v16
	v_or_b32_e32 v16, v39, v38
	;; [unrolled: 1-line block ×4, first 2 shown]
	v_addc_co_u32_e64 v9, s[0:1], -1, v9, s[0:1]
	v_or_b32_e32 v23, v25, v24
	v_or_b32_e32 v24, v47, v46
	;; [unrolled: 1-line block ×4, first 2 shown]
	v_add_co_u32_e64 v10, s[0:1], 64, v10
	v_cmp_eq_u64_e32 vcc, 0, v[8:9]
	v_or_b32_e32 v27, v29, v28
	v_or_b32_e32 v28, v51, v50
	;; [unrolled: 1-line block ×4, first 2 shown]
	v_addc_co_u32_e64 v11, s[0:1], 0, v11, s[0:1]
	s_or_b64 s[20:21], vcc, s[20:21]
	s_waitcnt vmcnt(3)
	v_dot4c_i32_i8_e32 v21, v40, v18
	v_dot4c_i32_i8_e32 v20, v19, v40
	v_dot4c_i32_i8_e32 v5, v32, v40
	v_dot4c_i32_i8_e32 v1, v14, v40
	s_waitcnt vmcnt(2)
	v_dot4c_i32_i8_e32 v21, v41, v15
	v_dot4c_i32_i8_e32 v20, v16, v41
	v_dot4c_i32_i8_e32 v5, v17, v41
	v_dot4c_i32_i8_e32 v1, v22, v41
	s_waitcnt vmcnt(1)
	v_dot4c_i32_i8_e32 v21, v42, v23
	v_dot4c_i32_i8_e32 v20, v24, v42
	v_dot4c_i32_i8_e32 v5, v25, v42
	v_dot4c_i32_i8_e32 v1, v26, v42
	s_waitcnt vmcnt(0)
	v_dot4c_i32_i8_e32 v21, v43, v27
	v_dot4c_i32_i8_e32 v20, v28, v43
	v_dot4c_i32_i8_e32 v5, v29, v43
	v_dot4c_i32_i8_e32 v1, v30, v43
	s_andn2_b64 exec, exec, s[20:21]
	s_cbranch_execnz .LBB65_33
; %bb.34:
	s_or_b64 exec, exec, s[20:21]
.LBB65_35:
	s_or_b64 exec, exec, s[18:19]
	v_and_b32_e32 v8, 3, v12
	v_mov_b32_e32 v9, 0
	s_mov_b64 s[2:3], 0
	v_cmp_ne_u64_e32 vcc, 0, v[8:9]
	s_and_saveexec_b64 s[0:1], vcc
	s_cbranch_execz .LBB65_39
; %bb.36:
	v_lshlrev_b64 v[6:7], 2, v[6:7]
	v_mov_b32_e32 v10, s13
	v_add_co_u32_e32 v6, vcc, s12, v6
	v_addc_co_u32_e32 v7, vcc, v10, v7, vcc
	v_lshlrev_b32_e32 v8, 2, v8
	s_waitcnt lgkmcnt(0)
	v_mov_b32_e32 v10, s11
	s_mov_b32 s6, 0xc0c0400
	s_mov_b32 s7, 0x4000c0c
	;; [unrolled: 1-line block ×8, first 2 shown]
.LBB65_37:                              ; =>This Inner Loop Header: Depth=1
	global_load_dword v11, v[6:7], off
	global_load_dwordx4 v[12:15], v[2:3], off
	s_waitcnt vmcnt(1)
	v_subrev_u32_e32 v11, s16, v11
	v_lshlrev_b32_e32 v11, 2, v11
	v_ashrrev_i32_e32 v17, 31, v11
	v_add_co_u32_e32 v16, vcc, s10, v11
	v_addc_co_u32_e32 v17, vcc, v10, v17, vcc
	global_load_dword v11, v[16:17], off
	v_add_co_u32_e32 v2, vcc, 64, v2
	v_addc_co_u32_e32 v3, vcc, 0, v3, vcc
	v_add_co_u32_e32 v6, vcc, 16, v6
	v_addc_co_u32_e32 v7, vcc, 0, v7, vcc
	v_add_co_u32_e32 v8, vcc, -4, v8
	v_addc_co_u32_e32 v9, vcc, -1, v9, vcc
	s_waitcnt vmcnt(1)
	v_perm_b32 v16, v13, v12, s6
	v_perm_b32 v17, v15, v14, s7
	;; [unrolled: 1-line block ×8, first 2 shown]
	v_cmp_eq_u64_e32 vcc, 0, v[8:9]
	v_or_b32_e32 v14, v17, v16
	v_or_b32_e32 v15, v19, v18
	;; [unrolled: 1-line block ×4, first 2 shown]
	s_or_b64 s[2:3], vcc, s[2:3]
	s_waitcnt vmcnt(0)
	v_dot4c_i32_i8_e32 v21, v11, v14
	v_dot4c_i32_i8_e32 v20, v15, v11
	;; [unrolled: 1-line block ×4, first 2 shown]
	s_andn2_b64 exec, exec, s[2:3]
	s_cbranch_execnz .LBB65_37
; %bb.38:
	s_or_b64 exec, exec, s[2:3]
.LBB65_39:
	s_or_b64 exec, exec, s[0:1]
.LBB65_40:
	s_or_b64 exec, exec, s[14:15]
.LBB65_41:
	v_mov_b32_dpp v2, v21 row_shr:1 row_mask:0xf bank_mask:0xf
	v_mov_b32_dpp v6, v20 row_shr:1 row_mask:0xf bank_mask:0xf
	;; [unrolled: 1-line block ×4, first 2 shown]
	v_add_u32_e32 v2, v2, v21
	v_add_u32_e32 v6, v6, v20
	;; [unrolled: 1-line block ×4, first 2 shown]
	v_mov_b32_dpp v3, v2 row_shr:2 row_mask:0xf bank_mask:0xf
	v_mov_b32_dpp v7, v6 row_shr:2 row_mask:0xf bank_mask:0xf
	;; [unrolled: 1-line block ×4, first 2 shown]
	v_cmp_eq_u32_e32 vcc, 3, v0
	s_and_b64 exec, exec, vcc
	s_cbranch_execz .LBB65_14
; %bb.42:
	s_load_dwordx2 s[0:1], s[4:5], 0x50
	v_add_u32_e32 v0, v2, v3
	v_add_u32_e32 v2, v6, v7
	;; [unrolled: 1-line block ×4, first 2 shown]
	s_cmp_eq_u32 s22, 0
	v_mul_lo_u32 v0, v0, s17
	v_mul_lo_u32 v8, v2, s17
	;; [unrolled: 1-line block ×4, first 2 shown]
	v_lshlrev_b32_e32 v4, 2, v4
	s_cbranch_scc1 .LBB65_44
; %bb.43:
	v_ashrrev_i32_e32 v5, 31, v4
	v_lshlrev_b64 v[10:11], 2, v[4:5]
	s_waitcnt lgkmcnt(0)
	v_mov_b32_e32 v1, s1
	v_add_co_u32_e32 v18, vcc, s0, v10
	v_addc_co_u32_e32 v19, vcc, v1, v11, vcc
	global_load_dwordx4 v[10:13], v[18:19], off
	s_waitcnt vmcnt(0)
	v_mad_u64_u32 v[14:15], s[2:3], v10, s22, v[0:1]
	v_mad_u64_u32 v[10:11], s[2:3], v11, s22, v[8:9]
	v_mad_u64_u32 v[16:17], s[2:3], v12, s22, v[2:3]
	v_mad_u64_u32 v[12:13], s[2:3], v13, s22, v[6:7]
	v_mov_b32_e32 v15, v10
	v_mov_b32_e32 v17, v12
	global_store_dwordx4 v[18:19], v[14:17], off
	s_cbranch_execnz .LBB65_14
	s_branch .LBB65_45
.LBB65_44:
.LBB65_45:
	v_ashrrev_i32_e32 v5, 31, v4
	v_lshlrev_b64 v[4:5], 2, v[4:5]
	s_waitcnt lgkmcnt(0)
	v_mov_b32_e32 v1, s1
	v_add_co_u32_e32 v4, vcc, s0, v4
	v_addc_co_u32_e32 v5, vcc, v1, v5, vcc
	v_mov_b32_e32 v1, v8
	v_mov_b32_e32 v3, v6
	global_store_dwordx4 v[4:5], v[0:3], off
	s_endpgm
	.section	.rodata,"a",@progbits
	.p2align	6, 0x0
	.amdhsa_kernel _ZN9rocsparseL18bsrxmvn_4x4_kernelILj128ELj4EiliaaiEEvT3_20rocsparse_direction_NS_24const_host_device_scalarIT1_EES1_PKS1_PKT2_SA_S7_PKT4_PKT5_S5_PT6_21rocsparse_index_base_b
		.amdhsa_group_segment_fixed_size 0
		.amdhsa_private_segment_fixed_size 0
		.amdhsa_kernarg_size 96
		.amdhsa_user_sgpr_count 6
		.amdhsa_user_sgpr_private_segment_buffer 1
		.amdhsa_user_sgpr_dispatch_ptr 0
		.amdhsa_user_sgpr_queue_ptr 0
		.amdhsa_user_sgpr_kernarg_segment_ptr 1
		.amdhsa_user_sgpr_dispatch_id 0
		.amdhsa_user_sgpr_flat_scratch_init 0
		.amdhsa_user_sgpr_kernarg_preload_length 0
		.amdhsa_user_sgpr_kernarg_preload_offset 0
		.amdhsa_user_sgpr_private_segment_size 0
		.amdhsa_uses_dynamic_stack 0
		.amdhsa_system_sgpr_private_segment_wavefront_offset 0
		.amdhsa_system_sgpr_workgroup_id_x 1
		.amdhsa_system_sgpr_workgroup_id_y 0
		.amdhsa_system_sgpr_workgroup_id_z 0
		.amdhsa_system_sgpr_workgroup_info 0
		.amdhsa_system_vgpr_workitem_id 0
		.amdhsa_next_free_vgpr 56
		.amdhsa_next_free_sgpr 32
		.amdhsa_accum_offset 56
		.amdhsa_reserve_vcc 1
		.amdhsa_reserve_flat_scratch 0
		.amdhsa_float_round_mode_32 0
		.amdhsa_float_round_mode_16_64 0
		.amdhsa_float_denorm_mode_32 3
		.amdhsa_float_denorm_mode_16_64 3
		.amdhsa_dx10_clamp 1
		.amdhsa_ieee_mode 1
		.amdhsa_fp16_overflow 0
		.amdhsa_tg_split 0
		.amdhsa_exception_fp_ieee_invalid_op 0
		.amdhsa_exception_fp_denorm_src 0
		.amdhsa_exception_fp_ieee_div_zero 0
		.amdhsa_exception_fp_ieee_overflow 0
		.amdhsa_exception_fp_ieee_underflow 0
		.amdhsa_exception_fp_ieee_inexact 0
		.amdhsa_exception_int_div_zero 0
	.end_amdhsa_kernel
	.section	.text._ZN9rocsparseL18bsrxmvn_4x4_kernelILj128ELj4EiliaaiEEvT3_20rocsparse_direction_NS_24const_host_device_scalarIT1_EES1_PKS1_PKT2_SA_S7_PKT4_PKT5_S5_PT6_21rocsparse_index_base_b,"axG",@progbits,_ZN9rocsparseL18bsrxmvn_4x4_kernelILj128ELj4EiliaaiEEvT3_20rocsparse_direction_NS_24const_host_device_scalarIT1_EES1_PKS1_PKT2_SA_S7_PKT4_PKT5_S5_PT6_21rocsparse_index_base_b,comdat
.Lfunc_end65:
	.size	_ZN9rocsparseL18bsrxmvn_4x4_kernelILj128ELj4EiliaaiEEvT3_20rocsparse_direction_NS_24const_host_device_scalarIT1_EES1_PKS1_PKT2_SA_S7_PKT4_PKT5_S5_PT6_21rocsparse_index_base_b, .Lfunc_end65-_ZN9rocsparseL18bsrxmvn_4x4_kernelILj128ELj4EiliaaiEEvT3_20rocsparse_direction_NS_24const_host_device_scalarIT1_EES1_PKS1_PKT2_SA_S7_PKT4_PKT5_S5_PT6_21rocsparse_index_base_b
                                        ; -- End function
	.section	.AMDGPU.csdata,"",@progbits
; Kernel info:
; codeLenInByte = 3268
; NumSgprs: 36
; NumVgprs: 56
; NumAgprs: 0
; TotalNumVgprs: 56
; ScratchSize: 0
; MemoryBound: 0
; FloatMode: 240
; IeeeMode: 1
; LDSByteSize: 0 bytes/workgroup (compile time only)
; SGPRBlocks: 4
; VGPRBlocks: 6
; NumSGPRsForWavesPerEU: 36
; NumVGPRsForWavesPerEU: 56
; AccumOffset: 56
; Occupancy: 8
; WaveLimiterHint : 1
; COMPUTE_PGM_RSRC2:SCRATCH_EN: 0
; COMPUTE_PGM_RSRC2:USER_SGPR: 6
; COMPUTE_PGM_RSRC2:TRAP_HANDLER: 0
; COMPUTE_PGM_RSRC2:TGID_X_EN: 1
; COMPUTE_PGM_RSRC2:TGID_Y_EN: 0
; COMPUTE_PGM_RSRC2:TGID_Z_EN: 0
; COMPUTE_PGM_RSRC2:TIDIG_COMP_CNT: 0
; COMPUTE_PGM_RSRC3_GFX90A:ACCUM_OFFSET: 13
; COMPUTE_PGM_RSRC3_GFX90A:TG_SPLIT: 0
	.section	.text._ZN9rocsparseL18bsrxmvn_4x4_kernelILj128ELj8EiliaaiEEvT3_20rocsparse_direction_NS_24const_host_device_scalarIT1_EES1_PKS1_PKT2_SA_S7_PKT4_PKT5_S5_PT6_21rocsparse_index_base_b,"axG",@progbits,_ZN9rocsparseL18bsrxmvn_4x4_kernelILj128ELj8EiliaaiEEvT3_20rocsparse_direction_NS_24const_host_device_scalarIT1_EES1_PKS1_PKT2_SA_S7_PKT4_PKT5_S5_PT6_21rocsparse_index_base_b,comdat
	.globl	_ZN9rocsparseL18bsrxmvn_4x4_kernelILj128ELj8EiliaaiEEvT3_20rocsparse_direction_NS_24const_host_device_scalarIT1_EES1_PKS1_PKT2_SA_S7_PKT4_PKT5_S5_PT6_21rocsparse_index_base_b ; -- Begin function _ZN9rocsparseL18bsrxmvn_4x4_kernelILj128ELj8EiliaaiEEvT3_20rocsparse_direction_NS_24const_host_device_scalarIT1_EES1_PKS1_PKT2_SA_S7_PKT4_PKT5_S5_PT6_21rocsparse_index_base_b
	.p2align	8
	.type	_ZN9rocsparseL18bsrxmvn_4x4_kernelILj128ELj8EiliaaiEEvT3_20rocsparse_direction_NS_24const_host_device_scalarIT1_EES1_PKS1_PKT2_SA_S7_PKT4_PKT5_S5_PT6_21rocsparse_index_base_b,@function
_ZN9rocsparseL18bsrxmvn_4x4_kernelILj128ELj8EiliaaiEEvT3_20rocsparse_direction_NS_24const_host_device_scalarIT1_EES1_PKS1_PKT2_SA_S7_PKT4_PKT5_S5_PT6_21rocsparse_index_base_b: ; @_ZN9rocsparseL18bsrxmvn_4x4_kernelILj128ELj8EiliaaiEEvT3_20rocsparse_direction_NS_24const_host_device_scalarIT1_EES1_PKS1_PKT2_SA_S7_PKT4_PKT5_S5_PT6_21rocsparse_index_base_b
; %bb.0:
	s_load_dwordx2 s[16:17], s[4:5], 0x58
	s_load_dwordx2 s[8:9], s[4:5], 0x8
	s_mov_b64 s[10:11], -1
	s_waitcnt lgkmcnt(0)
	s_bitcmp1_b32 s17, 0
	s_cselect_b64 s[0:1], -1, 0
	s_xor_b64 s[2:3], s[0:1], -1
	s_and_b64 vcc, exec, s[2:3]
                                        ; implicit-def: $sgpr17
	s_cbranch_vccnz .LBB66_4
; %bb.1:
	s_load_dwordx2 s[0:1], s[4:5], 0x48
	s_andn2_b64 vcc, exec, s[10:11]
	s_cbranch_vccz .LBB66_5
.LBB66_2:
	s_and_b64 vcc, exec, s[2:3]
	s_cbranch_vccz .LBB66_6
.LBB66_3:
	s_waitcnt lgkmcnt(0)
	s_load_dword s24, s[0:1], 0x0
	s_cbranch_execz .LBB66_7
	s_branch .LBB66_8
.LBB66_4:
	s_load_dword s17, s[8:9], 0x0
	s_load_dwordx2 s[0:1], s[4:5], 0x48
	s_cbranch_execnz .LBB66_2
.LBB66_5:
	s_waitcnt lgkmcnt(0)
	s_mov_b32 s17, s8
	s_and_b64 vcc, exec, s[2:3]
	s_cbranch_vccnz .LBB66_3
.LBB66_6:
                                        ; implicit-def: $sgpr24
.LBB66_7:
	s_waitcnt lgkmcnt(0)
	s_mov_b32 s24, s0
.LBB66_8:
	s_waitcnt lgkmcnt(0)
	s_cmp_lg_u32 s17, 0
	s_cselect_b64 s[0:1], -1, 0
	s_cmp_lg_u32 s24, 1
	s_cselect_b64 s[2:3], -1, 0
	s_or_b64 s[0:1], s[0:1], s[2:3]
	s_andn2_b64 vcc, exec, s[0:1]
	s_cbranch_vccnz .LBB66_14
; %bb.9:
	s_load_dwordx2 s[8:9], s[4:5], 0x18
	s_load_dwordx2 s[0:1], s[4:5], 0x0
	v_lshrrev_b32_e32 v1, 3, v0
	v_lshl_or_b32 v4, s6, 4, v1
	s_mov_b64 s[2:3], 0
	s_waitcnt lgkmcnt(0)
	s_cmp_lg_u64 s[8:9], 0
	s_cbranch_scc0 .LBB66_15
; %bb.10:
	s_load_dword s6, s[4:5], 0x10
                                        ; implicit-def: $vgpr1
	s_waitcnt lgkmcnt(0)
	v_cmp_gt_i32_e32 vcc, s6, v4
	s_and_saveexec_b64 s[6:7], vcc
	s_xor_b64 s[6:7], exec, s[6:7]
	s_cbranch_execz .LBB66_12
; %bb.11:
	v_ashrrev_i32_e32 v5, 31, v4
	v_lshlrev_b64 v[2:3], 2, v[4:5]
	v_mov_b32_e32 v1, s9
	v_add_co_u32_e32 v2, vcc, s8, v2
	v_addc_co_u32_e32 v3, vcc, v1, v3, vcc
	global_load_dword v1, v[2:3], off
	s_mov_b64 s[2:3], exec
	s_waitcnt vmcnt(0)
	v_subrev_u32_e32 v1, s16, v1
.LBB66_12:
	s_or_b64 exec, exec, s[6:7]
	s_branch .LBB66_16
.LBB66_13:
	v_cmp_gt_i32_e32 vcc, s0, v4
	s_andn2_b64 s[2:3], s[2:3], exec
	s_and_b64 s[6:7], vcc, exec
	s_or_b64 s[2:3], s[2:3], s[6:7]
	s_and_saveexec_b64 s[6:7], s[2:3]
	s_cbranch_execnz .LBB66_17
.LBB66_14:
	s_endpgm
.LBB66_15:
                                        ; implicit-def: $vgpr1
	s_cbranch_execnz .LBB66_13
.LBB66_16:
	v_mov_b32_e32 v4, v1
	s_and_saveexec_b64 s[6:7], s[2:3]
	s_cbranch_execz .LBB66_14
.LBB66_17:
	s_load_dwordx8 s[8:15], s[4:5], 0x20
	v_ashrrev_i32_e32 v5, 31, v4
	v_lshlrev_b64 v[2:3], 3, v[4:5]
	v_and_b32_e32 v0, 7, v0
	s_load_dwordx2 s[18:19], s[4:5], 0x40
	s_waitcnt lgkmcnt(0)
	v_mov_b32_e32 v1, s9
	v_add_co_u32_e32 v6, vcc, s8, v2
	v_addc_co_u32_e32 v7, vcc, v1, v3, vcc
	v_add_co_u32_e32 v1, vcc, 8, v6
	v_addc_co_u32_e32 v5, vcc, 0, v7, vcc
	global_load_dwordx2 v[8:9], v[6:7], off
	v_mov_b32_e32 v6, s11
	v_add_co_u32_e32 v2, vcc, s10, v2
	s_cmp_eq_u64 s[10:11], 0
	v_addc_co_u32_e32 v3, vcc, v6, v3, vcc
	s_cselect_b64 vcc, -1, 0
	v_cndmask_b32_e32 v3, v3, v5, vcc
	v_cndmask_b32_e32 v2, v2, v1, vcc
	global_load_dwordx2 v[2:3], v[2:3], off
	v_mov_b32_e32 v5, s15
	s_mov_b32 s22, 0
	v_mov_b32_e32 v1, 0
	s_cmp_eq_u32 s1, 1
	s_waitcnt vmcnt(1)
	v_subrev_co_u32_e32 v6, vcc, s16, v8
	v_subbrev_co_u32_e32 v7, vcc, 0, v9, vcc
	v_add_co_u32_e32 v6, vcc, v6, v0
	v_addc_co_u32_e32 v7, vcc, 0, v7, vcc
	s_waitcnt vmcnt(0)
	v_subrev_co_u32_e32 v10, vcc, s16, v2
	v_subbrev_co_u32_e32 v11, vcc, 0, v3, vcc
	v_lshlrev_b64 v[2:3], 4, v[6:7]
	v_add_co_u32_e32 v2, vcc, s14, v2
	v_addc_co_u32_e32 v3, vcc, v5, v3, vcc
	v_cmp_lt_i64_e64 s[0:1], v[6:7], v[10:11]
	s_cbranch_scc1 .LBB66_29
; %bb.18:
	v_mov_b32_e32 v5, 0
	v_mov_b32_e32 v20, 0
	;; [unrolled: 1-line block ×3, first 2 shown]
	s_and_saveexec_b64 s[10:11], s[0:1]
	s_cbranch_execz .LBB66_28
; %bb.19:
	v_or_b32_e32 v1, 8, v0
	v_mov_b32_e32 v5, s22
	v_subrev_co_u32_e32 v1, vcc, s16, v1
	v_subb_co_u32_e32 v5, vcc, 0, v5, vcc
	v_add_co_u32_e32 v12, vcc, v1, v8
	v_addc_co_u32_e32 v13, vcc, v5, v9, vcc
	v_cmp_gt_i64_e32 vcc, v[12:13], v[10:11]
	v_cndmask_b32_e32 v1, v11, v13, vcc
	v_cndmask_b32_e32 v5, v10, v12, vcc
	v_mov_b32_e32 v14, s22
	v_sub_co_u32_e32 v15, vcc, s16, v0
	v_not_b32_e32 v13, v8
	v_subbrev_co_u32_e32 v14, vcc, 0, v14, vcc
	v_not_b32_e32 v12, v9
	v_add_co_u32_e32 v13, vcc, v15, v13
	v_addc_co_u32_e32 v14, vcc, v14, v12, vcc
	v_add_co_u32_e32 v12, vcc, v13, v5
	v_addc_co_u32_e32 v13, vcc, v14, v1, vcc
	v_lshrrev_b64 v[14:15], 3, v[12:13]
	v_add_co_u32_e32 v22, vcc, 1, v14
	v_addc_co_u32_e32 v17, vcc, 0, v15, vcc
	v_cmp_lt_u64_e32 vcc, 23, v[12:13]
	v_mov_b32_e32 v21, 0
	v_mov_b32_e32 v20, 0
	;; [unrolled: 1-line block ×4, first 2 shown]
	v_pk_mov_b32 v[14:15], v[6:7], v[6:7] op_sel:[0,1]
	v_pk_mov_b32 v[12:13], v[2:3], v[2:3] op_sel:[0,1]
	s_and_saveexec_b64 s[14:15], vcc
	s_cbranch_execz .LBB66_23
; %bb.20:
	v_lshlrev_b64 v[12:13], 2, v[6:7]
	v_mov_b32_e32 v1, s13
	v_add_co_u32_e32 v5, vcc, s12, v12
	v_addc_co_u32_e32 v1, vcc, v13, v1, vcc
	v_add_co_u32_e32 v18, vcc, 64, v5
	v_and_b32_e32 v16, -4, v22
	v_addc_co_u32_e32 v19, vcc, 0, v1, vcc
	s_mov_b64 s[20:21], 0
	v_mov_b32_e32 v1, 0
	v_mov_b32_e32 v23, s19
	s_movk_i32 s23, 0x200
	v_pk_mov_b32 v[12:13], v[2:3], v[2:3] op_sel:[0,1]
	v_pk_mov_b32 v[14:15], v[6:7], v[6:7] op_sel:[0,1]
	v_mov_b32_e32 v5, 0
	v_mov_b32_e32 v20, 0
	;; [unrolled: 1-line block ×3, first 2 shown]
.LBB66_21:                              ; =>This Inner Loop Header: Depth=1
	global_load_dword v40, v[18:19], off offset:-64
	global_load_dword v41, v[18:19], off offset:-32
	global_load_dword v42, v[18:19], off
	global_load_dword v43, v[18:19], off offset:32
	global_load_dwordx4 v[24:27], v[12:13], off
	global_load_dwordx4 v[28:31], v[12:13], off offset:128
	global_load_dwordx4 v[32:35], v[12:13], off offset:256
	;; [unrolled: 1-line block ×3, first 2 shown]
	s_waitcnt vmcnt(7)
	v_subrev_u32_e32 v40, s16, v40
	s_waitcnt vmcnt(6)
	v_subrev_u32_e32 v41, s16, v41
	;; [unrolled: 2-line block ×4, first 2 shown]
	v_lshlrev_b32_e32 v45, 2, v40
	v_lshlrev_b32_e32 v40, 2, v41
	;; [unrolled: 1-line block ×4, first 2 shown]
	v_ashrrev_i32_e32 v47, 31, v45
	v_add_co_u32_e64 v46, s[8:9], s18, v45
	v_ashrrev_i32_e32 v48, 31, v40
	v_add_co_u32_e32 v40, vcc, s18, v40
	v_ashrrev_i32_e32 v49, 31, v41
	v_add_co_u32_e64 v42, s[2:3], s18, v41
	v_ashrrev_i32_e32 v50, 31, v43
	v_add_co_u32_e64 v44, s[6:7], s18, v43
	v_addc_co_u32_e64 v47, s[8:9], v23, v47, s[8:9]
	v_addc_co_u32_e32 v41, vcc, v23, v48, vcc
	v_addc_co_u32_e64 v43, vcc, v23, v49, s[2:3]
	v_addc_co_u32_e64 v45, vcc, v23, v50, s[6:7]
	global_load_dword v48, v[46:47], off
	global_load_dword v49, v[40:41], off
	;; [unrolled: 1-line block ×4, first 2 shown]
	v_add_co_u32_e64 v14, s[2:3], 32, v14
	s_waitcnt vmcnt(7)
	v_lshrrev_b16_e32 v40, 8, v24
	s_waitcnt vmcnt(6)
	v_lshrrev_b16_e32 v41, 8, v28
	;; [unrolled: 2-line block ×3, first 2 shown]
	v_addc_co_u32_e64 v15, s[2:3], 0, v15, s[2:3]
	s_waitcnt vmcnt(4)
	v_lshrrev_b16_e32 v43, 8, v36
	v_bfe_i32 v40, v40, 0, 8
	v_bfe_i32 v41, v41, 0, 8
	;; [unrolled: 1-line block ×3, first 2 shown]
	v_add_co_u32_e32 v12, vcc, s23, v12
	v_add_co_u32_e64 v16, s[2:3], -4, v16
	v_bfe_i32 v43, v43, 0, 8
	v_addc_co_u32_e64 v17, s[2:3], -1, v17, s[2:3]
	v_addc_co_u32_e32 v13, vcc, 0, v13, vcc
	v_add_co_u32_e32 v18, vcc, 0x80, v18
	v_cmp_eq_u64_e64 s[2:3], 0, v[16:17]
	v_addc_co_u32_e32 v19, vcc, 0, v19, vcc
	s_or_b64 s[20:21], s[2:3], s[20:21]
	s_waitcnt vmcnt(3)
	v_lshrrev_b16_e32 v44, 8, v48
	v_dot4c_i32_i8_e32 v20, v48, v25
	s_waitcnt vmcnt(2)
	v_lshrrev_b16_e32 v25, 8, v49
	s_waitcnt vmcnt(1)
	v_lshrrev_b16_e32 v47, 8, v50
	v_mul_i32_i24_sdwa v45, sext(v48), sext(v24) dst_sel:DWORD dst_unused:UNUSED_PAD src0_sel:BYTE_0 src1_sel:BYTE_0
	v_mul_i32_i24_sdwa v46, sext(v48), sext(v24) dst_sel:DWORD dst_unused:UNUSED_PAD src0_sel:BYTE_2 src1_sel:BYTE_2
	v_mul_i32_i24_sdwa v24, sext(v48), sext(v24) dst_sel:DWORD dst_unused:UNUSED_PAD src0_sel:BYTE_3 src1_sel:BYTE_3
	v_dot4c_i32_i8_e32 v5, v48, v26
	v_dot4c_i32_i8_e32 v1, v48, v27
	v_mul_i32_i24_sdwa v26, sext(v49), sext(v28) dst_sel:DWORD dst_unused:UNUSED_PAD src0_sel:BYTE_0 src1_sel:BYTE_0
	v_mul_i32_i24_sdwa v27, sext(v49), sext(v28) dst_sel:DWORD dst_unused:UNUSED_PAD src0_sel:BYTE_2 src1_sel:BYTE_2
	v_mul_i32_i24_sdwa v28, sext(v49), sext(v28) dst_sel:DWORD dst_unused:UNUSED_PAD src0_sel:BYTE_3 src1_sel:BYTE_3
	v_mul_i32_i24_sdwa v48, sext(v50), sext(v32) dst_sel:DWORD dst_unused:UNUSED_PAD src0_sel:BYTE_0 src1_sel:BYTE_0
	v_mul_i32_i24_sdwa v52, sext(v50), sext(v32) dst_sel:DWORD dst_unused:UNUSED_PAD src0_sel:BYTE_2 src1_sel:BYTE_2
	v_mul_i32_i24_sdwa v32, sext(v50), sext(v32) dst_sel:DWORD dst_unused:UNUSED_PAD src0_sel:BYTE_3 src1_sel:BYTE_3
	s_waitcnt vmcnt(0)
	v_lshrrev_b16_e32 v53, 8, v51
	v_bfe_i32 v44, v44, 0, 8
	v_bfe_i32 v25, v25, 0, 8
	v_dot4c_i32_i8_e32 v20, v49, v29
	v_bfe_i32 v29, v47, 0, 8
	v_mul_i32_i24_sdwa v54, sext(v51), sext(v36) dst_sel:DWORD dst_unused:UNUSED_PAD src0_sel:BYTE_0 src1_sel:BYTE_0
	v_mul_i32_i24_sdwa v55, sext(v51), sext(v36) dst_sel:DWORD dst_unused:UNUSED_PAD src0_sel:BYTE_2 src1_sel:BYTE_2
	v_mul_i32_i24_sdwa v36, sext(v51), sext(v36) dst_sel:DWORD dst_unused:UNUSED_PAD src0_sel:BYTE_3 src1_sel:BYTE_3
	v_dot4c_i32_i8_e32 v5, v49, v30
	v_bfe_i32 v30, v53, 0, 8
	v_mad_i32_i24 v24, v44, v40, v24
	v_mad_i32_i24 v25, v25, v41, v28
	;; [unrolled: 1-line block ×3, first 2 shown]
	v_dot4c_i32_i8_e32 v1, v49, v31
	v_mad_i32_i24 v29, v30, v43, v36
	v_add3_u32 v24, v45, v46, v24
	v_add3_u32 v25, v26, v27, v25
	;; [unrolled: 1-line block ×3, first 2 shown]
	v_dot4c_i32_i8_e32 v20, v50, v33
	v_dot4c_i32_i8_e32 v5, v50, v34
	;; [unrolled: 1-line block ×3, first 2 shown]
	v_add3_u32 v27, v54, v55, v29
	v_add3_u32 v24, v24, v25, v26
	v_dot4c_i32_i8_e32 v20, v51, v37
	v_dot4c_i32_i8_e32 v5, v51, v38
	;; [unrolled: 1-line block ×3, first 2 shown]
	v_add3_u32 v21, v24, v27, v21
	s_andn2_b64 exec, exec, s[20:21]
	s_cbranch_execnz .LBB66_21
; %bb.22:
	s_or_b64 exec, exec, s[20:21]
.LBB66_23:
	s_or_b64 exec, exec, s[14:15]
	v_and_b32_e32 v16, 3, v22
	v_mov_b32_e32 v17, 0
	s_mov_b64 s[8:9], 0
	v_cmp_ne_u64_e32 vcc, 0, v[16:17]
	s_and_saveexec_b64 s[6:7], vcc
	s_cbranch_execz .LBB66_27
; %bb.24:
	v_lshlrev_b64 v[14:15], 2, v[14:15]
	v_mov_b32_e32 v18, s13
	v_add_co_u32_e32 v14, vcc, s12, v14
	v_addc_co_u32_e32 v15, vcc, v18, v15, vcc
	v_lshlrev_b32_e32 v16, 2, v16
	v_mov_b32_e32 v18, s19
	s_movk_i32 s14, 0x80
.LBB66_25:                              ; =>This Inner Loop Header: Depth=1
	global_load_dword v19, v[14:15], off
	global_load_dwordx4 v[22:25], v[12:13], off
	v_add_co_u32_e64 v14, s[2:3], 32, v14
	v_addc_co_u32_e64 v15, s[2:3], 0, v15, s[2:3]
	v_add_co_u32_e64 v16, s[2:3], -4, v16
	v_addc_co_u32_e64 v17, s[2:3], -1, v17, s[2:3]
	s_waitcnt vmcnt(1)
	v_subrev_u32_e32 v19, s16, v19
	v_lshlrev_b32_e32 v19, 2, v19
	v_ashrrev_i32_e32 v27, 31, v19
	v_add_co_u32_e32 v26, vcc, s18, v19
	v_addc_co_u32_e32 v27, vcc, v18, v27, vcc
	global_load_dword v19, v[26:27], off
	v_add_co_u32_e32 v12, vcc, s14, v12
	s_waitcnt vmcnt(1)
	v_lshrrev_b16_e32 v26, 8, v22
	v_addc_co_u32_e32 v13, vcc, 0, v13, vcc
	v_bfe_i32 v27, v22, 0, 8
	v_bfe_i32 v26, v26, 0, 8
	v_cmp_eq_u64_e32 vcc, 0, v[16:17]
	s_or_b64 s[8:9], vcc, s[8:9]
	s_waitcnt vmcnt(0)
	v_lshrrev_b16_e32 v28, 8, v19
	v_bfe_i32 v29, v19, 0, 8
	v_mul_i32_i24_sdwa v30, sext(v19), sext(v22) dst_sel:DWORD dst_unused:UNUSED_PAD src0_sel:BYTE_2 src1_sel:BYTE_2
	v_mul_i32_i24_sdwa v22, sext(v19), sext(v22) dst_sel:DWORD dst_unused:UNUSED_PAD src0_sel:BYTE_3 src1_sel:BYTE_3
	v_dot4c_i32_i8_e32 v20, v19, v23
	v_dot4c_i32_i8_e32 v5, v19, v24
	;; [unrolled: 1-line block ×3, first 2 shown]
	v_bfe_i32 v19, v28, 0, 8
	v_mad_i32_i24 v23, v29, v27, v30
	v_mad_i32_i24 v19, v19, v26, v22
	v_add3_u32 v21, v23, v19, v21
	s_andn2_b64 exec, exec, s[8:9]
	s_cbranch_execnz .LBB66_25
; %bb.26:
	s_or_b64 exec, exec, s[8:9]
.LBB66_27:
	s_or_b64 exec, exec, s[6:7]
.LBB66_28:
	s_or_b64 exec, exec, s[10:11]
	s_cbranch_execz .LBB66_30
	s_branch .LBB66_41
.LBB66_29:
                                        ; implicit-def: $vgpr1
                                        ; implicit-def: $vgpr5
                                        ; implicit-def: $vgpr20
                                        ; implicit-def: $vgpr21
.LBB66_30:
	v_mov_b32_e32 v1, 0
	v_mov_b32_e32 v5, 0
	;; [unrolled: 1-line block ×4, first 2 shown]
	s_and_saveexec_b64 s[14:15], s[0:1]
	s_cbranch_execz .LBB66_40
; %bb.31:
	v_or_b32_e32 v1, 8, v0
	v_mov_b32_e32 v5, s22
	v_subrev_co_u32_e32 v1, vcc, s16, v1
	v_subb_co_u32_e32 v5, vcc, 0, v5, vcc
	v_add_co_u32_e32 v12, vcc, v1, v8
	v_addc_co_u32_e32 v13, vcc, v5, v9, vcc
	v_cmp_gt_i64_e32 vcc, v[12:13], v[10:11]
	v_cndmask_b32_e32 v1, v11, v13, vcc
	v_cndmask_b32_e32 v5, v10, v12, vcc
	v_mov_b32_e32 v10, s22
	v_sub_co_u32_e32 v11, vcc, s16, v0
	v_not_b32_e32 v8, v8
	v_subbrev_co_u32_e32 v10, vcc, 0, v10, vcc
	v_not_b32_e32 v9, v9
	v_add_co_u32_e32 v8, vcc, v11, v8
	v_addc_co_u32_e32 v9, vcc, v10, v9, vcc
	v_add_co_u32_e32 v10, vcc, v8, v5
	v_addc_co_u32_e32 v11, vcc, v9, v1, vcc
	v_lshrrev_b64 v[8:9], 3, v[10:11]
	v_add_co_u32_e32 v12, vcc, 1, v8
	v_addc_co_u32_e32 v9, vcc, 0, v9, vcc
	v_cmp_lt_u64_e32 vcc, 23, v[10:11]
	v_mov_b32_e32 v21, 0
	v_mov_b32_e32 v20, 0
	;; [unrolled: 1-line block ×4, first 2 shown]
	s_and_saveexec_b64 s[20:21], vcc
	s_cbranch_execz .LBB66_35
; %bb.32:
	v_lshlrev_b64 v[10:11], 2, v[6:7]
	v_mov_b32_e32 v1, s13
	v_add_co_u32_e32 v5, vcc, s12, v10
	v_addc_co_u32_e32 v1, vcc, v11, v1, vcc
	v_add_co_u32_e32 v10, vcc, 64, v5
	v_and_b32_e32 v8, -4, v12
	v_addc_co_u32_e32 v11, vcc, 0, v1, vcc
	s_mov_b64 s[22:23], 0
	v_mov_b32_e32 v1, 0
	v_mov_b32_e32 v13, s19
	s_mov_b32 s25, 0xc0c0400
	s_mov_b32 s26, 0x4000c0c
	;; [unrolled: 1-line block ×8, first 2 shown]
	s_movk_i32 s34, 0x200
	v_mov_b32_e32 v5, 0
	v_mov_b32_e32 v20, 0
	;; [unrolled: 1-line block ×3, first 2 shown]
.LBB66_33:                              ; =>This Inner Loop Header: Depth=1
	global_load_dword v18, v[10:11], off offset:-64
	global_load_dword v19, v[10:11], off offset:-32
	global_load_dword v34, v[10:11], off
	global_load_dword v35, v[10:11], off offset:32
	global_load_dwordx4 v[14:17], v[2:3], off
	global_load_dwordx4 v[22:25], v[2:3], off offset:128
	global_load_dwordx4 v[26:29], v[2:3], off offset:256
	;; [unrolled: 1-line block ×3, first 2 shown]
	v_add_co_u32_e64 v6, s[0:1], 32, v6
	v_addc_co_u32_e64 v7, s[0:1], 0, v7, s[0:1]
	v_add_co_u32_e32 v2, vcc, s34, v2
	v_add_co_u32_e64 v8, s[0:1], -4, v8
	v_addc_co_u32_e64 v9, s[0:1], -1, v9, s[0:1]
	v_addc_co_u32_e32 v3, vcc, 0, v3, vcc
	v_add_co_u32_e32 v10, vcc, 0x80, v10
	v_cmp_eq_u64_e64 s[0:1], 0, v[8:9]
	v_addc_co_u32_e32 v11, vcc, 0, v11, vcc
	s_or_b64 s[22:23], s[0:1], s[22:23]
	s_waitcnt vmcnt(7)
	v_subrev_u32_e32 v18, s16, v18
	s_waitcnt vmcnt(6)
	v_subrev_u32_e32 v19, s16, v19
	;; [unrolled: 2-line block ×4, first 2 shown]
	v_lshlrev_b32_e32 v37, 2, v18
	v_lshlrev_b32_e32 v18, 2, v19
	;; [unrolled: 1-line block ×4, first 2 shown]
	v_ashrrev_i32_e32 v39, 31, v37
	v_add_co_u32_e64 v38, s[10:11], s18, v37
	v_ashrrev_i32_e32 v40, 31, v18
	v_add_co_u32_e64 v18, s[2:3], s18, v18
	v_ashrrev_i32_e32 v41, 31, v19
	v_add_co_u32_e64 v34, s[6:7], s18, v19
	v_ashrrev_i32_e32 v42, 31, v35
	v_add_co_u32_e64 v36, s[8:9], s18, v35
	v_addc_co_u32_e64 v39, s[10:11], v13, v39, s[10:11]
	v_addc_co_u32_e64 v19, s[2:3], v13, v40, s[2:3]
	v_addc_co_u32_e64 v35, s[2:3], v13, v41, s[6:7]
	v_addc_co_u32_e64 v37, s[2:3], v13, v42, s[8:9]
	global_load_dword v40, v[38:39], off
	global_load_dword v41, v[18:19], off
	;; [unrolled: 1-line block ×4, first 2 shown]
	s_waitcnt vmcnt(7)
	v_perm_b32 v18, v15, v14, s25
	v_perm_b32 v19, v17, v16, s26
	v_perm_b32 v34, v15, v14, s27
	v_perm_b32 v35, v17, v16, s28
	v_perm_b32 v36, v15, v14, s29
	v_perm_b32 v37, v17, v16, s30
	v_perm_b32 v14, v15, v14, s31
	v_perm_b32 v15, v17, v16, s33
	s_waitcnt vmcnt(6)
	v_perm_b32 v16, v23, v22, s25
	v_perm_b32 v17, v25, v24, s26
	v_perm_b32 v38, v23, v22, s27
	v_perm_b32 v39, v25, v24, s28
	v_perm_b32 v44, v23, v22, s29
	v_perm_b32 v45, v25, v24, s30
	v_perm_b32 v22, v23, v22, s31
	v_perm_b32 v23, v25, v24, s33
	;; [unrolled: 9-line block ×4, first 2 shown]
	v_or_b32_e32 v18, v19, v18
	v_or_b32_e32 v19, v35, v34
	;; [unrolled: 1-line block ×16, first 2 shown]
	s_waitcnt vmcnt(3)
	v_dot4c_i32_i8_e32 v21, v40, v18
	v_dot4c_i32_i8_e32 v20, v19, v40
	v_dot4c_i32_i8_e32 v5, v32, v40
	v_dot4c_i32_i8_e32 v1, v14, v40
	s_waitcnt vmcnt(2)
	v_dot4c_i32_i8_e32 v21, v41, v15
	v_dot4c_i32_i8_e32 v20, v16, v41
	v_dot4c_i32_i8_e32 v5, v17, v41
	v_dot4c_i32_i8_e32 v1, v22, v41
	;; [unrolled: 5-line block ×4, first 2 shown]
	s_andn2_b64 exec, exec, s[22:23]
	s_cbranch_execnz .LBB66_33
; %bb.34:
	s_or_b64 exec, exec, s[22:23]
.LBB66_35:
	s_or_b64 exec, exec, s[20:21]
	v_and_b32_e32 v8, 3, v12
	v_mov_b32_e32 v9, 0
	s_mov_b64 s[6:7], 0
	v_cmp_ne_u64_e32 vcc, 0, v[8:9]
	s_and_saveexec_b64 s[2:3], vcc
	s_cbranch_execz .LBB66_39
; %bb.36:
	v_lshlrev_b64 v[6:7], 2, v[6:7]
	v_mov_b32_e32 v10, s13
	v_add_co_u32_e32 v6, vcc, s12, v6
	v_addc_co_u32_e32 v7, vcc, v10, v7, vcc
	v_lshlrev_b32_e32 v8, 2, v8
	v_mov_b32_e32 v10, s19
	s_mov_b32 s8, 0xc0c0400
	s_mov_b32 s9, 0x4000c0c
	;; [unrolled: 1-line block ×8, first 2 shown]
	s_movk_i32 s21, 0x80
.LBB66_37:                              ; =>This Inner Loop Header: Depth=1
	global_load_dword v11, v[6:7], off
	global_load_dwordx4 v[12:15], v[2:3], off
	v_add_co_u32_e64 v6, s[0:1], 32, v6
	v_addc_co_u32_e64 v7, s[0:1], 0, v7, s[0:1]
	v_add_co_u32_e64 v8, s[0:1], -4, v8
	v_addc_co_u32_e64 v9, s[0:1], -1, v9, s[0:1]
	s_waitcnt vmcnt(1)
	v_subrev_u32_e32 v11, s16, v11
	v_lshlrev_b32_e32 v11, 2, v11
	v_ashrrev_i32_e32 v17, 31, v11
	v_add_co_u32_e32 v16, vcc, s18, v11
	v_addc_co_u32_e32 v17, vcc, v10, v17, vcc
	global_load_dword v11, v[16:17], off
	v_add_co_u32_e32 v2, vcc, s21, v2
	v_addc_co_u32_e32 v3, vcc, 0, v3, vcc
	s_waitcnt vmcnt(1)
	v_perm_b32 v16, v13, v12, s8
	v_perm_b32 v17, v15, v14, s9
	;; [unrolled: 1-line block ×8, first 2 shown]
	v_cmp_eq_u64_e32 vcc, 0, v[8:9]
	v_or_b32_e32 v14, v17, v16
	v_or_b32_e32 v15, v19, v18
	;; [unrolled: 1-line block ×4, first 2 shown]
	s_or_b64 s[6:7], vcc, s[6:7]
	s_waitcnt vmcnt(0)
	v_dot4c_i32_i8_e32 v21, v11, v14
	v_dot4c_i32_i8_e32 v20, v15, v11
	v_dot4c_i32_i8_e32 v5, v16, v11
	v_dot4c_i32_i8_e32 v1, v12, v11
	s_andn2_b64 exec, exec, s[6:7]
	s_cbranch_execnz .LBB66_37
; %bb.38:
	s_or_b64 exec, exec, s[6:7]
.LBB66_39:
	s_or_b64 exec, exec, s[2:3]
.LBB66_40:
	s_or_b64 exec, exec, s[14:15]
.LBB66_41:
	v_mov_b32_dpp v2, v21 row_shr:1 row_mask:0xf bank_mask:0xf
	v_mov_b32_dpp v6, v20 row_shr:1 row_mask:0xf bank_mask:0xf
	;; [unrolled: 1-line block ×4, first 2 shown]
	v_add_u32_e32 v2, v2, v21
	v_add_u32_e32 v6, v6, v20
	;; [unrolled: 1-line block ×4, first 2 shown]
	v_mov_b32_dpp v3, v2 row_shr:2 row_mask:0xf bank_mask:0xf
	v_mov_b32_dpp v7, v6 row_shr:2 row_mask:0xf bank_mask:0xf
	;; [unrolled: 1-line block ×4, first 2 shown]
	v_add_u32_e32 v2, v2, v3
	v_add_u32_e32 v6, v6, v7
	;; [unrolled: 1-line block ×4, first 2 shown]
	v_mov_b32_dpp v3, v2 row_shr:4 row_mask:0xf bank_mask:0xe
	v_mov_b32_dpp v7, v6 row_shr:4 row_mask:0xf bank_mask:0xe
	;; [unrolled: 1-line block ×4, first 2 shown]
	v_cmp_eq_u32_e32 vcc, 7, v0
	s_and_b64 exec, exec, vcc
	s_cbranch_execz .LBB66_14
; %bb.42:
	s_load_dwordx2 s[0:1], s[4:5], 0x50
	v_add_u32_e32 v0, v2, v3
	v_add_u32_e32 v2, v6, v7
	;; [unrolled: 1-line block ×4, first 2 shown]
	s_cmp_eq_u32 s24, 0
	v_mul_lo_u32 v0, v0, s17
	v_mul_lo_u32 v8, v2, s17
	;; [unrolled: 1-line block ×4, first 2 shown]
	v_lshlrev_b32_e32 v4, 2, v4
	s_cbranch_scc1 .LBB66_44
; %bb.43:
	v_ashrrev_i32_e32 v5, 31, v4
	v_lshlrev_b64 v[10:11], 2, v[4:5]
	s_waitcnt lgkmcnt(0)
	v_mov_b32_e32 v1, s1
	v_add_co_u32_e32 v18, vcc, s0, v10
	v_addc_co_u32_e32 v19, vcc, v1, v11, vcc
	global_load_dwordx4 v[10:13], v[18:19], off
	s_waitcnt vmcnt(0)
	v_mad_u64_u32 v[14:15], s[2:3], v10, s24, v[0:1]
	v_mad_u64_u32 v[10:11], s[2:3], v11, s24, v[8:9]
	;; [unrolled: 1-line block ×4, first 2 shown]
	v_mov_b32_e32 v15, v10
	v_mov_b32_e32 v17, v12
	global_store_dwordx4 v[18:19], v[14:17], off
	s_cbranch_execnz .LBB66_14
	s_branch .LBB66_45
.LBB66_44:
.LBB66_45:
	v_ashrrev_i32_e32 v5, 31, v4
	v_lshlrev_b64 v[4:5], 2, v[4:5]
	s_waitcnt lgkmcnt(0)
	v_mov_b32_e32 v1, s1
	v_add_co_u32_e32 v4, vcc, s0, v4
	v_addc_co_u32_e32 v5, vcc, v1, v5, vcc
	v_mov_b32_e32 v1, v8
	v_mov_b32_e32 v3, v6
	global_store_dwordx4 v[4:5], v[0:3], off
	s_endpgm
	.section	.rodata,"a",@progbits
	.p2align	6, 0x0
	.amdhsa_kernel _ZN9rocsparseL18bsrxmvn_4x4_kernelILj128ELj8EiliaaiEEvT3_20rocsparse_direction_NS_24const_host_device_scalarIT1_EES1_PKS1_PKT2_SA_S7_PKT4_PKT5_S5_PT6_21rocsparse_index_base_b
		.amdhsa_group_segment_fixed_size 0
		.amdhsa_private_segment_fixed_size 0
		.amdhsa_kernarg_size 96
		.amdhsa_user_sgpr_count 6
		.amdhsa_user_sgpr_private_segment_buffer 1
		.amdhsa_user_sgpr_dispatch_ptr 0
		.amdhsa_user_sgpr_queue_ptr 0
		.amdhsa_user_sgpr_kernarg_segment_ptr 1
		.amdhsa_user_sgpr_dispatch_id 0
		.amdhsa_user_sgpr_flat_scratch_init 0
		.amdhsa_user_sgpr_kernarg_preload_length 0
		.amdhsa_user_sgpr_kernarg_preload_offset 0
		.amdhsa_user_sgpr_private_segment_size 0
		.amdhsa_uses_dynamic_stack 0
		.amdhsa_system_sgpr_private_segment_wavefront_offset 0
		.amdhsa_system_sgpr_workgroup_id_x 1
		.amdhsa_system_sgpr_workgroup_id_y 0
		.amdhsa_system_sgpr_workgroup_id_z 0
		.amdhsa_system_sgpr_workgroup_info 0
		.amdhsa_system_vgpr_workitem_id 0
		.amdhsa_next_free_vgpr 56
		.amdhsa_next_free_sgpr 35
		.amdhsa_accum_offset 56
		.amdhsa_reserve_vcc 1
		.amdhsa_reserve_flat_scratch 0
		.amdhsa_float_round_mode_32 0
		.amdhsa_float_round_mode_16_64 0
		.amdhsa_float_denorm_mode_32 3
		.amdhsa_float_denorm_mode_16_64 3
		.amdhsa_dx10_clamp 1
		.amdhsa_ieee_mode 1
		.amdhsa_fp16_overflow 0
		.amdhsa_tg_split 0
		.amdhsa_exception_fp_ieee_invalid_op 0
		.amdhsa_exception_fp_denorm_src 0
		.amdhsa_exception_fp_ieee_div_zero 0
		.amdhsa_exception_fp_ieee_overflow 0
		.amdhsa_exception_fp_ieee_underflow 0
		.amdhsa_exception_fp_ieee_inexact 0
		.amdhsa_exception_int_div_zero 0
	.end_amdhsa_kernel
	.section	.text._ZN9rocsparseL18bsrxmvn_4x4_kernelILj128ELj8EiliaaiEEvT3_20rocsparse_direction_NS_24const_host_device_scalarIT1_EES1_PKS1_PKT2_SA_S7_PKT4_PKT5_S5_PT6_21rocsparse_index_base_b,"axG",@progbits,_ZN9rocsparseL18bsrxmvn_4x4_kernelILj128ELj8EiliaaiEEvT3_20rocsparse_direction_NS_24const_host_device_scalarIT1_EES1_PKS1_PKT2_SA_S7_PKT4_PKT5_S5_PT6_21rocsparse_index_base_b,comdat
.Lfunc_end66:
	.size	_ZN9rocsparseL18bsrxmvn_4x4_kernelILj128ELj8EiliaaiEEvT3_20rocsparse_direction_NS_24const_host_device_scalarIT1_EES1_PKS1_PKT2_SA_S7_PKT4_PKT5_S5_PT6_21rocsparse_index_base_b, .Lfunc_end66-_ZN9rocsparseL18bsrxmvn_4x4_kernelILj128ELj8EiliaaiEEvT3_20rocsparse_direction_NS_24const_host_device_scalarIT1_EES1_PKS1_PKT2_SA_S7_PKT4_PKT5_S5_PT6_21rocsparse_index_base_b
                                        ; -- End function
	.section	.AMDGPU.csdata,"",@progbits
; Kernel info:
; codeLenInByte = 3340
; NumSgprs: 39
; NumVgprs: 56
; NumAgprs: 0
; TotalNumVgprs: 56
; ScratchSize: 0
; MemoryBound: 0
; FloatMode: 240
; IeeeMode: 1
; LDSByteSize: 0 bytes/workgroup (compile time only)
; SGPRBlocks: 4
; VGPRBlocks: 6
; NumSGPRsForWavesPerEU: 39
; NumVGPRsForWavesPerEU: 56
; AccumOffset: 56
; Occupancy: 8
; WaveLimiterHint : 1
; COMPUTE_PGM_RSRC2:SCRATCH_EN: 0
; COMPUTE_PGM_RSRC2:USER_SGPR: 6
; COMPUTE_PGM_RSRC2:TRAP_HANDLER: 0
; COMPUTE_PGM_RSRC2:TGID_X_EN: 1
; COMPUTE_PGM_RSRC2:TGID_Y_EN: 0
; COMPUTE_PGM_RSRC2:TGID_Z_EN: 0
; COMPUTE_PGM_RSRC2:TIDIG_COMP_CNT: 0
; COMPUTE_PGM_RSRC3_GFX90A:ACCUM_OFFSET: 13
; COMPUTE_PGM_RSRC3_GFX90A:TG_SPLIT: 0
	.section	.text._ZN9rocsparseL18bsrxmvn_4x4_kernelILj128ELj16EiliaaiEEvT3_20rocsparse_direction_NS_24const_host_device_scalarIT1_EES1_PKS1_PKT2_SA_S7_PKT4_PKT5_S5_PT6_21rocsparse_index_base_b,"axG",@progbits,_ZN9rocsparseL18bsrxmvn_4x4_kernelILj128ELj16EiliaaiEEvT3_20rocsparse_direction_NS_24const_host_device_scalarIT1_EES1_PKS1_PKT2_SA_S7_PKT4_PKT5_S5_PT6_21rocsparse_index_base_b,comdat
	.globl	_ZN9rocsparseL18bsrxmvn_4x4_kernelILj128ELj16EiliaaiEEvT3_20rocsparse_direction_NS_24const_host_device_scalarIT1_EES1_PKS1_PKT2_SA_S7_PKT4_PKT5_S5_PT6_21rocsparse_index_base_b ; -- Begin function _ZN9rocsparseL18bsrxmvn_4x4_kernelILj128ELj16EiliaaiEEvT3_20rocsparse_direction_NS_24const_host_device_scalarIT1_EES1_PKS1_PKT2_SA_S7_PKT4_PKT5_S5_PT6_21rocsparse_index_base_b
	.p2align	8
	.type	_ZN9rocsparseL18bsrxmvn_4x4_kernelILj128ELj16EiliaaiEEvT3_20rocsparse_direction_NS_24const_host_device_scalarIT1_EES1_PKS1_PKT2_SA_S7_PKT4_PKT5_S5_PT6_21rocsparse_index_base_b,@function
_ZN9rocsparseL18bsrxmvn_4x4_kernelILj128ELj16EiliaaiEEvT3_20rocsparse_direction_NS_24const_host_device_scalarIT1_EES1_PKS1_PKT2_SA_S7_PKT4_PKT5_S5_PT6_21rocsparse_index_base_b: ; @_ZN9rocsparseL18bsrxmvn_4x4_kernelILj128ELj16EiliaaiEEvT3_20rocsparse_direction_NS_24const_host_device_scalarIT1_EES1_PKS1_PKT2_SA_S7_PKT4_PKT5_S5_PT6_21rocsparse_index_base_b
; %bb.0:
	s_load_dwordx2 s[16:17], s[4:5], 0x58
	s_load_dwordx2 s[8:9], s[4:5], 0x8
	s_mov_b64 s[10:11], -1
	s_waitcnt lgkmcnt(0)
	s_bitcmp1_b32 s17, 0
	s_cselect_b64 s[0:1], -1, 0
	s_xor_b64 s[2:3], s[0:1], -1
	s_and_b64 vcc, exec, s[2:3]
                                        ; implicit-def: $sgpr17
	s_cbranch_vccnz .LBB67_4
; %bb.1:
	s_load_dwordx2 s[0:1], s[4:5], 0x48
	s_andn2_b64 vcc, exec, s[10:11]
	s_cbranch_vccz .LBB67_5
.LBB67_2:
	s_and_b64 vcc, exec, s[2:3]
	s_cbranch_vccz .LBB67_6
.LBB67_3:
	s_waitcnt lgkmcnt(0)
	s_load_dword s24, s[0:1], 0x0
	s_cbranch_execz .LBB67_7
	s_branch .LBB67_8
.LBB67_4:
	s_load_dword s17, s[8:9], 0x0
	s_load_dwordx2 s[0:1], s[4:5], 0x48
	s_cbranch_execnz .LBB67_2
.LBB67_5:
	s_waitcnt lgkmcnt(0)
	s_mov_b32 s17, s8
	s_and_b64 vcc, exec, s[2:3]
	s_cbranch_vccnz .LBB67_3
.LBB67_6:
                                        ; implicit-def: $sgpr24
.LBB67_7:
	s_waitcnt lgkmcnt(0)
	s_mov_b32 s24, s0
.LBB67_8:
	s_waitcnt lgkmcnt(0)
	s_cmp_lg_u32 s17, 0
	s_cselect_b64 s[0:1], -1, 0
	s_cmp_lg_u32 s24, 1
	s_cselect_b64 s[2:3], -1, 0
	s_or_b64 s[0:1], s[0:1], s[2:3]
	s_andn2_b64 vcc, exec, s[0:1]
	s_cbranch_vccnz .LBB67_14
; %bb.9:
	s_load_dwordx2 s[8:9], s[4:5], 0x18
	s_load_dwordx2 s[0:1], s[4:5], 0x0
	v_lshrrev_b32_e32 v1, 4, v0
	v_lshl_or_b32 v4, s6, 3, v1
	s_mov_b64 s[2:3], 0
	s_waitcnt lgkmcnt(0)
	s_cmp_lg_u64 s[8:9], 0
	s_cbranch_scc0 .LBB67_15
; %bb.10:
	s_load_dword s6, s[4:5], 0x10
                                        ; implicit-def: $vgpr1
	s_waitcnt lgkmcnt(0)
	v_cmp_gt_i32_e32 vcc, s6, v4
	s_and_saveexec_b64 s[6:7], vcc
	s_xor_b64 s[6:7], exec, s[6:7]
	s_cbranch_execz .LBB67_12
; %bb.11:
	v_ashrrev_i32_e32 v5, 31, v4
	v_lshlrev_b64 v[2:3], 2, v[4:5]
	v_mov_b32_e32 v1, s9
	v_add_co_u32_e32 v2, vcc, s8, v2
	v_addc_co_u32_e32 v3, vcc, v1, v3, vcc
	global_load_dword v1, v[2:3], off
	s_mov_b64 s[2:3], exec
	s_waitcnt vmcnt(0)
	v_subrev_u32_e32 v1, s16, v1
.LBB67_12:
	s_or_b64 exec, exec, s[6:7]
	s_branch .LBB67_16
.LBB67_13:
	v_cmp_gt_i32_e32 vcc, s0, v4
	s_andn2_b64 s[2:3], s[2:3], exec
	s_and_b64 s[6:7], vcc, exec
	s_or_b64 s[2:3], s[2:3], s[6:7]
	s_and_saveexec_b64 s[6:7], s[2:3]
	s_cbranch_execnz .LBB67_17
.LBB67_14:
	s_endpgm
.LBB67_15:
                                        ; implicit-def: $vgpr1
	s_cbranch_execnz .LBB67_13
.LBB67_16:
	v_mov_b32_e32 v4, v1
	s_and_saveexec_b64 s[6:7], s[2:3]
	s_cbranch_execz .LBB67_14
.LBB67_17:
	s_load_dwordx8 s[8:15], s[4:5], 0x20
	v_ashrrev_i32_e32 v5, 31, v4
	v_lshlrev_b64 v[2:3], 3, v[4:5]
	v_and_b32_e32 v0, 15, v0
	s_load_dwordx2 s[18:19], s[4:5], 0x40
	s_waitcnt lgkmcnt(0)
	v_mov_b32_e32 v1, s9
	v_add_co_u32_e32 v6, vcc, s8, v2
	v_addc_co_u32_e32 v7, vcc, v1, v3, vcc
	v_add_co_u32_e32 v1, vcc, 8, v6
	v_addc_co_u32_e32 v5, vcc, 0, v7, vcc
	global_load_dwordx2 v[8:9], v[6:7], off
	v_mov_b32_e32 v6, s11
	v_add_co_u32_e32 v2, vcc, s10, v2
	s_cmp_eq_u64 s[10:11], 0
	v_addc_co_u32_e32 v3, vcc, v6, v3, vcc
	s_cselect_b64 vcc, -1, 0
	v_cndmask_b32_e32 v3, v3, v5, vcc
	v_cndmask_b32_e32 v2, v2, v1, vcc
	global_load_dwordx2 v[2:3], v[2:3], off
	v_mov_b32_e32 v5, s15
	s_mov_b32 s22, 0
	v_mov_b32_e32 v1, 0
	s_cmp_eq_u32 s1, 1
	s_waitcnt vmcnt(1)
	v_subrev_co_u32_e32 v6, vcc, s16, v8
	v_subbrev_co_u32_e32 v7, vcc, 0, v9, vcc
	v_add_co_u32_e32 v6, vcc, v6, v0
	v_addc_co_u32_e32 v7, vcc, 0, v7, vcc
	s_waitcnt vmcnt(0)
	v_subrev_co_u32_e32 v10, vcc, s16, v2
	v_subbrev_co_u32_e32 v11, vcc, 0, v3, vcc
	v_lshlrev_b64 v[2:3], 4, v[6:7]
	v_add_co_u32_e32 v2, vcc, s14, v2
	v_addc_co_u32_e32 v3, vcc, v5, v3, vcc
	v_cmp_lt_i64_e64 s[0:1], v[6:7], v[10:11]
	s_cbranch_scc1 .LBB67_29
; %bb.18:
	v_mov_b32_e32 v5, 0
	v_mov_b32_e32 v20, 0
	;; [unrolled: 1-line block ×3, first 2 shown]
	s_and_saveexec_b64 s[10:11], s[0:1]
	s_cbranch_execz .LBB67_28
; %bb.19:
	v_or_b32_e32 v1, 16, v0
	v_mov_b32_e32 v5, s22
	v_subrev_co_u32_e32 v1, vcc, s16, v1
	v_subb_co_u32_e32 v5, vcc, 0, v5, vcc
	v_add_co_u32_e32 v12, vcc, v1, v8
	v_addc_co_u32_e32 v13, vcc, v5, v9, vcc
	v_cmp_gt_i64_e32 vcc, v[12:13], v[10:11]
	v_cndmask_b32_e32 v1, v11, v13, vcc
	v_cndmask_b32_e32 v5, v10, v12, vcc
	v_mov_b32_e32 v14, s22
	v_sub_co_u32_e32 v15, vcc, s16, v0
	v_not_b32_e32 v13, v8
	v_subbrev_co_u32_e32 v14, vcc, 0, v14, vcc
	v_not_b32_e32 v12, v9
	v_add_co_u32_e32 v13, vcc, v15, v13
	v_addc_co_u32_e32 v14, vcc, v14, v12, vcc
	v_add_co_u32_e32 v12, vcc, v13, v5
	v_addc_co_u32_e32 v13, vcc, v14, v1, vcc
	v_lshrrev_b64 v[14:15], 4, v[12:13]
	v_add_co_u32_e32 v22, vcc, 1, v14
	v_addc_co_u32_e32 v17, vcc, 0, v15, vcc
	v_cmp_lt_u64_e32 vcc, 47, v[12:13]
	v_mov_b32_e32 v21, 0
	v_mov_b32_e32 v20, 0
	;; [unrolled: 1-line block ×4, first 2 shown]
	v_pk_mov_b32 v[14:15], v[6:7], v[6:7] op_sel:[0,1]
	v_pk_mov_b32 v[12:13], v[2:3], v[2:3] op_sel:[0,1]
	s_and_saveexec_b64 s[14:15], vcc
	s_cbranch_execz .LBB67_23
; %bb.20:
	v_lshlrev_b64 v[12:13], 2, v[6:7]
	v_mov_b32_e32 v1, s13
	v_add_co_u32_e32 v5, vcc, s12, v12
	v_addc_co_u32_e32 v1, vcc, v13, v1, vcc
	v_add_co_u32_e32 v18, vcc, 0x80, v5
	v_and_b32_e32 v16, -4, v22
	v_addc_co_u32_e32 v19, vcc, 0, v1, vcc
	s_mov_b64 s[20:21], 0
	v_mov_b32_e32 v1, 0
	v_mov_b32_e32 v23, s19
	s_movk_i32 s23, 0x400
	v_pk_mov_b32 v[12:13], v[2:3], v[2:3] op_sel:[0,1]
	v_pk_mov_b32 v[14:15], v[6:7], v[6:7] op_sel:[0,1]
	v_mov_b32_e32 v5, 0
	v_mov_b32_e32 v20, 0
	;; [unrolled: 1-line block ×3, first 2 shown]
.LBB67_21:                              ; =>This Inner Loop Header: Depth=1
	global_load_dword v40, v[18:19], off offset:-128
	global_load_dword v41, v[18:19], off offset:-64
	global_load_dword v42, v[18:19], off
	global_load_dword v43, v[18:19], off offset:64
	global_load_dwordx4 v[24:27], v[12:13], off
	global_load_dwordx4 v[28:31], v[12:13], off offset:256
	global_load_dwordx4 v[32:35], v[12:13], off offset:512
	global_load_dwordx4 v[36:39], v[12:13], off offset:768
	s_waitcnt vmcnt(7)
	v_subrev_u32_e32 v40, s16, v40
	s_waitcnt vmcnt(6)
	v_subrev_u32_e32 v41, s16, v41
	;; [unrolled: 2-line block ×4, first 2 shown]
	v_lshlrev_b32_e32 v45, 2, v40
	v_lshlrev_b32_e32 v40, 2, v41
	;; [unrolled: 1-line block ×4, first 2 shown]
	v_ashrrev_i32_e32 v47, 31, v45
	v_add_co_u32_e64 v46, s[8:9], s18, v45
	v_ashrrev_i32_e32 v48, 31, v40
	v_add_co_u32_e32 v40, vcc, s18, v40
	v_ashrrev_i32_e32 v49, 31, v41
	v_add_co_u32_e64 v42, s[2:3], s18, v41
	v_ashrrev_i32_e32 v50, 31, v43
	v_add_co_u32_e64 v44, s[6:7], s18, v43
	v_addc_co_u32_e64 v47, s[8:9], v23, v47, s[8:9]
	v_addc_co_u32_e32 v41, vcc, v23, v48, vcc
	v_addc_co_u32_e64 v43, vcc, v23, v49, s[2:3]
	v_addc_co_u32_e64 v45, vcc, v23, v50, s[6:7]
	global_load_dword v48, v[46:47], off
	global_load_dword v49, v[40:41], off
	;; [unrolled: 1-line block ×4, first 2 shown]
	v_add_co_u32_e64 v14, s[2:3], 64, v14
	s_waitcnt vmcnt(7)
	v_lshrrev_b16_e32 v40, 8, v24
	s_waitcnt vmcnt(6)
	v_lshrrev_b16_e32 v41, 8, v28
	;; [unrolled: 2-line block ×3, first 2 shown]
	v_addc_co_u32_e64 v15, s[2:3], 0, v15, s[2:3]
	s_waitcnt vmcnt(4)
	v_lshrrev_b16_e32 v43, 8, v36
	v_bfe_i32 v40, v40, 0, 8
	v_bfe_i32 v41, v41, 0, 8
	;; [unrolled: 1-line block ×3, first 2 shown]
	v_add_co_u32_e32 v12, vcc, s23, v12
	v_add_co_u32_e64 v16, s[2:3], -4, v16
	v_bfe_i32 v43, v43, 0, 8
	v_addc_co_u32_e64 v17, s[2:3], -1, v17, s[2:3]
	v_addc_co_u32_e32 v13, vcc, 0, v13, vcc
	v_add_co_u32_e32 v18, vcc, 0x100, v18
	v_cmp_eq_u64_e64 s[2:3], 0, v[16:17]
	v_addc_co_u32_e32 v19, vcc, 0, v19, vcc
	s_or_b64 s[20:21], s[2:3], s[20:21]
	s_waitcnt vmcnt(3)
	v_lshrrev_b16_e32 v44, 8, v48
	v_dot4c_i32_i8_e32 v20, v48, v25
	s_waitcnt vmcnt(2)
	v_lshrrev_b16_e32 v25, 8, v49
	s_waitcnt vmcnt(1)
	v_lshrrev_b16_e32 v47, 8, v50
	v_mul_i32_i24_sdwa v45, sext(v48), sext(v24) dst_sel:DWORD dst_unused:UNUSED_PAD src0_sel:BYTE_0 src1_sel:BYTE_0
	v_mul_i32_i24_sdwa v46, sext(v48), sext(v24) dst_sel:DWORD dst_unused:UNUSED_PAD src0_sel:BYTE_2 src1_sel:BYTE_2
	v_mul_i32_i24_sdwa v24, sext(v48), sext(v24) dst_sel:DWORD dst_unused:UNUSED_PAD src0_sel:BYTE_3 src1_sel:BYTE_3
	v_dot4c_i32_i8_e32 v5, v48, v26
	v_dot4c_i32_i8_e32 v1, v48, v27
	v_mul_i32_i24_sdwa v26, sext(v49), sext(v28) dst_sel:DWORD dst_unused:UNUSED_PAD src0_sel:BYTE_0 src1_sel:BYTE_0
	v_mul_i32_i24_sdwa v27, sext(v49), sext(v28) dst_sel:DWORD dst_unused:UNUSED_PAD src0_sel:BYTE_2 src1_sel:BYTE_2
	v_mul_i32_i24_sdwa v28, sext(v49), sext(v28) dst_sel:DWORD dst_unused:UNUSED_PAD src0_sel:BYTE_3 src1_sel:BYTE_3
	v_mul_i32_i24_sdwa v48, sext(v50), sext(v32) dst_sel:DWORD dst_unused:UNUSED_PAD src0_sel:BYTE_0 src1_sel:BYTE_0
	v_mul_i32_i24_sdwa v52, sext(v50), sext(v32) dst_sel:DWORD dst_unused:UNUSED_PAD src0_sel:BYTE_2 src1_sel:BYTE_2
	v_mul_i32_i24_sdwa v32, sext(v50), sext(v32) dst_sel:DWORD dst_unused:UNUSED_PAD src0_sel:BYTE_3 src1_sel:BYTE_3
	s_waitcnt vmcnt(0)
	v_lshrrev_b16_e32 v53, 8, v51
	v_bfe_i32 v44, v44, 0, 8
	v_bfe_i32 v25, v25, 0, 8
	v_dot4c_i32_i8_e32 v20, v49, v29
	v_bfe_i32 v29, v47, 0, 8
	v_mul_i32_i24_sdwa v54, sext(v51), sext(v36) dst_sel:DWORD dst_unused:UNUSED_PAD src0_sel:BYTE_0 src1_sel:BYTE_0
	v_mul_i32_i24_sdwa v55, sext(v51), sext(v36) dst_sel:DWORD dst_unused:UNUSED_PAD src0_sel:BYTE_2 src1_sel:BYTE_2
	v_mul_i32_i24_sdwa v36, sext(v51), sext(v36) dst_sel:DWORD dst_unused:UNUSED_PAD src0_sel:BYTE_3 src1_sel:BYTE_3
	v_dot4c_i32_i8_e32 v5, v49, v30
	v_bfe_i32 v30, v53, 0, 8
	v_mad_i32_i24 v24, v44, v40, v24
	v_mad_i32_i24 v25, v25, v41, v28
	;; [unrolled: 1-line block ×3, first 2 shown]
	v_dot4c_i32_i8_e32 v1, v49, v31
	v_mad_i32_i24 v29, v30, v43, v36
	v_add3_u32 v24, v45, v46, v24
	v_add3_u32 v25, v26, v27, v25
	;; [unrolled: 1-line block ×3, first 2 shown]
	v_dot4c_i32_i8_e32 v20, v50, v33
	v_dot4c_i32_i8_e32 v5, v50, v34
	;; [unrolled: 1-line block ×3, first 2 shown]
	v_add3_u32 v27, v54, v55, v29
	v_add3_u32 v24, v24, v25, v26
	v_dot4c_i32_i8_e32 v20, v51, v37
	v_dot4c_i32_i8_e32 v5, v51, v38
	;; [unrolled: 1-line block ×3, first 2 shown]
	v_add3_u32 v21, v24, v27, v21
	s_andn2_b64 exec, exec, s[20:21]
	s_cbranch_execnz .LBB67_21
; %bb.22:
	s_or_b64 exec, exec, s[20:21]
.LBB67_23:
	s_or_b64 exec, exec, s[14:15]
	v_and_b32_e32 v16, 3, v22
	v_mov_b32_e32 v17, 0
	s_mov_b64 s[8:9], 0
	v_cmp_ne_u64_e32 vcc, 0, v[16:17]
	s_and_saveexec_b64 s[6:7], vcc
	s_cbranch_execz .LBB67_27
; %bb.24:
	v_lshlrev_b64 v[14:15], 2, v[14:15]
	v_mov_b32_e32 v18, s13
	v_add_co_u32_e32 v14, vcc, s12, v14
	v_addc_co_u32_e32 v15, vcc, v18, v15, vcc
	v_lshlrev_b32_e32 v16, 2, v16
	v_mov_b32_e32 v18, s19
	s_movk_i32 s14, 0x100
.LBB67_25:                              ; =>This Inner Loop Header: Depth=1
	global_load_dword v19, v[14:15], off
	global_load_dwordx4 v[22:25], v[12:13], off
	v_add_co_u32_e64 v14, s[2:3], 64, v14
	v_addc_co_u32_e64 v15, s[2:3], 0, v15, s[2:3]
	v_add_co_u32_e64 v16, s[2:3], -4, v16
	v_addc_co_u32_e64 v17, s[2:3], -1, v17, s[2:3]
	s_waitcnt vmcnt(1)
	v_subrev_u32_e32 v19, s16, v19
	v_lshlrev_b32_e32 v19, 2, v19
	v_ashrrev_i32_e32 v27, 31, v19
	v_add_co_u32_e32 v26, vcc, s18, v19
	v_addc_co_u32_e32 v27, vcc, v18, v27, vcc
	global_load_dword v19, v[26:27], off
	v_add_co_u32_e32 v12, vcc, s14, v12
	s_waitcnt vmcnt(1)
	v_lshrrev_b16_e32 v26, 8, v22
	v_addc_co_u32_e32 v13, vcc, 0, v13, vcc
	v_bfe_i32 v27, v22, 0, 8
	v_bfe_i32 v26, v26, 0, 8
	v_cmp_eq_u64_e32 vcc, 0, v[16:17]
	s_or_b64 s[8:9], vcc, s[8:9]
	s_waitcnt vmcnt(0)
	v_lshrrev_b16_e32 v28, 8, v19
	v_bfe_i32 v29, v19, 0, 8
	v_mul_i32_i24_sdwa v30, sext(v19), sext(v22) dst_sel:DWORD dst_unused:UNUSED_PAD src0_sel:BYTE_2 src1_sel:BYTE_2
	v_mul_i32_i24_sdwa v22, sext(v19), sext(v22) dst_sel:DWORD dst_unused:UNUSED_PAD src0_sel:BYTE_3 src1_sel:BYTE_3
	v_dot4c_i32_i8_e32 v20, v19, v23
	v_dot4c_i32_i8_e32 v5, v19, v24
	;; [unrolled: 1-line block ×3, first 2 shown]
	v_bfe_i32 v19, v28, 0, 8
	v_mad_i32_i24 v23, v29, v27, v30
	v_mad_i32_i24 v19, v19, v26, v22
	v_add3_u32 v21, v23, v19, v21
	s_andn2_b64 exec, exec, s[8:9]
	s_cbranch_execnz .LBB67_25
; %bb.26:
	s_or_b64 exec, exec, s[8:9]
.LBB67_27:
	s_or_b64 exec, exec, s[6:7]
.LBB67_28:
	s_or_b64 exec, exec, s[10:11]
	s_cbranch_execz .LBB67_30
	s_branch .LBB67_41
.LBB67_29:
                                        ; implicit-def: $vgpr1
                                        ; implicit-def: $vgpr5
                                        ; implicit-def: $vgpr20
                                        ; implicit-def: $vgpr21
.LBB67_30:
	v_mov_b32_e32 v1, 0
	v_mov_b32_e32 v5, 0
	;; [unrolled: 1-line block ×4, first 2 shown]
	s_and_saveexec_b64 s[14:15], s[0:1]
	s_cbranch_execz .LBB67_40
; %bb.31:
	v_or_b32_e32 v1, 16, v0
	v_mov_b32_e32 v5, s22
	v_subrev_co_u32_e32 v1, vcc, s16, v1
	v_subb_co_u32_e32 v5, vcc, 0, v5, vcc
	v_add_co_u32_e32 v12, vcc, v1, v8
	v_addc_co_u32_e32 v13, vcc, v5, v9, vcc
	v_cmp_gt_i64_e32 vcc, v[12:13], v[10:11]
	v_cndmask_b32_e32 v1, v11, v13, vcc
	v_cndmask_b32_e32 v5, v10, v12, vcc
	v_mov_b32_e32 v10, s22
	v_sub_co_u32_e32 v11, vcc, s16, v0
	v_not_b32_e32 v8, v8
	v_subbrev_co_u32_e32 v10, vcc, 0, v10, vcc
	v_not_b32_e32 v9, v9
	v_add_co_u32_e32 v8, vcc, v11, v8
	v_addc_co_u32_e32 v9, vcc, v10, v9, vcc
	v_add_co_u32_e32 v10, vcc, v8, v5
	v_addc_co_u32_e32 v11, vcc, v9, v1, vcc
	v_lshrrev_b64 v[8:9], 4, v[10:11]
	v_add_co_u32_e32 v12, vcc, 1, v8
	v_addc_co_u32_e32 v9, vcc, 0, v9, vcc
	v_cmp_lt_u64_e32 vcc, 47, v[10:11]
	v_mov_b32_e32 v21, 0
	v_mov_b32_e32 v20, 0
	;; [unrolled: 1-line block ×4, first 2 shown]
	s_and_saveexec_b64 s[20:21], vcc
	s_cbranch_execz .LBB67_35
; %bb.32:
	v_lshlrev_b64 v[10:11], 2, v[6:7]
	v_mov_b32_e32 v1, s13
	v_add_co_u32_e32 v5, vcc, s12, v10
	v_addc_co_u32_e32 v1, vcc, v11, v1, vcc
	v_add_co_u32_e32 v10, vcc, 0x80, v5
	v_and_b32_e32 v8, -4, v12
	v_addc_co_u32_e32 v11, vcc, 0, v1, vcc
	s_mov_b64 s[22:23], 0
	v_mov_b32_e32 v1, 0
	v_mov_b32_e32 v13, s19
	s_mov_b32 s25, 0xc0c0400
	s_mov_b32 s26, 0x4000c0c
	;; [unrolled: 1-line block ×8, first 2 shown]
	s_movk_i32 s34, 0x400
	v_mov_b32_e32 v5, 0
	v_mov_b32_e32 v20, 0
	;; [unrolled: 1-line block ×3, first 2 shown]
.LBB67_33:                              ; =>This Inner Loop Header: Depth=1
	global_load_dword v18, v[10:11], off offset:-128
	global_load_dword v19, v[10:11], off offset:-64
	global_load_dword v34, v[10:11], off
	global_load_dword v35, v[10:11], off offset:64
	global_load_dwordx4 v[14:17], v[2:3], off
	global_load_dwordx4 v[22:25], v[2:3], off offset:256
	global_load_dwordx4 v[26:29], v[2:3], off offset:512
	;; [unrolled: 1-line block ×3, first 2 shown]
	v_add_co_u32_e64 v6, s[0:1], 64, v6
	v_addc_co_u32_e64 v7, s[0:1], 0, v7, s[0:1]
	v_add_co_u32_e32 v2, vcc, s34, v2
	v_add_co_u32_e64 v8, s[0:1], -4, v8
	v_addc_co_u32_e64 v9, s[0:1], -1, v9, s[0:1]
	v_addc_co_u32_e32 v3, vcc, 0, v3, vcc
	v_add_co_u32_e32 v10, vcc, 0x100, v10
	v_cmp_eq_u64_e64 s[0:1], 0, v[8:9]
	v_addc_co_u32_e32 v11, vcc, 0, v11, vcc
	s_or_b64 s[22:23], s[0:1], s[22:23]
	s_waitcnt vmcnt(7)
	v_subrev_u32_e32 v18, s16, v18
	s_waitcnt vmcnt(6)
	v_subrev_u32_e32 v19, s16, v19
	;; [unrolled: 2-line block ×4, first 2 shown]
	v_lshlrev_b32_e32 v37, 2, v18
	v_lshlrev_b32_e32 v18, 2, v19
	;; [unrolled: 1-line block ×4, first 2 shown]
	v_ashrrev_i32_e32 v39, 31, v37
	v_add_co_u32_e64 v38, s[10:11], s18, v37
	v_ashrrev_i32_e32 v40, 31, v18
	v_add_co_u32_e64 v18, s[2:3], s18, v18
	;; [unrolled: 2-line block ×4, first 2 shown]
	v_addc_co_u32_e64 v39, s[10:11], v13, v39, s[10:11]
	v_addc_co_u32_e64 v19, s[2:3], v13, v40, s[2:3]
	;; [unrolled: 1-line block ×4, first 2 shown]
	global_load_dword v40, v[38:39], off
	global_load_dword v41, v[18:19], off
	global_load_dword v42, v[34:35], off
	global_load_dword v43, v[36:37], off
	s_waitcnt vmcnt(7)
	v_perm_b32 v18, v15, v14, s25
	v_perm_b32 v19, v17, v16, s26
	v_perm_b32 v34, v15, v14, s27
	v_perm_b32 v35, v17, v16, s28
	v_perm_b32 v36, v15, v14, s29
	v_perm_b32 v37, v17, v16, s30
	v_perm_b32 v14, v15, v14, s31
	v_perm_b32 v15, v17, v16, s33
	s_waitcnt vmcnt(6)
	v_perm_b32 v16, v23, v22, s25
	v_perm_b32 v17, v25, v24, s26
	v_perm_b32 v38, v23, v22, s27
	v_perm_b32 v39, v25, v24, s28
	v_perm_b32 v44, v23, v22, s29
	v_perm_b32 v45, v25, v24, s30
	v_perm_b32 v22, v23, v22, s31
	v_perm_b32 v23, v25, v24, s33
	;; [unrolled: 9-line block ×4, first 2 shown]
	v_or_b32_e32 v18, v19, v18
	v_or_b32_e32 v19, v35, v34
	v_or_b32_e32 v32, v37, v36
	v_or_b32_e32 v14, v15, v14
	v_or_b32_e32 v15, v17, v16
	v_or_b32_e32 v16, v39, v38
	v_or_b32_e32 v17, v45, v44
	v_or_b32_e32 v22, v23, v22
	v_or_b32_e32 v23, v25, v24
	v_or_b32_e32 v24, v47, v46
	v_or_b32_e32 v25, v49, v48
	v_or_b32_e32 v26, v27, v26
	v_or_b32_e32 v27, v29, v28
	v_or_b32_e32 v28, v51, v50
	v_or_b32_e32 v29, v53, v52
	v_or_b32_e32 v30, v31, v30
	s_waitcnt vmcnt(3)
	v_dot4c_i32_i8_e32 v21, v40, v18
	v_dot4c_i32_i8_e32 v20, v19, v40
	v_dot4c_i32_i8_e32 v5, v32, v40
	v_dot4c_i32_i8_e32 v1, v14, v40
	s_waitcnt vmcnt(2)
	v_dot4c_i32_i8_e32 v21, v41, v15
	v_dot4c_i32_i8_e32 v20, v16, v41
	v_dot4c_i32_i8_e32 v5, v17, v41
	v_dot4c_i32_i8_e32 v1, v22, v41
	;; [unrolled: 5-line block ×4, first 2 shown]
	s_andn2_b64 exec, exec, s[22:23]
	s_cbranch_execnz .LBB67_33
; %bb.34:
	s_or_b64 exec, exec, s[22:23]
.LBB67_35:
	s_or_b64 exec, exec, s[20:21]
	v_and_b32_e32 v8, 3, v12
	v_mov_b32_e32 v9, 0
	s_mov_b64 s[6:7], 0
	v_cmp_ne_u64_e32 vcc, 0, v[8:9]
	s_and_saveexec_b64 s[2:3], vcc
	s_cbranch_execz .LBB67_39
; %bb.36:
	v_lshlrev_b64 v[6:7], 2, v[6:7]
	v_mov_b32_e32 v10, s13
	v_add_co_u32_e32 v6, vcc, s12, v6
	v_addc_co_u32_e32 v7, vcc, v10, v7, vcc
	v_lshlrev_b32_e32 v8, 2, v8
	v_mov_b32_e32 v10, s19
	s_mov_b32 s8, 0xc0c0400
	s_mov_b32 s9, 0x4000c0c
	;; [unrolled: 1-line block ×8, first 2 shown]
	s_movk_i32 s21, 0x100
.LBB67_37:                              ; =>This Inner Loop Header: Depth=1
	global_load_dword v11, v[6:7], off
	global_load_dwordx4 v[12:15], v[2:3], off
	v_add_co_u32_e64 v6, s[0:1], 64, v6
	v_addc_co_u32_e64 v7, s[0:1], 0, v7, s[0:1]
	v_add_co_u32_e64 v8, s[0:1], -4, v8
	v_addc_co_u32_e64 v9, s[0:1], -1, v9, s[0:1]
	s_waitcnt vmcnt(1)
	v_subrev_u32_e32 v11, s16, v11
	v_lshlrev_b32_e32 v11, 2, v11
	v_ashrrev_i32_e32 v17, 31, v11
	v_add_co_u32_e32 v16, vcc, s18, v11
	v_addc_co_u32_e32 v17, vcc, v10, v17, vcc
	global_load_dword v11, v[16:17], off
	v_add_co_u32_e32 v2, vcc, s21, v2
	v_addc_co_u32_e32 v3, vcc, 0, v3, vcc
	s_waitcnt vmcnt(1)
	v_perm_b32 v16, v13, v12, s8
	v_perm_b32 v17, v15, v14, s9
	;; [unrolled: 1-line block ×8, first 2 shown]
	v_cmp_eq_u64_e32 vcc, 0, v[8:9]
	v_or_b32_e32 v14, v17, v16
	v_or_b32_e32 v15, v19, v18
	;; [unrolled: 1-line block ×4, first 2 shown]
	s_or_b64 s[6:7], vcc, s[6:7]
	s_waitcnt vmcnt(0)
	v_dot4c_i32_i8_e32 v21, v11, v14
	v_dot4c_i32_i8_e32 v20, v15, v11
	;; [unrolled: 1-line block ×4, first 2 shown]
	s_andn2_b64 exec, exec, s[6:7]
	s_cbranch_execnz .LBB67_37
; %bb.38:
	s_or_b64 exec, exec, s[6:7]
.LBB67_39:
	s_or_b64 exec, exec, s[2:3]
.LBB67_40:
	s_or_b64 exec, exec, s[14:15]
.LBB67_41:
	v_mov_b32_dpp v2, v21 row_shr:1 row_mask:0xf bank_mask:0xf
	v_mov_b32_dpp v6, v20 row_shr:1 row_mask:0xf bank_mask:0xf
	v_mov_b32_dpp v8, v5 row_shr:1 row_mask:0xf bank_mask:0xf
	v_mov_b32_dpp v9, v1 row_shr:1 row_mask:0xf bank_mask:0xf
	v_add_u32_e32 v2, v2, v21
	v_add_u32_e32 v6, v6, v20
	v_add_u32_e32 v5, v8, v5
	v_add_u32_e32 v1, v9, v1
	v_mov_b32_dpp v3, v2 row_shr:2 row_mask:0xf bank_mask:0xf
	v_mov_b32_dpp v7, v6 row_shr:2 row_mask:0xf bank_mask:0xf
	v_mov_b32_dpp v8, v5 row_shr:2 row_mask:0xf bank_mask:0xf
	v_mov_b32_dpp v9, v1 row_shr:2 row_mask:0xf bank_mask:0xf
	v_add_u32_e32 v2, v2, v3
	v_add_u32_e32 v6, v6, v7
	v_add_u32_e32 v5, v5, v8
	v_add_u32_e32 v1, v1, v9
	;; [unrolled: 8-line block ×3, first 2 shown]
	v_mov_b32_dpp v3, v2 row_shr:8 row_mask:0xf bank_mask:0xc
	v_mov_b32_dpp v7, v6 row_shr:8 row_mask:0xf bank_mask:0xc
	;; [unrolled: 1-line block ×4, first 2 shown]
	v_cmp_eq_u32_e32 vcc, 15, v0
	s_and_b64 exec, exec, vcc
	s_cbranch_execz .LBB67_14
; %bb.42:
	s_load_dwordx2 s[0:1], s[4:5], 0x50
	v_add_u32_e32 v0, v2, v3
	v_add_u32_e32 v2, v6, v7
	;; [unrolled: 1-line block ×4, first 2 shown]
	s_cmp_eq_u32 s24, 0
	v_mul_lo_u32 v0, v0, s17
	v_mul_lo_u32 v8, v2, s17
	;; [unrolled: 1-line block ×4, first 2 shown]
	v_lshlrev_b32_e32 v4, 2, v4
	s_cbranch_scc1 .LBB67_44
; %bb.43:
	v_ashrrev_i32_e32 v5, 31, v4
	v_lshlrev_b64 v[10:11], 2, v[4:5]
	s_waitcnt lgkmcnt(0)
	v_mov_b32_e32 v1, s1
	v_add_co_u32_e32 v18, vcc, s0, v10
	v_addc_co_u32_e32 v19, vcc, v1, v11, vcc
	global_load_dwordx4 v[10:13], v[18:19], off
	s_waitcnt vmcnt(0)
	v_mad_u64_u32 v[14:15], s[2:3], v10, s24, v[0:1]
	v_mad_u64_u32 v[10:11], s[2:3], v11, s24, v[8:9]
	;; [unrolled: 1-line block ×4, first 2 shown]
	v_mov_b32_e32 v15, v10
	v_mov_b32_e32 v17, v12
	global_store_dwordx4 v[18:19], v[14:17], off
	s_cbranch_execnz .LBB67_14
	s_branch .LBB67_45
.LBB67_44:
.LBB67_45:
	v_ashrrev_i32_e32 v5, 31, v4
	v_lshlrev_b64 v[4:5], 2, v[4:5]
	s_waitcnt lgkmcnt(0)
	v_mov_b32_e32 v1, s1
	v_add_co_u32_e32 v4, vcc, s0, v4
	v_addc_co_u32_e32 v5, vcc, v1, v5, vcc
	v_mov_b32_e32 v1, v8
	v_mov_b32_e32 v3, v6
	global_store_dwordx4 v[4:5], v[0:3], off
	s_endpgm
	.section	.rodata,"a",@progbits
	.p2align	6, 0x0
	.amdhsa_kernel _ZN9rocsparseL18bsrxmvn_4x4_kernelILj128ELj16EiliaaiEEvT3_20rocsparse_direction_NS_24const_host_device_scalarIT1_EES1_PKS1_PKT2_SA_S7_PKT4_PKT5_S5_PT6_21rocsparse_index_base_b
		.amdhsa_group_segment_fixed_size 0
		.amdhsa_private_segment_fixed_size 0
		.amdhsa_kernarg_size 96
		.amdhsa_user_sgpr_count 6
		.amdhsa_user_sgpr_private_segment_buffer 1
		.amdhsa_user_sgpr_dispatch_ptr 0
		.amdhsa_user_sgpr_queue_ptr 0
		.amdhsa_user_sgpr_kernarg_segment_ptr 1
		.amdhsa_user_sgpr_dispatch_id 0
		.amdhsa_user_sgpr_flat_scratch_init 0
		.amdhsa_user_sgpr_kernarg_preload_length 0
		.amdhsa_user_sgpr_kernarg_preload_offset 0
		.amdhsa_user_sgpr_private_segment_size 0
		.amdhsa_uses_dynamic_stack 0
		.amdhsa_system_sgpr_private_segment_wavefront_offset 0
		.amdhsa_system_sgpr_workgroup_id_x 1
		.amdhsa_system_sgpr_workgroup_id_y 0
		.amdhsa_system_sgpr_workgroup_id_z 0
		.amdhsa_system_sgpr_workgroup_info 0
		.amdhsa_system_vgpr_workitem_id 0
		.amdhsa_next_free_vgpr 56
		.amdhsa_next_free_sgpr 35
		.amdhsa_accum_offset 56
		.amdhsa_reserve_vcc 1
		.amdhsa_reserve_flat_scratch 0
		.amdhsa_float_round_mode_32 0
		.amdhsa_float_round_mode_16_64 0
		.amdhsa_float_denorm_mode_32 3
		.amdhsa_float_denorm_mode_16_64 3
		.amdhsa_dx10_clamp 1
		.amdhsa_ieee_mode 1
		.amdhsa_fp16_overflow 0
		.amdhsa_tg_split 0
		.amdhsa_exception_fp_ieee_invalid_op 0
		.amdhsa_exception_fp_denorm_src 0
		.amdhsa_exception_fp_ieee_div_zero 0
		.amdhsa_exception_fp_ieee_overflow 0
		.amdhsa_exception_fp_ieee_underflow 0
		.amdhsa_exception_fp_ieee_inexact 0
		.amdhsa_exception_int_div_zero 0
	.end_amdhsa_kernel
	.section	.text._ZN9rocsparseL18bsrxmvn_4x4_kernelILj128ELj16EiliaaiEEvT3_20rocsparse_direction_NS_24const_host_device_scalarIT1_EES1_PKS1_PKT2_SA_S7_PKT4_PKT5_S5_PT6_21rocsparse_index_base_b,"axG",@progbits,_ZN9rocsparseL18bsrxmvn_4x4_kernelILj128ELj16EiliaaiEEvT3_20rocsparse_direction_NS_24const_host_device_scalarIT1_EES1_PKS1_PKT2_SA_S7_PKT4_PKT5_S5_PT6_21rocsparse_index_base_b,comdat
.Lfunc_end67:
	.size	_ZN9rocsparseL18bsrxmvn_4x4_kernelILj128ELj16EiliaaiEEvT3_20rocsparse_direction_NS_24const_host_device_scalarIT1_EES1_PKS1_PKT2_SA_S7_PKT4_PKT5_S5_PT6_21rocsparse_index_base_b, .Lfunc_end67-_ZN9rocsparseL18bsrxmvn_4x4_kernelILj128ELj16EiliaaiEEvT3_20rocsparse_direction_NS_24const_host_device_scalarIT1_EES1_PKS1_PKT2_SA_S7_PKT4_PKT5_S5_PT6_21rocsparse_index_base_b
                                        ; -- End function
	.section	.AMDGPU.csdata,"",@progbits
; Kernel info:
; codeLenInByte = 3396
; NumSgprs: 39
; NumVgprs: 56
; NumAgprs: 0
; TotalNumVgprs: 56
; ScratchSize: 0
; MemoryBound: 0
; FloatMode: 240
; IeeeMode: 1
; LDSByteSize: 0 bytes/workgroup (compile time only)
; SGPRBlocks: 4
; VGPRBlocks: 6
; NumSGPRsForWavesPerEU: 39
; NumVGPRsForWavesPerEU: 56
; AccumOffset: 56
; Occupancy: 8
; WaveLimiterHint : 1
; COMPUTE_PGM_RSRC2:SCRATCH_EN: 0
; COMPUTE_PGM_RSRC2:USER_SGPR: 6
; COMPUTE_PGM_RSRC2:TRAP_HANDLER: 0
; COMPUTE_PGM_RSRC2:TGID_X_EN: 1
; COMPUTE_PGM_RSRC2:TGID_Y_EN: 0
; COMPUTE_PGM_RSRC2:TGID_Z_EN: 0
; COMPUTE_PGM_RSRC2:TIDIG_COMP_CNT: 0
; COMPUTE_PGM_RSRC3_GFX90A:ACCUM_OFFSET: 13
; COMPUTE_PGM_RSRC3_GFX90A:TG_SPLIT: 0
	.section	.text._ZN9rocsparseL18bsrxmvn_4x4_kernelILj128ELj32EiliaaiEEvT3_20rocsparse_direction_NS_24const_host_device_scalarIT1_EES1_PKS1_PKT2_SA_S7_PKT4_PKT5_S5_PT6_21rocsparse_index_base_b,"axG",@progbits,_ZN9rocsparseL18bsrxmvn_4x4_kernelILj128ELj32EiliaaiEEvT3_20rocsparse_direction_NS_24const_host_device_scalarIT1_EES1_PKS1_PKT2_SA_S7_PKT4_PKT5_S5_PT6_21rocsparse_index_base_b,comdat
	.globl	_ZN9rocsparseL18bsrxmvn_4x4_kernelILj128ELj32EiliaaiEEvT3_20rocsparse_direction_NS_24const_host_device_scalarIT1_EES1_PKS1_PKT2_SA_S7_PKT4_PKT5_S5_PT6_21rocsparse_index_base_b ; -- Begin function _ZN9rocsparseL18bsrxmvn_4x4_kernelILj128ELj32EiliaaiEEvT3_20rocsparse_direction_NS_24const_host_device_scalarIT1_EES1_PKS1_PKT2_SA_S7_PKT4_PKT5_S5_PT6_21rocsparse_index_base_b
	.p2align	8
	.type	_ZN9rocsparseL18bsrxmvn_4x4_kernelILj128ELj32EiliaaiEEvT3_20rocsparse_direction_NS_24const_host_device_scalarIT1_EES1_PKS1_PKT2_SA_S7_PKT4_PKT5_S5_PT6_21rocsparse_index_base_b,@function
_ZN9rocsparseL18bsrxmvn_4x4_kernelILj128ELj32EiliaaiEEvT3_20rocsparse_direction_NS_24const_host_device_scalarIT1_EES1_PKS1_PKT2_SA_S7_PKT4_PKT5_S5_PT6_21rocsparse_index_base_b: ; @_ZN9rocsparseL18bsrxmvn_4x4_kernelILj128ELj32EiliaaiEEvT3_20rocsparse_direction_NS_24const_host_device_scalarIT1_EES1_PKS1_PKT2_SA_S7_PKT4_PKT5_S5_PT6_21rocsparse_index_base_b
; %bb.0:
	s_load_dwordx2 s[16:17], s[4:5], 0x58
	s_load_dwordx2 s[8:9], s[4:5], 0x8
	s_mov_b64 s[10:11], -1
	s_waitcnt lgkmcnt(0)
	s_bitcmp1_b32 s17, 0
	s_cselect_b64 s[0:1], -1, 0
	s_xor_b64 s[2:3], s[0:1], -1
	s_and_b64 vcc, exec, s[2:3]
                                        ; implicit-def: $sgpr17
	s_cbranch_vccnz .LBB68_4
; %bb.1:
	s_load_dwordx2 s[0:1], s[4:5], 0x48
	s_andn2_b64 vcc, exec, s[10:11]
	s_cbranch_vccz .LBB68_5
.LBB68_2:
	s_and_b64 vcc, exec, s[2:3]
	s_cbranch_vccz .LBB68_6
.LBB68_3:
	s_waitcnt lgkmcnt(0)
	s_load_dword s24, s[0:1], 0x0
	s_cbranch_execz .LBB68_7
	s_branch .LBB68_8
.LBB68_4:
	s_load_dword s17, s[8:9], 0x0
	s_load_dwordx2 s[0:1], s[4:5], 0x48
	s_cbranch_execnz .LBB68_2
.LBB68_5:
	s_waitcnt lgkmcnt(0)
	s_mov_b32 s17, s8
	s_and_b64 vcc, exec, s[2:3]
	s_cbranch_vccnz .LBB68_3
.LBB68_6:
                                        ; implicit-def: $sgpr24
.LBB68_7:
	s_waitcnt lgkmcnt(0)
	s_mov_b32 s24, s0
.LBB68_8:
	s_waitcnt lgkmcnt(0)
	s_cmp_lg_u32 s17, 0
	s_cselect_b64 s[0:1], -1, 0
	s_cmp_lg_u32 s24, 1
	s_cselect_b64 s[2:3], -1, 0
	s_or_b64 s[0:1], s[0:1], s[2:3]
	s_andn2_b64 vcc, exec, s[0:1]
	s_cbranch_vccnz .LBB68_14
; %bb.9:
	s_load_dwordx2 s[8:9], s[4:5], 0x18
	s_load_dwordx2 s[0:1], s[4:5], 0x0
	v_lshrrev_b32_e32 v1, 5, v0
	v_lshl_or_b32 v4, s6, 2, v1
	s_mov_b64 s[2:3], 0
	s_waitcnt lgkmcnt(0)
	s_cmp_lg_u64 s[8:9], 0
	s_cbranch_scc0 .LBB68_15
; %bb.10:
	s_load_dword s6, s[4:5], 0x10
                                        ; implicit-def: $vgpr1
	s_waitcnt lgkmcnt(0)
	v_cmp_gt_i32_e32 vcc, s6, v4
	s_and_saveexec_b64 s[6:7], vcc
	s_xor_b64 s[6:7], exec, s[6:7]
	s_cbranch_execz .LBB68_12
; %bb.11:
	v_ashrrev_i32_e32 v5, 31, v4
	v_lshlrev_b64 v[2:3], 2, v[4:5]
	v_mov_b32_e32 v1, s9
	v_add_co_u32_e32 v2, vcc, s8, v2
	v_addc_co_u32_e32 v3, vcc, v1, v3, vcc
	global_load_dword v1, v[2:3], off
	s_mov_b64 s[2:3], exec
	s_waitcnt vmcnt(0)
	v_subrev_u32_e32 v1, s16, v1
.LBB68_12:
	s_or_b64 exec, exec, s[6:7]
	s_branch .LBB68_16
.LBB68_13:
	v_cmp_gt_i32_e32 vcc, s0, v4
	s_andn2_b64 s[2:3], s[2:3], exec
	s_and_b64 s[6:7], vcc, exec
	s_or_b64 s[2:3], s[2:3], s[6:7]
	s_and_saveexec_b64 s[6:7], s[2:3]
	s_cbranch_execnz .LBB68_17
.LBB68_14:
	s_endpgm
.LBB68_15:
                                        ; implicit-def: $vgpr1
	s_cbranch_execnz .LBB68_13
.LBB68_16:
	v_mov_b32_e32 v4, v1
	s_and_saveexec_b64 s[6:7], s[2:3]
	s_cbranch_execz .LBB68_14
.LBB68_17:
	s_load_dwordx8 s[8:15], s[4:5], 0x20
	v_ashrrev_i32_e32 v5, 31, v4
	v_lshlrev_b64 v[2:3], 3, v[4:5]
	v_and_b32_e32 v0, 31, v0
	s_load_dwordx2 s[18:19], s[4:5], 0x40
	s_waitcnt lgkmcnt(0)
	v_mov_b32_e32 v1, s9
	v_add_co_u32_e32 v6, vcc, s8, v2
	v_addc_co_u32_e32 v7, vcc, v1, v3, vcc
	v_add_co_u32_e32 v1, vcc, 8, v6
	v_addc_co_u32_e32 v5, vcc, 0, v7, vcc
	global_load_dwordx2 v[8:9], v[6:7], off
	v_mov_b32_e32 v6, s11
	v_add_co_u32_e32 v2, vcc, s10, v2
	s_cmp_eq_u64 s[10:11], 0
	v_addc_co_u32_e32 v3, vcc, v6, v3, vcc
	s_cselect_b64 vcc, -1, 0
	v_cndmask_b32_e32 v3, v3, v5, vcc
	v_cndmask_b32_e32 v2, v2, v1, vcc
	global_load_dwordx2 v[2:3], v[2:3], off
	v_mov_b32_e32 v5, s15
	s_mov_b32 s22, 0
	v_mov_b32_e32 v1, 0
	s_cmp_eq_u32 s1, 1
	s_waitcnt vmcnt(1)
	v_subrev_co_u32_e32 v6, vcc, s16, v8
	v_subbrev_co_u32_e32 v7, vcc, 0, v9, vcc
	v_add_co_u32_e32 v6, vcc, v6, v0
	v_addc_co_u32_e32 v7, vcc, 0, v7, vcc
	s_waitcnt vmcnt(0)
	v_subrev_co_u32_e32 v10, vcc, s16, v2
	v_subbrev_co_u32_e32 v11, vcc, 0, v3, vcc
	v_lshlrev_b64 v[2:3], 4, v[6:7]
	v_add_co_u32_e32 v2, vcc, s14, v2
	v_addc_co_u32_e32 v3, vcc, v5, v3, vcc
	v_cmp_lt_i64_e64 s[0:1], v[6:7], v[10:11]
	s_cbranch_scc1 .LBB68_29
; %bb.18:
	v_mov_b32_e32 v5, 0
	v_mov_b32_e32 v20, 0
	;; [unrolled: 1-line block ×3, first 2 shown]
	s_and_saveexec_b64 s[10:11], s[0:1]
	s_cbranch_execz .LBB68_28
; %bb.19:
	v_or_b32_e32 v1, 32, v0
	v_mov_b32_e32 v5, s22
	v_subrev_co_u32_e32 v1, vcc, s16, v1
	v_subb_co_u32_e32 v5, vcc, 0, v5, vcc
	v_add_co_u32_e32 v12, vcc, v1, v8
	v_addc_co_u32_e32 v13, vcc, v5, v9, vcc
	v_cmp_gt_i64_e32 vcc, v[12:13], v[10:11]
	v_cndmask_b32_e32 v1, v11, v13, vcc
	v_cndmask_b32_e32 v5, v10, v12, vcc
	v_mov_b32_e32 v14, s22
	v_sub_co_u32_e32 v15, vcc, s16, v0
	v_not_b32_e32 v13, v8
	v_subbrev_co_u32_e32 v14, vcc, 0, v14, vcc
	v_not_b32_e32 v12, v9
	v_add_co_u32_e32 v13, vcc, v15, v13
	v_addc_co_u32_e32 v14, vcc, v14, v12, vcc
	v_add_co_u32_e32 v12, vcc, v13, v5
	v_addc_co_u32_e32 v13, vcc, v14, v1, vcc
	v_lshrrev_b64 v[14:15], 5, v[12:13]
	v_add_co_u32_e32 v22, vcc, 1, v14
	v_addc_co_u32_e32 v17, vcc, 0, v15, vcc
	s_mov_b64 s[2:3], 0x5f
	v_cmp_lt_u64_e32 vcc, s[2:3], v[12:13]
	v_mov_b32_e32 v21, 0
	v_mov_b32_e32 v20, 0
	;; [unrolled: 1-line block ×4, first 2 shown]
	v_pk_mov_b32 v[14:15], v[6:7], v[6:7] op_sel:[0,1]
	v_pk_mov_b32 v[12:13], v[2:3], v[2:3] op_sel:[0,1]
	s_and_saveexec_b64 s[14:15], vcc
	s_cbranch_execz .LBB68_23
; %bb.20:
	v_lshlrev_b64 v[12:13], 2, v[6:7]
	v_mov_b32_e32 v1, s13
	v_add_co_u32_e32 v5, vcc, s12, v12
	v_addc_co_u32_e32 v1, vcc, v13, v1, vcc
	v_add_co_u32_e32 v18, vcc, 0x100, v5
	v_and_b32_e32 v16, -4, v22
	v_addc_co_u32_e32 v19, vcc, 0, v1, vcc
	s_mov_b64 s[20:21], 0
	v_mov_b32_e32 v1, 0
	v_mov_b32_e32 v23, s19
	s_movk_i32 s23, 0x800
	s_movk_i32 s25, 0x80
	v_pk_mov_b32 v[12:13], v[2:3], v[2:3] op_sel:[0,1]
	v_pk_mov_b32 v[14:15], v[6:7], v[6:7] op_sel:[0,1]
	v_mov_b32_e32 v5, 0
	v_mov_b32_e32 v20, 0
	;; [unrolled: 1-line block ×3, first 2 shown]
.LBB68_21:                              ; =>This Inner Loop Header: Depth=1
	global_load_dword v40, v[18:19], off offset:-256
	global_load_dword v41, v[18:19], off offset:-128
	global_load_dword v42, v[18:19], off
	global_load_dword v43, v[18:19], off offset:128
	global_load_dwordx4 v[24:27], v[12:13], off
	global_load_dwordx4 v[28:31], v[12:13], off offset:512
	global_load_dwordx4 v[32:35], v[12:13], off offset:1024
	global_load_dwordx4 v[36:39], v[12:13], off offset:1536
	s_waitcnt vmcnt(7)
	v_subrev_u32_e32 v40, s16, v40
	s_waitcnt vmcnt(6)
	v_subrev_u32_e32 v41, s16, v41
	;; [unrolled: 2-line block ×4, first 2 shown]
	v_lshlrev_b32_e32 v45, 2, v40
	v_lshlrev_b32_e32 v40, 2, v41
	;; [unrolled: 1-line block ×4, first 2 shown]
	v_ashrrev_i32_e32 v47, 31, v45
	v_add_co_u32_e64 v46, s[8:9], s18, v45
	v_ashrrev_i32_e32 v48, 31, v40
	v_add_co_u32_e32 v40, vcc, s18, v40
	v_ashrrev_i32_e32 v49, 31, v41
	v_add_co_u32_e64 v42, s[2:3], s18, v41
	v_ashrrev_i32_e32 v50, 31, v43
	v_add_co_u32_e64 v44, s[6:7], s18, v43
	v_addc_co_u32_e64 v47, s[8:9], v23, v47, s[8:9]
	v_addc_co_u32_e32 v41, vcc, v23, v48, vcc
	v_addc_co_u32_e64 v43, vcc, v23, v49, s[2:3]
	v_addc_co_u32_e64 v45, vcc, v23, v50, s[6:7]
	global_load_dword v48, v[46:47], off
	global_load_dword v49, v[40:41], off
	global_load_dword v50, v[42:43], off
	global_load_dword v51, v[44:45], off
	v_add_co_u32_e32 v12, vcc, s23, v12
	s_waitcnt vmcnt(7)
	v_lshrrev_b16_e32 v40, 8, v24
	s_waitcnt vmcnt(6)
	v_lshrrev_b16_e32 v41, 8, v28
	s_waitcnt vmcnt(5)
	v_lshrrev_b16_e32 v42, 8, v32
	v_addc_co_u32_e32 v13, vcc, 0, v13, vcc
	s_waitcnt vmcnt(4)
	v_lshrrev_b16_e32 v43, 8, v36
	v_bfe_i32 v40, v40, 0, 8
	v_bfe_i32 v41, v41, 0, 8
	;; [unrolled: 1-line block ×3, first 2 shown]
	v_add_co_u32_e64 v16, s[2:3], -4, v16
	v_add_co_u32_e32 v14, vcc, s25, v14
	v_bfe_i32 v43, v43, 0, 8
	v_addc_co_u32_e64 v17, s[2:3], -1, v17, s[2:3]
	v_addc_co_u32_e32 v15, vcc, 0, v15, vcc
	v_cmp_eq_u64_e64 s[2:3], 0, v[16:17]
	v_add_co_u32_e32 v18, vcc, 0x200, v18
	s_or_b64 s[20:21], s[2:3], s[20:21]
	v_addc_co_u32_e32 v19, vcc, 0, v19, vcc
	s_waitcnt vmcnt(3)
	v_lshrrev_b16_e32 v44, 8, v48
	v_dot4c_i32_i8_e32 v20, v48, v25
	s_waitcnt vmcnt(2)
	v_lshrrev_b16_e32 v25, 8, v49
	s_waitcnt vmcnt(1)
	v_lshrrev_b16_e32 v47, 8, v50
	v_mul_i32_i24_sdwa v45, sext(v48), sext(v24) dst_sel:DWORD dst_unused:UNUSED_PAD src0_sel:BYTE_0 src1_sel:BYTE_0
	v_mul_i32_i24_sdwa v46, sext(v48), sext(v24) dst_sel:DWORD dst_unused:UNUSED_PAD src0_sel:BYTE_2 src1_sel:BYTE_2
	v_mul_i32_i24_sdwa v24, sext(v48), sext(v24) dst_sel:DWORD dst_unused:UNUSED_PAD src0_sel:BYTE_3 src1_sel:BYTE_3
	v_dot4c_i32_i8_e32 v5, v48, v26
	v_dot4c_i32_i8_e32 v1, v48, v27
	v_mul_i32_i24_sdwa v26, sext(v49), sext(v28) dst_sel:DWORD dst_unused:UNUSED_PAD src0_sel:BYTE_0 src1_sel:BYTE_0
	v_mul_i32_i24_sdwa v27, sext(v49), sext(v28) dst_sel:DWORD dst_unused:UNUSED_PAD src0_sel:BYTE_2 src1_sel:BYTE_2
	v_mul_i32_i24_sdwa v28, sext(v49), sext(v28) dst_sel:DWORD dst_unused:UNUSED_PAD src0_sel:BYTE_3 src1_sel:BYTE_3
	v_mul_i32_i24_sdwa v48, sext(v50), sext(v32) dst_sel:DWORD dst_unused:UNUSED_PAD src0_sel:BYTE_0 src1_sel:BYTE_0
	v_mul_i32_i24_sdwa v52, sext(v50), sext(v32) dst_sel:DWORD dst_unused:UNUSED_PAD src0_sel:BYTE_2 src1_sel:BYTE_2
	v_mul_i32_i24_sdwa v32, sext(v50), sext(v32) dst_sel:DWORD dst_unused:UNUSED_PAD src0_sel:BYTE_3 src1_sel:BYTE_3
	s_waitcnt vmcnt(0)
	v_lshrrev_b16_e32 v53, 8, v51
	v_bfe_i32 v44, v44, 0, 8
	v_bfe_i32 v25, v25, 0, 8
	v_dot4c_i32_i8_e32 v20, v49, v29
	v_bfe_i32 v29, v47, 0, 8
	v_mul_i32_i24_sdwa v54, sext(v51), sext(v36) dst_sel:DWORD dst_unused:UNUSED_PAD src0_sel:BYTE_0 src1_sel:BYTE_0
	v_mul_i32_i24_sdwa v55, sext(v51), sext(v36) dst_sel:DWORD dst_unused:UNUSED_PAD src0_sel:BYTE_2 src1_sel:BYTE_2
	v_mul_i32_i24_sdwa v36, sext(v51), sext(v36) dst_sel:DWORD dst_unused:UNUSED_PAD src0_sel:BYTE_3 src1_sel:BYTE_3
	v_dot4c_i32_i8_e32 v5, v49, v30
	v_bfe_i32 v30, v53, 0, 8
	v_mad_i32_i24 v24, v44, v40, v24
	v_mad_i32_i24 v25, v25, v41, v28
	;; [unrolled: 1-line block ×3, first 2 shown]
	v_dot4c_i32_i8_e32 v1, v49, v31
	v_mad_i32_i24 v29, v30, v43, v36
	v_add3_u32 v24, v45, v46, v24
	v_add3_u32 v25, v26, v27, v25
	;; [unrolled: 1-line block ×3, first 2 shown]
	v_dot4c_i32_i8_e32 v20, v50, v33
	v_dot4c_i32_i8_e32 v5, v50, v34
	;; [unrolled: 1-line block ×3, first 2 shown]
	v_add3_u32 v27, v54, v55, v29
	v_add3_u32 v24, v24, v25, v26
	v_dot4c_i32_i8_e32 v20, v51, v37
	v_dot4c_i32_i8_e32 v5, v51, v38
	;; [unrolled: 1-line block ×3, first 2 shown]
	v_add3_u32 v21, v24, v27, v21
	s_andn2_b64 exec, exec, s[20:21]
	s_cbranch_execnz .LBB68_21
; %bb.22:
	s_or_b64 exec, exec, s[20:21]
.LBB68_23:
	s_or_b64 exec, exec, s[14:15]
	v_and_b32_e32 v16, 3, v22
	v_mov_b32_e32 v17, 0
	s_mov_b64 s[8:9], 0
	v_cmp_ne_u64_e32 vcc, 0, v[16:17]
	s_and_saveexec_b64 s[6:7], vcc
	s_cbranch_execz .LBB68_27
; %bb.24:
	v_lshlrev_b64 v[14:15], 2, v[14:15]
	v_mov_b32_e32 v18, s13
	v_add_co_u32_e32 v14, vcc, s12, v14
	v_addc_co_u32_e32 v15, vcc, v18, v15, vcc
	v_lshlrev_b32_e32 v16, 2, v16
	v_mov_b32_e32 v18, s19
	s_movk_i32 s14, 0x200
.LBB68_25:                              ; =>This Inner Loop Header: Depth=1
	global_load_dword v19, v[14:15], off
	global_load_dwordx4 v[22:25], v[12:13], off
	v_add_co_u32_e64 v16, s[2:3], -4, v16
	v_addc_co_u32_e64 v17, s[2:3], -1, v17, s[2:3]
	v_cmp_eq_u64_e64 s[2:3], 0, v[16:17]
	s_or_b64 s[8:9], s[2:3], s[8:9]
	s_waitcnt vmcnt(1)
	v_subrev_u32_e32 v19, s16, v19
	v_lshlrev_b32_e32 v19, 2, v19
	v_ashrrev_i32_e32 v27, 31, v19
	v_add_co_u32_e32 v26, vcc, s18, v19
	v_addc_co_u32_e32 v27, vcc, v18, v27, vcc
	global_load_dword v19, v[26:27], off
	v_add_co_u32_e32 v12, vcc, s14, v12
	s_waitcnt vmcnt(1)
	v_lshrrev_b16_e32 v26, 8, v22
	v_addc_co_u32_e32 v13, vcc, 0, v13, vcc
	v_bfe_i32 v27, v22, 0, 8
	v_bfe_i32 v26, v26, 0, 8
	v_add_co_u32_e32 v14, vcc, 0x80, v14
	v_addc_co_u32_e32 v15, vcc, 0, v15, vcc
	s_waitcnt vmcnt(0)
	v_lshrrev_b16_e32 v28, 8, v19
	v_bfe_i32 v29, v19, 0, 8
	v_mul_i32_i24_sdwa v30, sext(v19), sext(v22) dst_sel:DWORD dst_unused:UNUSED_PAD src0_sel:BYTE_2 src1_sel:BYTE_2
	v_mul_i32_i24_sdwa v22, sext(v19), sext(v22) dst_sel:DWORD dst_unused:UNUSED_PAD src0_sel:BYTE_3 src1_sel:BYTE_3
	v_dot4c_i32_i8_e32 v20, v19, v23
	v_dot4c_i32_i8_e32 v5, v19, v24
	;; [unrolled: 1-line block ×3, first 2 shown]
	v_bfe_i32 v19, v28, 0, 8
	v_mad_i32_i24 v23, v29, v27, v30
	v_mad_i32_i24 v19, v19, v26, v22
	v_add3_u32 v21, v23, v19, v21
	s_andn2_b64 exec, exec, s[8:9]
	s_cbranch_execnz .LBB68_25
; %bb.26:
	s_or_b64 exec, exec, s[8:9]
.LBB68_27:
	s_or_b64 exec, exec, s[6:7]
.LBB68_28:
	s_or_b64 exec, exec, s[10:11]
	s_cbranch_execz .LBB68_30
	s_branch .LBB68_41
.LBB68_29:
                                        ; implicit-def: $vgpr1
                                        ; implicit-def: $vgpr5
                                        ; implicit-def: $vgpr20
                                        ; implicit-def: $vgpr21
.LBB68_30:
	v_mov_b32_e32 v1, 0
	v_mov_b32_e32 v5, 0
	;; [unrolled: 1-line block ×4, first 2 shown]
	s_and_saveexec_b64 s[14:15], s[0:1]
	s_cbranch_execz .LBB68_40
; %bb.31:
	v_or_b32_e32 v1, 32, v0
	v_mov_b32_e32 v5, s22
	v_subrev_co_u32_e32 v1, vcc, s16, v1
	v_subb_co_u32_e32 v5, vcc, 0, v5, vcc
	v_add_co_u32_e32 v12, vcc, v1, v8
	v_addc_co_u32_e32 v13, vcc, v5, v9, vcc
	v_cmp_gt_i64_e32 vcc, v[12:13], v[10:11]
	v_cndmask_b32_e32 v1, v11, v13, vcc
	v_cndmask_b32_e32 v5, v10, v12, vcc
	v_mov_b32_e32 v10, s22
	v_sub_co_u32_e32 v11, vcc, s16, v0
	v_not_b32_e32 v8, v8
	v_subbrev_co_u32_e32 v10, vcc, 0, v10, vcc
	v_not_b32_e32 v9, v9
	v_add_co_u32_e32 v8, vcc, v11, v8
	v_addc_co_u32_e32 v9, vcc, v10, v9, vcc
	v_add_co_u32_e32 v10, vcc, v8, v5
	v_addc_co_u32_e32 v11, vcc, v9, v1, vcc
	v_lshrrev_b64 v[8:9], 5, v[10:11]
	v_add_co_u32_e32 v12, vcc, 1, v8
	v_addc_co_u32_e32 v9, vcc, 0, v9, vcc
	s_mov_b64 s[0:1], 0x5f
	v_cmp_lt_u64_e32 vcc, s[0:1], v[10:11]
	v_mov_b32_e32 v21, 0
	v_mov_b32_e32 v20, 0
	;; [unrolled: 1-line block ×4, first 2 shown]
	s_and_saveexec_b64 s[20:21], vcc
	s_cbranch_execz .LBB68_35
; %bb.32:
	v_lshlrev_b64 v[10:11], 2, v[6:7]
	v_mov_b32_e32 v1, s13
	v_add_co_u32_e32 v5, vcc, s12, v10
	v_addc_co_u32_e32 v1, vcc, v11, v1, vcc
	v_add_co_u32_e32 v10, vcc, 0x100, v5
	v_and_b32_e32 v8, -4, v12
	v_addc_co_u32_e32 v11, vcc, 0, v1, vcc
	s_mov_b64 s[22:23], 0
	v_mov_b32_e32 v1, 0
	v_mov_b32_e32 v13, s19
	s_mov_b32 s25, 0xc0c0400
	s_mov_b32 s26, 0x4000c0c
	;; [unrolled: 1-line block ×8, first 2 shown]
	s_movk_i32 s34, 0x800
	s_movk_i32 s35, 0x80
	v_mov_b32_e32 v5, 0
	v_mov_b32_e32 v20, 0
	;; [unrolled: 1-line block ×3, first 2 shown]
.LBB68_33:                              ; =>This Inner Loop Header: Depth=1
	global_load_dword v18, v[10:11], off offset:-256
	global_load_dword v19, v[10:11], off offset:-128
	global_load_dword v34, v[10:11], off
	global_load_dword v35, v[10:11], off offset:128
	global_load_dwordx4 v[14:17], v[2:3], off
	global_load_dwordx4 v[22:25], v[2:3], off offset:512
	global_load_dwordx4 v[26:29], v[2:3], off offset:1024
	;; [unrolled: 1-line block ×3, first 2 shown]
	v_add_co_u32_e32 v2, vcc, s34, v2
	v_addc_co_u32_e32 v3, vcc, 0, v3, vcc
	v_add_co_u32_e64 v8, s[0:1], -4, v8
	v_add_co_u32_e32 v6, vcc, s35, v6
	v_addc_co_u32_e64 v9, s[0:1], -1, v9, s[0:1]
	v_addc_co_u32_e32 v7, vcc, 0, v7, vcc
	v_cmp_eq_u64_e64 s[0:1], 0, v[8:9]
	v_add_co_u32_e32 v10, vcc, 0x200, v10
	s_or_b64 s[22:23], s[0:1], s[22:23]
	v_addc_co_u32_e32 v11, vcc, 0, v11, vcc
	s_waitcnt vmcnt(7)
	v_subrev_u32_e32 v18, s16, v18
	s_waitcnt vmcnt(6)
	v_subrev_u32_e32 v19, s16, v19
	;; [unrolled: 2-line block ×4, first 2 shown]
	v_lshlrev_b32_e32 v37, 2, v18
	v_lshlrev_b32_e32 v18, 2, v19
	;; [unrolled: 1-line block ×4, first 2 shown]
	v_ashrrev_i32_e32 v39, 31, v37
	v_add_co_u32_e64 v38, s[10:11], s18, v37
	v_ashrrev_i32_e32 v40, 31, v18
	v_add_co_u32_e64 v18, s[2:3], s18, v18
	;; [unrolled: 2-line block ×4, first 2 shown]
	v_addc_co_u32_e64 v39, s[10:11], v13, v39, s[10:11]
	v_addc_co_u32_e64 v19, s[2:3], v13, v40, s[2:3]
	;; [unrolled: 1-line block ×4, first 2 shown]
	global_load_dword v40, v[38:39], off
	global_load_dword v41, v[18:19], off
	;; [unrolled: 1-line block ×4, first 2 shown]
	s_waitcnt vmcnt(7)
	v_perm_b32 v18, v15, v14, s25
	v_perm_b32 v19, v17, v16, s26
	v_perm_b32 v34, v15, v14, s27
	v_perm_b32 v35, v17, v16, s28
	v_perm_b32 v36, v15, v14, s29
	v_perm_b32 v37, v17, v16, s30
	v_perm_b32 v14, v15, v14, s31
	v_perm_b32 v15, v17, v16, s33
	s_waitcnt vmcnt(6)
	v_perm_b32 v16, v23, v22, s25
	v_perm_b32 v17, v25, v24, s26
	v_perm_b32 v38, v23, v22, s27
	v_perm_b32 v39, v25, v24, s28
	v_perm_b32 v44, v23, v22, s29
	v_perm_b32 v45, v25, v24, s30
	v_perm_b32 v22, v23, v22, s31
	v_perm_b32 v23, v25, v24, s33
	;; [unrolled: 9-line block ×4, first 2 shown]
	v_or_b32_e32 v18, v19, v18
	v_or_b32_e32 v19, v35, v34
	;; [unrolled: 1-line block ×16, first 2 shown]
	s_waitcnt vmcnt(3)
	v_dot4c_i32_i8_e32 v21, v40, v18
	v_dot4c_i32_i8_e32 v20, v19, v40
	v_dot4c_i32_i8_e32 v5, v32, v40
	v_dot4c_i32_i8_e32 v1, v14, v40
	s_waitcnt vmcnt(2)
	v_dot4c_i32_i8_e32 v21, v41, v15
	v_dot4c_i32_i8_e32 v20, v16, v41
	v_dot4c_i32_i8_e32 v5, v17, v41
	v_dot4c_i32_i8_e32 v1, v22, v41
	;; [unrolled: 5-line block ×4, first 2 shown]
	s_andn2_b64 exec, exec, s[22:23]
	s_cbranch_execnz .LBB68_33
; %bb.34:
	s_or_b64 exec, exec, s[22:23]
.LBB68_35:
	s_or_b64 exec, exec, s[20:21]
	v_and_b32_e32 v8, 3, v12
	v_mov_b32_e32 v9, 0
	s_mov_b64 s[6:7], 0
	v_cmp_ne_u64_e32 vcc, 0, v[8:9]
	s_and_saveexec_b64 s[2:3], vcc
	s_cbranch_execz .LBB68_39
; %bb.36:
	v_lshlrev_b64 v[6:7], 2, v[6:7]
	v_mov_b32_e32 v10, s13
	v_add_co_u32_e32 v6, vcc, s12, v6
	v_addc_co_u32_e32 v7, vcc, v10, v7, vcc
	v_lshlrev_b32_e32 v8, 2, v8
	v_mov_b32_e32 v10, s19
	s_mov_b32 s8, 0xc0c0400
	s_mov_b32 s9, 0x4000c0c
	;; [unrolled: 1-line block ×8, first 2 shown]
	s_movk_i32 s21, 0x200
.LBB68_37:                              ; =>This Inner Loop Header: Depth=1
	global_load_dword v11, v[6:7], off
	global_load_dwordx4 v[12:15], v[2:3], off
	v_add_co_u32_e64 v8, s[0:1], -4, v8
	v_addc_co_u32_e64 v9, s[0:1], -1, v9, s[0:1]
	v_cmp_eq_u64_e64 s[0:1], 0, v[8:9]
	s_or_b64 s[6:7], s[0:1], s[6:7]
	s_waitcnt vmcnt(1)
	v_subrev_u32_e32 v11, s16, v11
	v_lshlrev_b32_e32 v11, 2, v11
	v_ashrrev_i32_e32 v17, 31, v11
	v_add_co_u32_e32 v16, vcc, s18, v11
	v_addc_co_u32_e32 v17, vcc, v10, v17, vcc
	global_load_dword v11, v[16:17], off
	v_add_co_u32_e32 v2, vcc, s21, v2
	v_addc_co_u32_e32 v3, vcc, 0, v3, vcc
	s_waitcnt vmcnt(1)
	v_perm_b32 v16, v13, v12, s8
	v_perm_b32 v17, v15, v14, s9
	;; [unrolled: 1-line block ×8, first 2 shown]
	v_add_co_u32_e32 v6, vcc, 0x80, v6
	v_or_b32_e32 v14, v17, v16
	v_or_b32_e32 v15, v19, v18
	;; [unrolled: 1-line block ×4, first 2 shown]
	v_addc_co_u32_e32 v7, vcc, 0, v7, vcc
	s_waitcnt vmcnt(0)
	v_dot4c_i32_i8_e32 v21, v11, v14
	v_dot4c_i32_i8_e32 v20, v15, v11
	;; [unrolled: 1-line block ×4, first 2 shown]
	s_andn2_b64 exec, exec, s[6:7]
	s_cbranch_execnz .LBB68_37
; %bb.38:
	s_or_b64 exec, exec, s[6:7]
.LBB68_39:
	s_or_b64 exec, exec, s[2:3]
.LBB68_40:
	s_or_b64 exec, exec, s[14:15]
.LBB68_41:
	v_mov_b32_dpp v2, v21 row_shr:1 row_mask:0xf bank_mask:0xf
	v_mov_b32_dpp v6, v20 row_shr:1 row_mask:0xf bank_mask:0xf
	v_mov_b32_dpp v8, v5 row_shr:1 row_mask:0xf bank_mask:0xf
	v_mov_b32_dpp v9, v1 row_shr:1 row_mask:0xf bank_mask:0xf
	v_add_u32_e32 v2, v2, v21
	v_add_u32_e32 v6, v6, v20
	v_add_u32_e32 v5, v8, v5
	v_add_u32_e32 v1, v9, v1
	v_mov_b32_dpp v3, v2 row_shr:2 row_mask:0xf bank_mask:0xf
	v_mov_b32_dpp v7, v6 row_shr:2 row_mask:0xf bank_mask:0xf
	v_mov_b32_dpp v8, v5 row_shr:2 row_mask:0xf bank_mask:0xf
	v_mov_b32_dpp v9, v1 row_shr:2 row_mask:0xf bank_mask:0xf
	v_add_u32_e32 v2, v2, v3
	v_add_u32_e32 v6, v6, v7
	v_add_u32_e32 v5, v5, v8
	v_add_u32_e32 v1, v1, v9
	;; [unrolled: 8-line block ×4, first 2 shown]
	v_mov_b32_dpp v3, v2 row_bcast:15 row_mask:0xa bank_mask:0xf
	v_mov_b32_dpp v7, v6 row_bcast:15 row_mask:0xa bank_mask:0xf
	;; [unrolled: 1-line block ×4, first 2 shown]
	v_cmp_eq_u32_e32 vcc, 31, v0
	s_and_b64 exec, exec, vcc
	s_cbranch_execz .LBB68_14
; %bb.42:
	s_load_dwordx2 s[0:1], s[4:5], 0x50
	v_add_u32_e32 v0, v2, v3
	v_add_u32_e32 v2, v6, v7
	;; [unrolled: 1-line block ×4, first 2 shown]
	s_cmp_eq_u32 s24, 0
	v_mul_lo_u32 v0, v0, s17
	v_mul_lo_u32 v8, v2, s17
	;; [unrolled: 1-line block ×4, first 2 shown]
	v_lshlrev_b32_e32 v4, 2, v4
	s_cbranch_scc1 .LBB68_44
; %bb.43:
	v_ashrrev_i32_e32 v5, 31, v4
	v_lshlrev_b64 v[10:11], 2, v[4:5]
	s_waitcnt lgkmcnt(0)
	v_mov_b32_e32 v1, s1
	v_add_co_u32_e32 v18, vcc, s0, v10
	v_addc_co_u32_e32 v19, vcc, v1, v11, vcc
	global_load_dwordx4 v[10:13], v[18:19], off
	s_waitcnt vmcnt(0)
	v_mad_u64_u32 v[14:15], s[2:3], v10, s24, v[0:1]
	v_mad_u64_u32 v[10:11], s[2:3], v11, s24, v[8:9]
	;; [unrolled: 1-line block ×4, first 2 shown]
	v_mov_b32_e32 v15, v10
	v_mov_b32_e32 v17, v12
	global_store_dwordx4 v[18:19], v[14:17], off
	s_cbranch_execnz .LBB68_14
	s_branch .LBB68_45
.LBB68_44:
.LBB68_45:
	v_ashrrev_i32_e32 v5, 31, v4
	v_lshlrev_b64 v[4:5], 2, v[4:5]
	s_waitcnt lgkmcnt(0)
	v_mov_b32_e32 v1, s1
	v_add_co_u32_e32 v4, vcc, s0, v4
	v_addc_co_u32_e32 v5, vcc, v1, v5, vcc
	v_mov_b32_e32 v1, v8
	v_mov_b32_e32 v3, v6
	global_store_dwordx4 v[4:5], v[0:3], off
	s_endpgm
	.section	.rodata,"a",@progbits
	.p2align	6, 0x0
	.amdhsa_kernel _ZN9rocsparseL18bsrxmvn_4x4_kernelILj128ELj32EiliaaiEEvT3_20rocsparse_direction_NS_24const_host_device_scalarIT1_EES1_PKS1_PKT2_SA_S7_PKT4_PKT5_S5_PT6_21rocsparse_index_base_b
		.amdhsa_group_segment_fixed_size 0
		.amdhsa_private_segment_fixed_size 0
		.amdhsa_kernarg_size 96
		.amdhsa_user_sgpr_count 6
		.amdhsa_user_sgpr_private_segment_buffer 1
		.amdhsa_user_sgpr_dispatch_ptr 0
		.amdhsa_user_sgpr_queue_ptr 0
		.amdhsa_user_sgpr_kernarg_segment_ptr 1
		.amdhsa_user_sgpr_dispatch_id 0
		.amdhsa_user_sgpr_flat_scratch_init 0
		.amdhsa_user_sgpr_kernarg_preload_length 0
		.amdhsa_user_sgpr_kernarg_preload_offset 0
		.amdhsa_user_sgpr_private_segment_size 0
		.amdhsa_uses_dynamic_stack 0
		.amdhsa_system_sgpr_private_segment_wavefront_offset 0
		.amdhsa_system_sgpr_workgroup_id_x 1
		.amdhsa_system_sgpr_workgroup_id_y 0
		.amdhsa_system_sgpr_workgroup_id_z 0
		.amdhsa_system_sgpr_workgroup_info 0
		.amdhsa_system_vgpr_workitem_id 0
		.amdhsa_next_free_vgpr 56
		.amdhsa_next_free_sgpr 36
		.amdhsa_accum_offset 56
		.amdhsa_reserve_vcc 1
		.amdhsa_reserve_flat_scratch 0
		.amdhsa_float_round_mode_32 0
		.amdhsa_float_round_mode_16_64 0
		.amdhsa_float_denorm_mode_32 3
		.amdhsa_float_denorm_mode_16_64 3
		.amdhsa_dx10_clamp 1
		.amdhsa_ieee_mode 1
		.amdhsa_fp16_overflow 0
		.amdhsa_tg_split 0
		.amdhsa_exception_fp_ieee_invalid_op 0
		.amdhsa_exception_fp_denorm_src 0
		.amdhsa_exception_fp_ieee_div_zero 0
		.amdhsa_exception_fp_ieee_overflow 0
		.amdhsa_exception_fp_ieee_underflow 0
		.amdhsa_exception_fp_ieee_inexact 0
		.amdhsa_exception_int_div_zero 0
	.end_amdhsa_kernel
	.section	.text._ZN9rocsparseL18bsrxmvn_4x4_kernelILj128ELj32EiliaaiEEvT3_20rocsparse_direction_NS_24const_host_device_scalarIT1_EES1_PKS1_PKT2_SA_S7_PKT4_PKT5_S5_PT6_21rocsparse_index_base_b,"axG",@progbits,_ZN9rocsparseL18bsrxmvn_4x4_kernelILj128ELj32EiliaaiEEvT3_20rocsparse_direction_NS_24const_host_device_scalarIT1_EES1_PKS1_PKT2_SA_S7_PKT4_PKT5_S5_PT6_21rocsparse_index_base_b,comdat
.Lfunc_end68:
	.size	_ZN9rocsparseL18bsrxmvn_4x4_kernelILj128ELj32EiliaaiEEvT3_20rocsparse_direction_NS_24const_host_device_scalarIT1_EES1_PKS1_PKT2_SA_S7_PKT4_PKT5_S5_PT6_21rocsparse_index_base_b, .Lfunc_end68-_ZN9rocsparseL18bsrxmvn_4x4_kernelILj128ELj32EiliaaiEEvT3_20rocsparse_direction_NS_24const_host_device_scalarIT1_EES1_PKS1_PKT2_SA_S7_PKT4_PKT5_S5_PT6_21rocsparse_index_base_b
                                        ; -- End function
	.section	.AMDGPU.csdata,"",@progbits
; Kernel info:
; codeLenInByte = 3452
; NumSgprs: 40
; NumVgprs: 56
; NumAgprs: 0
; TotalNumVgprs: 56
; ScratchSize: 0
; MemoryBound: 0
; FloatMode: 240
; IeeeMode: 1
; LDSByteSize: 0 bytes/workgroup (compile time only)
; SGPRBlocks: 4
; VGPRBlocks: 6
; NumSGPRsForWavesPerEU: 40
; NumVGPRsForWavesPerEU: 56
; AccumOffset: 56
; Occupancy: 8
; WaveLimiterHint : 1
; COMPUTE_PGM_RSRC2:SCRATCH_EN: 0
; COMPUTE_PGM_RSRC2:USER_SGPR: 6
; COMPUTE_PGM_RSRC2:TRAP_HANDLER: 0
; COMPUTE_PGM_RSRC2:TGID_X_EN: 1
; COMPUTE_PGM_RSRC2:TGID_Y_EN: 0
; COMPUTE_PGM_RSRC2:TGID_Z_EN: 0
; COMPUTE_PGM_RSRC2:TIDIG_COMP_CNT: 0
; COMPUTE_PGM_RSRC3_GFX90A:ACCUM_OFFSET: 13
; COMPUTE_PGM_RSRC3_GFX90A:TG_SPLIT: 0
	.section	.text._ZN9rocsparseL18bsrxmvn_4x4_kernelILj128ELj64EiliaaiEEvT3_20rocsparse_direction_NS_24const_host_device_scalarIT1_EES1_PKS1_PKT2_SA_S7_PKT4_PKT5_S5_PT6_21rocsparse_index_base_b,"axG",@progbits,_ZN9rocsparseL18bsrxmvn_4x4_kernelILj128ELj64EiliaaiEEvT3_20rocsparse_direction_NS_24const_host_device_scalarIT1_EES1_PKS1_PKT2_SA_S7_PKT4_PKT5_S5_PT6_21rocsparse_index_base_b,comdat
	.globl	_ZN9rocsparseL18bsrxmvn_4x4_kernelILj128ELj64EiliaaiEEvT3_20rocsparse_direction_NS_24const_host_device_scalarIT1_EES1_PKS1_PKT2_SA_S7_PKT4_PKT5_S5_PT6_21rocsparse_index_base_b ; -- Begin function _ZN9rocsparseL18bsrxmvn_4x4_kernelILj128ELj64EiliaaiEEvT3_20rocsparse_direction_NS_24const_host_device_scalarIT1_EES1_PKS1_PKT2_SA_S7_PKT4_PKT5_S5_PT6_21rocsparse_index_base_b
	.p2align	8
	.type	_ZN9rocsparseL18bsrxmvn_4x4_kernelILj128ELj64EiliaaiEEvT3_20rocsparse_direction_NS_24const_host_device_scalarIT1_EES1_PKS1_PKT2_SA_S7_PKT4_PKT5_S5_PT6_21rocsparse_index_base_b,@function
_ZN9rocsparseL18bsrxmvn_4x4_kernelILj128ELj64EiliaaiEEvT3_20rocsparse_direction_NS_24const_host_device_scalarIT1_EES1_PKS1_PKT2_SA_S7_PKT4_PKT5_S5_PT6_21rocsparse_index_base_b: ; @_ZN9rocsparseL18bsrxmvn_4x4_kernelILj128ELj64EiliaaiEEvT3_20rocsparse_direction_NS_24const_host_device_scalarIT1_EES1_PKS1_PKT2_SA_S7_PKT4_PKT5_S5_PT6_21rocsparse_index_base_b
; %bb.0:
	s_load_dwordx2 s[16:17], s[4:5], 0x58
	s_load_dwordx2 s[8:9], s[4:5], 0x8
	s_mov_b64 s[10:11], -1
	s_waitcnt lgkmcnt(0)
	s_bitcmp1_b32 s17, 0
	s_cselect_b64 s[0:1], -1, 0
	s_xor_b64 s[2:3], s[0:1], -1
	s_and_b64 vcc, exec, s[2:3]
                                        ; implicit-def: $sgpr17
	s_cbranch_vccnz .LBB69_4
; %bb.1:
	s_load_dwordx2 s[0:1], s[4:5], 0x48
	s_andn2_b64 vcc, exec, s[10:11]
	s_cbranch_vccz .LBB69_5
.LBB69_2:
	s_and_b64 vcc, exec, s[2:3]
	s_cbranch_vccz .LBB69_6
.LBB69_3:
	s_waitcnt lgkmcnt(0)
	s_load_dword s24, s[0:1], 0x0
	s_cbranch_execz .LBB69_7
	s_branch .LBB69_8
.LBB69_4:
	s_load_dword s17, s[8:9], 0x0
	s_load_dwordx2 s[0:1], s[4:5], 0x48
	s_cbranch_execnz .LBB69_2
.LBB69_5:
	s_waitcnt lgkmcnt(0)
	s_mov_b32 s17, s8
	s_and_b64 vcc, exec, s[2:3]
	s_cbranch_vccnz .LBB69_3
.LBB69_6:
                                        ; implicit-def: $sgpr24
.LBB69_7:
	s_waitcnt lgkmcnt(0)
	s_mov_b32 s24, s0
.LBB69_8:
	s_waitcnt lgkmcnt(0)
	s_cmp_lg_u32 s17, 0
	s_cselect_b64 s[0:1], -1, 0
	s_cmp_lg_u32 s24, 1
	s_cselect_b64 s[2:3], -1, 0
	s_or_b64 s[0:1], s[0:1], s[2:3]
	s_andn2_b64 vcc, exec, s[0:1]
	s_cbranch_vccnz .LBB69_14
; %bb.9:
	s_load_dwordx2 s[8:9], s[4:5], 0x18
	s_load_dwordx2 s[0:1], s[4:5], 0x0
	v_lshrrev_b32_e32 v1, 6, v0
	v_lshl_or_b32 v2, s6, 1, v1
	s_mov_b64 s[2:3], 0
	s_waitcnt lgkmcnt(0)
	s_cmp_lg_u64 s[8:9], 0
	s_cbranch_scc0 .LBB69_15
; %bb.10:
	s_load_dword s6, s[4:5], 0x10
                                        ; implicit-def: $vgpr1
	s_waitcnt lgkmcnt(0)
	v_cmp_gt_i32_e32 vcc, s6, v2
	s_and_saveexec_b64 s[6:7], vcc
	s_xor_b64 s[6:7], exec, s[6:7]
	s_cbranch_execz .LBB69_12
; %bb.11:
	v_ashrrev_i32_e32 v3, 31, v2
	v_lshlrev_b64 v[4:5], 2, v[2:3]
	v_mov_b32_e32 v1, s9
	v_add_co_u32_e32 v4, vcc, s8, v4
	v_addc_co_u32_e32 v5, vcc, v1, v5, vcc
	global_load_dword v1, v[4:5], off
	s_mov_b64 s[2:3], exec
	s_waitcnt vmcnt(0)
	v_subrev_u32_e32 v1, s16, v1
.LBB69_12:
	s_or_b64 exec, exec, s[6:7]
	s_branch .LBB69_16
.LBB69_13:
	v_cmp_gt_i32_e32 vcc, s0, v2
	s_andn2_b64 s[2:3], s[2:3], exec
	s_and_b64 s[6:7], vcc, exec
	s_or_b64 s[2:3], s[2:3], s[6:7]
	s_and_saveexec_b64 s[6:7], s[2:3]
	s_cbranch_execnz .LBB69_17
.LBB69_14:
	s_endpgm
.LBB69_15:
                                        ; implicit-def: $vgpr1
	s_cbranch_execnz .LBB69_13
.LBB69_16:
	v_mov_b32_e32 v2, v1
	s_and_saveexec_b64 s[6:7], s[2:3]
	s_cbranch_execz .LBB69_14
.LBB69_17:
	s_load_dwordx8 s[8:15], s[4:5], 0x20
	v_ashrrev_i32_e32 v3, 31, v2
	v_lshlrev_b64 v[4:5], 3, v[2:3]
	v_and_b32_e32 v0, 63, v0
	s_load_dwordx2 s[18:19], s[4:5], 0x40
	s_waitcnt lgkmcnt(0)
	v_mov_b32_e32 v1, s9
	v_add_co_u32_e32 v6, vcc, s8, v4
	v_addc_co_u32_e32 v7, vcc, v1, v5, vcc
	v_add_co_u32_e32 v1, vcc, 8, v6
	v_addc_co_u32_e32 v3, vcc, 0, v7, vcc
	global_load_dwordx2 v[8:9], v[6:7], off
	v_mov_b32_e32 v6, s11
	v_add_co_u32_e32 v4, vcc, s10, v4
	s_cmp_eq_u64 s[10:11], 0
	v_addc_co_u32_e32 v5, vcc, v6, v5, vcc
	s_cselect_b64 vcc, -1, 0
	v_cndmask_b32_e32 v5, v5, v3, vcc
	v_cndmask_b32_e32 v4, v4, v1, vcc
	global_load_dwordx2 v[4:5], v[4:5], off
	v_mov_b32_e32 v3, s15
	s_mov_b32 s22, 0
	v_mov_b32_e32 v1, 0
	s_cmp_eq_u32 s1, 1
	s_waitcnt vmcnt(1)
	v_subrev_co_u32_e32 v6, vcc, s16, v8
	v_subbrev_co_u32_e32 v7, vcc, 0, v9, vcc
	v_add_co_u32_e32 v6, vcc, v6, v0
	v_addc_co_u32_e32 v7, vcc, 0, v7, vcc
	s_waitcnt vmcnt(0)
	v_subrev_co_u32_e32 v10, vcc, s16, v4
	v_subbrev_co_u32_e32 v11, vcc, 0, v5, vcc
	v_lshlrev_b64 v[4:5], 4, v[6:7]
	v_add_co_u32_e32 v4, vcc, s14, v4
	v_addc_co_u32_e32 v5, vcc, v3, v5, vcc
	v_cmp_lt_i64_e64 s[0:1], v[6:7], v[10:11]
	s_cbranch_scc1 .LBB69_29
; %bb.18:
	v_mov_b32_e32 v3, 0
	v_mov_b32_e32 v21, 0
	;; [unrolled: 1-line block ×3, first 2 shown]
	s_and_saveexec_b64 s[10:11], s[0:1]
	s_cbranch_execz .LBB69_28
; %bb.19:
	v_or_b32_e32 v1, 64, v0
	v_mov_b32_e32 v3, s22
	v_subrev_co_u32_e32 v1, vcc, s16, v1
	v_subb_co_u32_e32 v3, vcc, 0, v3, vcc
	v_add_co_u32_e32 v12, vcc, v1, v8
	v_addc_co_u32_e32 v13, vcc, v3, v9, vcc
	v_cmp_gt_i64_e32 vcc, v[12:13], v[10:11]
	v_cndmask_b32_e32 v1, v11, v13, vcc
	v_cndmask_b32_e32 v3, v10, v12, vcc
	v_mov_b32_e32 v14, s22
	v_sub_co_u32_e32 v15, vcc, s16, v0
	v_not_b32_e32 v13, v8
	v_subbrev_co_u32_e32 v14, vcc, 0, v14, vcc
	v_not_b32_e32 v12, v9
	v_add_co_u32_e32 v13, vcc, v15, v13
	v_addc_co_u32_e32 v14, vcc, v14, v12, vcc
	v_add_co_u32_e32 v12, vcc, v13, v3
	v_addc_co_u32_e32 v13, vcc, v14, v1, vcc
	v_lshrrev_b64 v[14:15], 6, v[12:13]
	v_add_co_u32_e32 v22, vcc, 1, v14
	v_addc_co_u32_e32 v17, vcc, 0, v15, vcc
	s_mov_b64 s[2:3], 0xbf
	v_cmp_lt_u64_e32 vcc, s[2:3], v[12:13]
	v_mov_b32_e32 v20, 0
	v_mov_b32_e32 v21, 0
	;; [unrolled: 1-line block ×4, first 2 shown]
	v_pk_mov_b32 v[14:15], v[6:7], v[6:7] op_sel:[0,1]
	v_pk_mov_b32 v[12:13], v[4:5], v[4:5] op_sel:[0,1]
	s_and_saveexec_b64 s[14:15], vcc
	s_cbranch_execz .LBB69_23
; %bb.20:
	v_lshlrev_b64 v[12:13], 2, v[6:7]
	v_mov_b32_e32 v1, s13
	v_add_co_u32_e32 v3, vcc, s12, v12
	v_addc_co_u32_e32 v1, vcc, v13, v1, vcc
	v_add_co_u32_e32 v18, vcc, 0x200, v3
	v_and_b32_e32 v16, -4, v22
	v_addc_co_u32_e32 v19, vcc, 0, v1, vcc
	s_mov_b64 s[20:21], 0
	v_mov_b32_e32 v1, 0
	v_mov_b32_e32 v23, s19
	s_movk_i32 s23, 0x1000
	s_movk_i32 s25, 0x100
	v_pk_mov_b32 v[12:13], v[4:5], v[4:5] op_sel:[0,1]
	v_pk_mov_b32 v[14:15], v[6:7], v[6:7] op_sel:[0,1]
	v_mov_b32_e32 v3, 0
	v_mov_b32_e32 v21, 0
	;; [unrolled: 1-line block ×3, first 2 shown]
.LBB69_21:                              ; =>This Inner Loop Header: Depth=1
	global_load_dword v40, v[18:19], off offset:-512
	global_load_dword v41, v[18:19], off offset:-256
	global_load_dword v42, v[18:19], off
	global_load_dword v43, v[18:19], off offset:256
	global_load_dwordx4 v[24:27], v[12:13], off
	global_load_dwordx4 v[28:31], v[12:13], off offset:1024
	global_load_dwordx4 v[32:35], v[12:13], off offset:2048
	;; [unrolled: 1-line block ×3, first 2 shown]
	s_waitcnt vmcnt(7)
	v_subrev_u32_e32 v40, s16, v40
	s_waitcnt vmcnt(6)
	v_subrev_u32_e32 v41, s16, v41
	;; [unrolled: 2-line block ×4, first 2 shown]
	v_lshlrev_b32_e32 v45, 2, v40
	v_lshlrev_b32_e32 v40, 2, v41
	;; [unrolled: 1-line block ×4, first 2 shown]
	v_ashrrev_i32_e32 v47, 31, v45
	v_add_co_u32_e64 v46, s[8:9], s18, v45
	v_ashrrev_i32_e32 v48, 31, v40
	v_add_co_u32_e32 v40, vcc, s18, v40
	v_ashrrev_i32_e32 v49, 31, v41
	v_add_co_u32_e64 v42, s[2:3], s18, v41
	v_ashrrev_i32_e32 v50, 31, v43
	v_add_co_u32_e64 v44, s[6:7], s18, v43
	v_addc_co_u32_e64 v47, s[8:9], v23, v47, s[8:9]
	v_addc_co_u32_e32 v41, vcc, v23, v48, vcc
	v_addc_co_u32_e64 v43, vcc, v23, v49, s[2:3]
	v_addc_co_u32_e64 v45, vcc, v23, v50, s[6:7]
	global_load_dword v48, v[46:47], off
	global_load_dword v49, v[40:41], off
	;; [unrolled: 1-line block ×4, first 2 shown]
	s_waitcnt vmcnt(7)
	v_lshrrev_b16_e32 v40, 8, v27
	s_waitcnt vmcnt(6)
	v_lshrrev_b16_e32 v41, 8, v31
	;; [unrolled: 2-line block ×3, first 2 shown]
	v_add_co_u32_e32 v12, vcc, s23, v12
	v_bfe_i32 v40, v40, 0, 8
	v_bfe_i32 v41, v41, 0, 8
	v_bfe_i32 v42, v42, 0, 8
	v_addc_co_u32_e32 v13, vcc, 0, v13, vcc
	v_add_co_u32_e64 v16, s[2:3], -4, v16
	v_add_co_u32_e32 v14, vcc, s25, v14
	s_waitcnt vmcnt(4)
	v_bfe_i32 v43, v39, 8, 8
	v_addc_co_u32_e64 v17, s[2:3], -1, v17, s[2:3]
	v_addc_co_u32_e32 v15, vcc, 0, v15, vcc
	v_cmp_eq_u64_e64 s[2:3], 0, v[16:17]
	v_add_co_u32_e32 v18, vcc, 0x400, v18
	s_or_b64 s[20:21], s[2:3], s[20:21]
	v_addc_co_u32_e32 v19, vcc, 0, v19, vcc
	s_waitcnt vmcnt(3)
	v_lshrrev_b16_e32 v44, 8, v48
	v_dot4c_i32_i8_e32 v20, v48, v24
	v_dot4c_i32_i8_e32 v21, v48, v25
	;; [unrolled: 1-line block ×3, first 2 shown]
	v_mul_i32_i24_sdwa v24, sext(v27), sext(v48) dst_sel:DWORD dst_unused:UNUSED_PAD src0_sel:BYTE_0 src1_sel:BYTE_0
	v_mul_i32_i24_sdwa v25, sext(v27), sext(v48) dst_sel:DWORD dst_unused:UNUSED_PAD src0_sel:BYTE_2 src1_sel:BYTE_2
	v_mul_i32_i24_sdwa v26, sext(v27), sext(v48) dst_sel:DWORD dst_unused:UNUSED_PAD src0_sel:BYTE_3 src1_sel:BYTE_3
	s_waitcnt vmcnt(2)
	v_lshrrev_b16_e32 v27, 8, v49
	s_waitcnt vmcnt(1)
	v_lshrrev_b16_e32 v47, 8, v50
	v_mul_i32_i24_sdwa v45, sext(v31), sext(v49) dst_sel:DWORD dst_unused:UNUSED_PAD src0_sel:BYTE_0 src1_sel:BYTE_0
	v_mul_i32_i24_sdwa v46, sext(v31), sext(v49) dst_sel:DWORD dst_unused:UNUSED_PAD src0_sel:BYTE_2 src1_sel:BYTE_2
	v_mul_i32_i24_sdwa v31, sext(v31), sext(v49) dst_sel:DWORD dst_unused:UNUSED_PAD src0_sel:BYTE_3 src1_sel:BYTE_3
	v_mul_i32_i24_sdwa v48, sext(v35), sext(v50) dst_sel:DWORD dst_unused:UNUSED_PAD src0_sel:BYTE_0 src1_sel:BYTE_0
	v_mul_i32_i24_sdwa v52, sext(v35), sext(v50) dst_sel:DWORD dst_unused:UNUSED_PAD src0_sel:BYTE_2 src1_sel:BYTE_2
	v_mul_i32_i24_sdwa v35, sext(v35), sext(v50) dst_sel:DWORD dst_unused:UNUSED_PAD src0_sel:BYTE_3 src1_sel:BYTE_3
	v_bfe_i32 v44, v44, 0, 8
	v_bfe_i32 v27, v27, 0, 8
	v_dot4c_i32_i8_e32 v20, v49, v28
	v_bfe_i32 v28, v47, 0, 8
	v_mad_i32_i24 v26, v40, v44, v26
	v_mad_i32_i24 v27, v41, v27, v31
	;; [unrolled: 1-line block ×3, first 2 shown]
	s_waitcnt vmcnt(0)
	v_bfe_i32 v53, v51, 8, 8
	v_mul_i32_i24_sdwa v55, sext(v39), sext(v51) dst_sel:DWORD dst_unused:UNUSED_PAD src0_sel:BYTE_2 src1_sel:BYTE_2
	v_add3_u32 v24, v24, v25, v26
	v_add3_u32 v25, v45, v46, v27
	;; [unrolled: 1-line block ×3, first 2 shown]
	v_mul_i32_i24_sdwa v54, sext(v39), sext(v51) dst_sel:DWORD dst_unused:UNUSED_PAD src0_sel:BYTE_0 src1_sel:BYTE_0
	v_dot4c_i32_i8_e32 v21, v49, v29
	v_dot4c_i32_i8_e32 v3, v49, v30
	v_mad_i32_i24 v29, v43, v53, v55
	v_add3_u32 v24, v24, v25, v26
	v_mul_i32_i24_sdwa v39, sext(v39), sext(v51) dst_sel:DWORD dst_unused:UNUSED_PAD src0_sel:BYTE_3 src1_sel:BYTE_3
	v_dot4c_i32_i8_e32 v20, v50, v32
	v_dot4c_i32_i8_e32 v21, v50, v33
	;; [unrolled: 1-line block ×3, first 2 shown]
	v_add3_u32 v24, v24, v54, v29
	v_dot4c_i32_i8_e32 v20, v51, v36
	v_dot4c_i32_i8_e32 v21, v37, v51
	;; [unrolled: 1-line block ×3, first 2 shown]
	v_add3_u32 v1, v24, v1, v39
	s_andn2_b64 exec, exec, s[20:21]
	s_cbranch_execnz .LBB69_21
; %bb.22:
	s_or_b64 exec, exec, s[20:21]
.LBB69_23:
	s_or_b64 exec, exec, s[14:15]
	v_and_b32_e32 v16, 3, v22
	v_mov_b32_e32 v17, 0
	s_mov_b64 s[8:9], 0
	v_cmp_ne_u64_e32 vcc, 0, v[16:17]
	s_and_saveexec_b64 s[6:7], vcc
	s_cbranch_execz .LBB69_27
; %bb.24:
	v_lshlrev_b64 v[14:15], 2, v[14:15]
	v_mov_b32_e32 v18, s13
	v_add_co_u32_e32 v14, vcc, s12, v14
	v_addc_co_u32_e32 v15, vcc, v18, v15, vcc
	v_lshlrev_b32_e32 v16, 2, v16
	v_mov_b32_e32 v18, s19
	s_movk_i32 s14, 0x100
.LBB69_25:                              ; =>This Inner Loop Header: Depth=1
	global_load_dword v19, v[14:15], off
	global_load_dwordx4 v[22:25], v[12:13], off
	v_add_co_u32_e64 v16, s[2:3], -4, v16
	v_addc_co_u32_e64 v17, s[2:3], -1, v17, s[2:3]
	v_cmp_eq_u64_e64 s[2:3], 0, v[16:17]
	s_or_b64 s[8:9], s[2:3], s[8:9]
	s_waitcnt vmcnt(1)
	v_subrev_u32_e32 v19, s16, v19
	v_lshlrev_b32_e32 v19, 2, v19
	v_ashrrev_i32_e32 v27, 31, v19
	v_add_co_u32_e32 v26, vcc, s18, v19
	v_addc_co_u32_e32 v27, vcc, v18, v27, vcc
	global_load_dword v19, v[26:27], off
	v_add_co_u32_e32 v14, vcc, s14, v14
	v_addc_co_u32_e32 v15, vcc, 0, v15, vcc
	v_add_co_u32_e32 v12, vcc, 0x400, v12
	v_addc_co_u32_e32 v13, vcc, 0, v13, vcc
	s_waitcnt vmcnt(0)
	v_dot4c_i32_i8_e32 v20, v22, v19
	v_dot4c_i32_i8_e32 v21, v23, v19
	;; [unrolled: 1-line block ×4, first 2 shown]
	s_andn2_b64 exec, exec, s[8:9]
	s_cbranch_execnz .LBB69_25
; %bb.26:
	s_or_b64 exec, exec, s[8:9]
.LBB69_27:
	s_or_b64 exec, exec, s[6:7]
.LBB69_28:
	s_or_b64 exec, exec, s[10:11]
	s_cbranch_execz .LBB69_30
	s_branch .LBB69_41
.LBB69_29:
                                        ; implicit-def: $vgpr1
                                        ; implicit-def: $vgpr3
                                        ; implicit-def: $vgpr21
                                        ; implicit-def: $vgpr20
.LBB69_30:
	v_mov_b32_e32 v1, 0
	v_mov_b32_e32 v3, 0
	;; [unrolled: 1-line block ×4, first 2 shown]
	s_and_saveexec_b64 s[14:15], s[0:1]
	s_cbranch_execz .LBB69_40
; %bb.31:
	v_or_b32_e32 v1, 64, v0
	v_mov_b32_e32 v3, s22
	v_subrev_co_u32_e32 v1, vcc, s16, v1
	v_subb_co_u32_e32 v3, vcc, 0, v3, vcc
	v_add_co_u32_e32 v12, vcc, v1, v8
	v_addc_co_u32_e32 v13, vcc, v3, v9, vcc
	v_cmp_gt_i64_e32 vcc, v[12:13], v[10:11]
	v_cndmask_b32_e32 v1, v11, v13, vcc
	v_cndmask_b32_e32 v3, v10, v12, vcc
	v_mov_b32_e32 v10, s22
	v_sub_co_u32_e32 v11, vcc, s16, v0
	v_not_b32_e32 v8, v8
	v_subbrev_co_u32_e32 v10, vcc, 0, v10, vcc
	v_not_b32_e32 v9, v9
	v_add_co_u32_e32 v8, vcc, v11, v8
	v_addc_co_u32_e32 v9, vcc, v10, v9, vcc
	v_add_co_u32_e32 v10, vcc, v8, v3
	v_addc_co_u32_e32 v11, vcc, v9, v1, vcc
	v_lshrrev_b64 v[8:9], 6, v[10:11]
	v_add_co_u32_e32 v12, vcc, 1, v8
	v_addc_co_u32_e32 v9, vcc, 0, v9, vcc
	s_mov_b64 s[0:1], 0xbf
	v_cmp_lt_u64_e32 vcc, s[0:1], v[10:11]
	v_mov_b32_e32 v20, 0
	v_mov_b32_e32 v21, 0
	;; [unrolled: 1-line block ×4, first 2 shown]
	s_and_saveexec_b64 s[20:21], vcc
	s_cbranch_execz .LBB69_35
; %bb.32:
	v_lshlrev_b64 v[10:11], 2, v[6:7]
	v_mov_b32_e32 v1, s13
	v_add_co_u32_e32 v3, vcc, s12, v10
	v_addc_co_u32_e32 v1, vcc, v11, v1, vcc
	v_add_co_u32_e32 v10, vcc, 0x200, v3
	v_and_b32_e32 v8, -4, v12
	v_addc_co_u32_e32 v11, vcc, 0, v1, vcc
	s_mov_b64 s[22:23], 0
	v_mov_b32_e32 v1, 0
	v_mov_b32_e32 v13, s19
	s_mov_b32 s25, 0xc0c0400
	s_mov_b32 s26, 0x4000c0c
	;; [unrolled: 1-line block ×8, first 2 shown]
	s_movk_i32 s34, 0x1000
	s_movk_i32 s35, 0x100
	v_mov_b32_e32 v3, 0
	v_mov_b32_e32 v21, 0
	;; [unrolled: 1-line block ×3, first 2 shown]
.LBB69_33:                              ; =>This Inner Loop Header: Depth=1
	global_load_dword v18, v[10:11], off offset:-512
	global_load_dword v19, v[10:11], off offset:-256
	global_load_dword v34, v[10:11], off
	global_load_dword v35, v[10:11], off offset:256
	global_load_dwordx4 v[14:17], v[4:5], off
	global_load_dwordx4 v[22:25], v[4:5], off offset:1024
	global_load_dwordx4 v[26:29], v[4:5], off offset:2048
	;; [unrolled: 1-line block ×3, first 2 shown]
	v_add_co_u32_e32 v4, vcc, s34, v4
	v_addc_co_u32_e32 v5, vcc, 0, v5, vcc
	v_add_co_u32_e64 v8, s[0:1], -4, v8
	v_add_co_u32_e32 v6, vcc, s35, v6
	v_addc_co_u32_e64 v9, s[0:1], -1, v9, s[0:1]
	v_addc_co_u32_e32 v7, vcc, 0, v7, vcc
	v_cmp_eq_u64_e64 s[0:1], 0, v[8:9]
	v_add_co_u32_e32 v10, vcc, 0x400, v10
	s_or_b64 s[22:23], s[0:1], s[22:23]
	v_addc_co_u32_e32 v11, vcc, 0, v11, vcc
	s_waitcnt vmcnt(7)
	v_subrev_u32_e32 v18, s16, v18
	s_waitcnt vmcnt(6)
	v_subrev_u32_e32 v19, s16, v19
	;; [unrolled: 2-line block ×4, first 2 shown]
	v_lshlrev_b32_e32 v37, 2, v18
	v_lshlrev_b32_e32 v18, 2, v19
	;; [unrolled: 1-line block ×4, first 2 shown]
	v_ashrrev_i32_e32 v39, 31, v37
	v_add_co_u32_e64 v38, s[10:11], s18, v37
	v_ashrrev_i32_e32 v40, 31, v18
	v_add_co_u32_e64 v18, s[2:3], s18, v18
	;; [unrolled: 2-line block ×4, first 2 shown]
	v_addc_co_u32_e64 v39, s[10:11], v13, v39, s[10:11]
	v_addc_co_u32_e64 v19, s[2:3], v13, v40, s[2:3]
	;; [unrolled: 1-line block ×4, first 2 shown]
	global_load_dword v40, v[38:39], off
	global_load_dword v41, v[18:19], off
	;; [unrolled: 1-line block ×4, first 2 shown]
	s_waitcnt vmcnt(7)
	v_perm_b32 v18, v15, v14, s25
	v_perm_b32 v19, v17, v16, s26
	v_perm_b32 v34, v15, v14, s27
	v_perm_b32 v35, v17, v16, s28
	v_perm_b32 v36, v15, v14, s29
	v_perm_b32 v37, v17, v16, s30
	v_perm_b32 v14, v15, v14, s31
	v_perm_b32 v15, v17, v16, s33
	s_waitcnt vmcnt(6)
	v_perm_b32 v16, v23, v22, s25
	v_perm_b32 v17, v25, v24, s26
	v_perm_b32 v38, v23, v22, s27
	v_perm_b32 v39, v25, v24, s28
	v_perm_b32 v44, v23, v22, s29
	v_perm_b32 v45, v25, v24, s30
	v_perm_b32 v22, v23, v22, s31
	v_perm_b32 v23, v25, v24, s33
	s_waitcnt vmcnt(5)
	v_perm_b32 v24, v27, v26, s25
	v_perm_b32 v25, v29, v28, s26
	v_perm_b32 v46, v27, v26, s27
	v_perm_b32 v47, v29, v28, s28
	v_perm_b32 v48, v27, v26, s29
	v_perm_b32 v49, v29, v28, s30
	v_perm_b32 v26, v27, v26, s31
	v_perm_b32 v27, v29, v28, s33
	s_waitcnt vmcnt(4)
	v_perm_b32 v28, v31, v30, s25
	v_perm_b32 v29, v33, v32, s26
	v_perm_b32 v50, v31, v30, s27
	v_perm_b32 v51, v33, v32, s28
	v_perm_b32 v52, v31, v30, s29
	v_perm_b32 v53, v33, v32, s30
	v_perm_b32 v30, v31, v30, s31
	v_perm_b32 v31, v33, v32, s33
	v_or_b32_e32 v18, v19, v18
	v_or_b32_e32 v19, v35, v34
	;; [unrolled: 1-line block ×16, first 2 shown]
	s_waitcnt vmcnt(3)
	v_dot4c_i32_i8_e32 v20, v40, v18
	v_dot4c_i32_i8_e32 v21, v19, v40
	v_dot4c_i32_i8_e32 v3, v32, v40
	v_dot4c_i32_i8_e32 v1, v14, v40
	s_waitcnt vmcnt(2)
	v_dot4c_i32_i8_e32 v20, v41, v15
	v_dot4c_i32_i8_e32 v21, v16, v41
	v_dot4c_i32_i8_e32 v3, v17, v41
	v_dot4c_i32_i8_e32 v1, v22, v41
	;; [unrolled: 5-line block ×4, first 2 shown]
	s_andn2_b64 exec, exec, s[22:23]
	s_cbranch_execnz .LBB69_33
; %bb.34:
	s_or_b64 exec, exec, s[22:23]
.LBB69_35:
	s_or_b64 exec, exec, s[20:21]
	v_and_b32_e32 v8, 3, v12
	v_mov_b32_e32 v9, 0
	s_mov_b64 s[6:7], 0
	v_cmp_ne_u64_e32 vcc, 0, v[8:9]
	s_and_saveexec_b64 s[2:3], vcc
	s_cbranch_execz .LBB69_39
; %bb.36:
	v_lshlrev_b64 v[6:7], 2, v[6:7]
	v_mov_b32_e32 v10, s13
	v_add_co_u32_e32 v6, vcc, s12, v6
	v_addc_co_u32_e32 v7, vcc, v10, v7, vcc
	v_lshlrev_b32_e32 v8, 2, v8
	v_mov_b32_e32 v10, s19
	s_mov_b32 s8, 0xc0c0400
	s_mov_b32 s9, 0x4000c0c
	s_mov_b32 s10, 0xc0c0501
	s_mov_b32 s11, 0x5010c0c
	s_mov_b32 s12, 0xc0c0602
	s_mov_b32 s13, 0x6020c0c
	s_mov_b32 s19, 0xc0c0703
	s_mov_b32 s20, 0x7030c0c
	s_movk_i32 s21, 0x100
.LBB69_37:                              ; =>This Inner Loop Header: Depth=1
	global_load_dword v11, v[6:7], off
	global_load_dwordx4 v[12:15], v[4:5], off
	v_add_co_u32_e64 v8, s[0:1], -4, v8
	v_addc_co_u32_e64 v9, s[0:1], -1, v9, s[0:1]
	v_cmp_eq_u64_e64 s[0:1], 0, v[8:9]
	s_or_b64 s[6:7], s[0:1], s[6:7]
	s_waitcnt vmcnt(1)
	v_subrev_u32_e32 v11, s16, v11
	v_lshlrev_b32_e32 v11, 2, v11
	v_ashrrev_i32_e32 v17, 31, v11
	v_add_co_u32_e32 v16, vcc, s18, v11
	v_addc_co_u32_e32 v17, vcc, v10, v17, vcc
	global_load_dword v11, v[16:17], off
	v_add_co_u32_e32 v6, vcc, s21, v6
	v_addc_co_u32_e32 v7, vcc, 0, v7, vcc
	s_waitcnt vmcnt(1)
	v_perm_b32 v16, v13, v12, s8
	v_perm_b32 v17, v15, v14, s9
	;; [unrolled: 1-line block ×8, first 2 shown]
	v_add_co_u32_e32 v4, vcc, 0x400, v4
	v_or_b32_e32 v14, v17, v16
	v_or_b32_e32 v15, v19, v18
	;; [unrolled: 1-line block ×4, first 2 shown]
	v_addc_co_u32_e32 v5, vcc, 0, v5, vcc
	s_waitcnt vmcnt(0)
	v_dot4c_i32_i8_e32 v20, v14, v11
	v_dot4c_i32_i8_e32 v21, v15, v11
	;; [unrolled: 1-line block ×4, first 2 shown]
	s_andn2_b64 exec, exec, s[6:7]
	s_cbranch_execnz .LBB69_37
; %bb.38:
	s_or_b64 exec, exec, s[6:7]
.LBB69_39:
	s_or_b64 exec, exec, s[2:3]
.LBB69_40:
	s_or_b64 exec, exec, s[14:15]
.LBB69_41:
	v_mov_b32_dpp v4, v20 row_shr:1 row_mask:0xf bank_mask:0xf
	v_mov_b32_dpp v5, v21 row_shr:1 row_mask:0xf bank_mask:0xf
	v_mov_b32_dpp v8, v3 row_shr:1 row_mask:0xf bank_mask:0xf
	v_mov_b32_dpp v9, v1 row_shr:1 row_mask:0xf bank_mask:0xf
	v_add_u32_e32 v5, v5, v21
	v_add_u32_e32 v4, v4, v20
	v_add_u32_e32 v1, v9, v1
	v_add_u32_e32 v3, v8, v3
	v_mov_b32_dpp v6, v4 row_shr:2 row_mask:0xf bank_mask:0xf
	v_mov_b32_dpp v7, v5 row_shr:2 row_mask:0xf bank_mask:0xf
	v_mov_b32_dpp v8, v3 row_shr:2 row_mask:0xf bank_mask:0xf
	v_mov_b32_dpp v9, v1 row_shr:2 row_mask:0xf bank_mask:0xf
	v_add_u32_e32 v5, v5, v7
	v_add_u32_e32 v4, v4, v6
	v_add_u32_e32 v1, v1, v9
	v_add_u32_e32 v3, v3, v8
	;; [unrolled: 8-line block ×4, first 2 shown]
	v_mov_b32_dpp v7, v6 row_bcast:15 row_mask:0xa bank_mask:0xf
	v_mov_b32_dpp v4, v5 row_bcast:15 row_mask:0xa bank_mask:0xf
	;; [unrolled: 1-line block ×4, first 2 shown]
	v_add_u32_e32 v4, v5, v4
	v_add_u32_e32 v5, v6, v7
	;; [unrolled: 1-line block ×4, first 2 shown]
	v_mov_b32_dpp v6, v5 row_bcast:31 row_mask:0xc bank_mask:0xf
	v_mov_b32_dpp v7, v4 row_bcast:31 row_mask:0xc bank_mask:0xf
	;; [unrolled: 1-line block ×4, first 2 shown]
	v_cmp_eq_u32_e32 vcc, 63, v0
	s_and_b64 exec, exec, vcc
	s_cbranch_execz .LBB69_14
; %bb.42:
	s_load_dwordx2 s[0:1], s[4:5], 0x50
	v_add_u32_e32 v4, v4, v7
	v_add_u32_e32 v0, v5, v6
	;; [unrolled: 1-line block ×4, first 2 shown]
	s_cmp_eq_u32 s24, 0
	v_lshlrev_b32_e32 v8, 2, v2
	v_mul_lo_u32 v0, v0, s17
	v_mul_lo_u32 v6, v4, s17
	;; [unrolled: 1-line block ×4, first 2 shown]
	s_cbranch_scc1 .LBB69_44
; %bb.43:
	v_ashrrev_i32_e32 v9, 31, v8
	v_lshlrev_b64 v[10:11], 2, v[8:9]
	s_waitcnt lgkmcnt(0)
	v_mov_b32_e32 v1, s1
	v_add_co_u32_e32 v14, vcc, s0, v10
	v_addc_co_u32_e32 v15, vcc, v1, v11, vcc
	global_load_dwordx4 v[10:13], v[14:15], off
	s_waitcnt vmcnt(0)
	v_mad_u64_u32 v[16:17], s[2:3], v11, s24, v[6:7]
	v_mad_u64_u32 v[10:11], s[2:3], v10, s24, v[0:1]
	;; [unrolled: 1-line block ×4, first 2 shown]
	v_mov_b32_e32 v11, v16
	v_mov_b32_e32 v13, v18
	global_store_dwordx4 v[14:15], v[10:13], off
	s_cbranch_execnz .LBB69_14
	s_branch .LBB69_45
.LBB69_44:
.LBB69_45:
	v_ashrrev_i32_e32 v9, 31, v8
	v_lshlrev_b64 v[8:9], 2, v[8:9]
	s_waitcnt lgkmcnt(0)
	v_mov_b32_e32 v1, s1
	v_add_co_u32_e32 v8, vcc, s0, v8
	v_addc_co_u32_e32 v9, vcc, v1, v9, vcc
	v_mov_b32_e32 v1, v6
	v_mov_b32_e32 v3, v4
	global_store_dwordx4 v[8:9], v[0:3], off
	s_endpgm
	.section	.rodata,"a",@progbits
	.p2align	6, 0x0
	.amdhsa_kernel _ZN9rocsparseL18bsrxmvn_4x4_kernelILj128ELj64EiliaaiEEvT3_20rocsparse_direction_NS_24const_host_device_scalarIT1_EES1_PKS1_PKT2_SA_S7_PKT4_PKT5_S5_PT6_21rocsparse_index_base_b
		.amdhsa_group_segment_fixed_size 0
		.amdhsa_private_segment_fixed_size 0
		.amdhsa_kernarg_size 96
		.amdhsa_user_sgpr_count 6
		.amdhsa_user_sgpr_private_segment_buffer 1
		.amdhsa_user_sgpr_dispatch_ptr 0
		.amdhsa_user_sgpr_queue_ptr 0
		.amdhsa_user_sgpr_kernarg_segment_ptr 1
		.amdhsa_user_sgpr_dispatch_id 0
		.amdhsa_user_sgpr_flat_scratch_init 0
		.amdhsa_user_sgpr_kernarg_preload_length 0
		.amdhsa_user_sgpr_kernarg_preload_offset 0
		.amdhsa_user_sgpr_private_segment_size 0
		.amdhsa_uses_dynamic_stack 0
		.amdhsa_system_sgpr_private_segment_wavefront_offset 0
		.amdhsa_system_sgpr_workgroup_id_x 1
		.amdhsa_system_sgpr_workgroup_id_y 0
		.amdhsa_system_sgpr_workgroup_id_z 0
		.amdhsa_system_sgpr_workgroup_info 0
		.amdhsa_system_vgpr_workitem_id 0
		.amdhsa_next_free_vgpr 56
		.amdhsa_next_free_sgpr 36
		.amdhsa_accum_offset 56
		.amdhsa_reserve_vcc 1
		.amdhsa_reserve_flat_scratch 0
		.amdhsa_float_round_mode_32 0
		.amdhsa_float_round_mode_16_64 0
		.amdhsa_float_denorm_mode_32 3
		.amdhsa_float_denorm_mode_16_64 3
		.amdhsa_dx10_clamp 1
		.amdhsa_ieee_mode 1
		.amdhsa_fp16_overflow 0
		.amdhsa_tg_split 0
		.amdhsa_exception_fp_ieee_invalid_op 0
		.amdhsa_exception_fp_denorm_src 0
		.amdhsa_exception_fp_ieee_div_zero 0
		.amdhsa_exception_fp_ieee_overflow 0
		.amdhsa_exception_fp_ieee_underflow 0
		.amdhsa_exception_fp_ieee_inexact 0
		.amdhsa_exception_int_div_zero 0
	.end_amdhsa_kernel
	.section	.text._ZN9rocsparseL18bsrxmvn_4x4_kernelILj128ELj64EiliaaiEEvT3_20rocsparse_direction_NS_24const_host_device_scalarIT1_EES1_PKS1_PKT2_SA_S7_PKT4_PKT5_S5_PT6_21rocsparse_index_base_b,"axG",@progbits,_ZN9rocsparseL18bsrxmvn_4x4_kernelILj128ELj64EiliaaiEEvT3_20rocsparse_direction_NS_24const_host_device_scalarIT1_EES1_PKS1_PKT2_SA_S7_PKT4_PKT5_S5_PT6_21rocsparse_index_base_b,comdat
.Lfunc_end69:
	.size	_ZN9rocsparseL18bsrxmvn_4x4_kernelILj128ELj64EiliaaiEEvT3_20rocsparse_direction_NS_24const_host_device_scalarIT1_EES1_PKS1_PKT2_SA_S7_PKT4_PKT5_S5_PT6_21rocsparse_index_base_b, .Lfunc_end69-_ZN9rocsparseL18bsrxmvn_4x4_kernelILj128ELj64EiliaaiEEvT3_20rocsparse_direction_NS_24const_host_device_scalarIT1_EES1_PKS1_PKT2_SA_S7_PKT4_PKT5_S5_PT6_21rocsparse_index_base_b
                                        ; -- End function
	.section	.AMDGPU.csdata,"",@progbits
; Kernel info:
; codeLenInByte = 3412
; NumSgprs: 40
; NumVgprs: 56
; NumAgprs: 0
; TotalNumVgprs: 56
; ScratchSize: 0
; MemoryBound: 0
; FloatMode: 240
; IeeeMode: 1
; LDSByteSize: 0 bytes/workgroup (compile time only)
; SGPRBlocks: 4
; VGPRBlocks: 6
; NumSGPRsForWavesPerEU: 40
; NumVGPRsForWavesPerEU: 56
; AccumOffset: 56
; Occupancy: 8
; WaveLimiterHint : 1
; COMPUTE_PGM_RSRC2:SCRATCH_EN: 0
; COMPUTE_PGM_RSRC2:USER_SGPR: 6
; COMPUTE_PGM_RSRC2:TRAP_HANDLER: 0
; COMPUTE_PGM_RSRC2:TGID_X_EN: 1
; COMPUTE_PGM_RSRC2:TGID_Y_EN: 0
; COMPUTE_PGM_RSRC2:TGID_Z_EN: 0
; COMPUTE_PGM_RSRC2:TIDIG_COMP_CNT: 0
; COMPUTE_PGM_RSRC3_GFX90A:ACCUM_OFFSET: 13
; COMPUTE_PGM_RSRC3_GFX90A:TG_SPLIT: 0
	.section	.text._ZN9rocsparseL18bsrxmvn_4x4_kernelILj128ELj4EillaaiEEvT3_20rocsparse_direction_NS_24const_host_device_scalarIT1_EES1_PKS1_PKT2_SA_S7_PKT4_PKT5_S5_PT6_21rocsparse_index_base_b,"axG",@progbits,_ZN9rocsparseL18bsrxmvn_4x4_kernelILj128ELj4EillaaiEEvT3_20rocsparse_direction_NS_24const_host_device_scalarIT1_EES1_PKS1_PKT2_SA_S7_PKT4_PKT5_S5_PT6_21rocsparse_index_base_b,comdat
	.globl	_ZN9rocsparseL18bsrxmvn_4x4_kernelILj128ELj4EillaaiEEvT3_20rocsparse_direction_NS_24const_host_device_scalarIT1_EES1_PKS1_PKT2_SA_S7_PKT4_PKT5_S5_PT6_21rocsparse_index_base_b ; -- Begin function _ZN9rocsparseL18bsrxmvn_4x4_kernelILj128ELj4EillaaiEEvT3_20rocsparse_direction_NS_24const_host_device_scalarIT1_EES1_PKS1_PKT2_SA_S7_PKT4_PKT5_S5_PT6_21rocsparse_index_base_b
	.p2align	8
	.type	_ZN9rocsparseL18bsrxmvn_4x4_kernelILj128ELj4EillaaiEEvT3_20rocsparse_direction_NS_24const_host_device_scalarIT1_EES1_PKS1_PKT2_SA_S7_PKT4_PKT5_S5_PT6_21rocsparse_index_base_b,@function
_ZN9rocsparseL18bsrxmvn_4x4_kernelILj128ELj4EillaaiEEvT3_20rocsparse_direction_NS_24const_host_device_scalarIT1_EES1_PKS1_PKT2_SA_S7_PKT4_PKT5_S5_PT6_21rocsparse_index_base_b: ; @_ZN9rocsparseL18bsrxmvn_4x4_kernelILj128ELj4EillaaiEEvT3_20rocsparse_direction_NS_24const_host_device_scalarIT1_EES1_PKS1_PKT2_SA_S7_PKT4_PKT5_S5_PT6_21rocsparse_index_base_b
; %bb.0:
	s_load_dwordx2 s[16:17], s[4:5], 0x60
	s_load_dwordx4 s[0:3], s[4:5], 0x10
	s_mov_b64 s[12:13], -1
	s_waitcnt lgkmcnt(0)
	s_bitcmp1_b32 s17, 0
	s_cselect_b64 s[8:9], -1, 0
	s_xor_b64 s[10:11], s[8:9], -1
	s_and_b64 vcc, exec, s[10:11]
                                        ; implicit-def: $sgpr17
	s_cbranch_vccnz .LBB70_4
; %bb.1:
	s_load_dwordx2 s[8:9], s[4:5], 0x50
	s_andn2_b64 vcc, exec, s[12:13]
	s_cbranch_vccz .LBB70_5
.LBB70_2:
	s_and_b64 vcc, exec, s[10:11]
	s_cbranch_vccz .LBB70_6
.LBB70_3:
	s_waitcnt lgkmcnt(0)
	s_load_dword s20, s[8:9], 0x0
	s_cbranch_execz .LBB70_7
	s_branch .LBB70_8
.LBB70_4:
	s_load_dword s17, s[0:1], 0x0
	s_load_dwordx2 s[8:9], s[4:5], 0x50
	s_cbranch_execnz .LBB70_2
.LBB70_5:
	s_waitcnt lgkmcnt(0)
	s_mov_b32 s17, s0
	s_and_b64 vcc, exec, s[10:11]
	s_cbranch_vccnz .LBB70_3
.LBB70_6:
                                        ; implicit-def: $sgpr20
.LBB70_7:
	s_waitcnt lgkmcnt(0)
	s_mov_b32 s20, s8
.LBB70_8:
	s_waitcnt lgkmcnt(0)
	s_cmp_lg_u32 s17, 0
	s_cselect_b64 s[0:1], -1, 0
	s_cmp_lg_u32 s20, 1
	s_cselect_b64 s[8:9], -1, 0
	s_or_b64 s[0:1], s[0:1], s[8:9]
	s_andn2_b64 vcc, exec, s[0:1]
	s_cbranch_vccnz .LBB70_14
; %bb.9:
	s_load_dwordx2 s[8:9], s[4:5], 0x20
	v_lshrrev_b32_e32 v1, 2, v0
	v_lshl_or_b32 v2, s6, 5, v1
	v_mov_b32_e32 v3, 0
	s_mov_b64 s[0:1], 0
	s_waitcnt lgkmcnt(0)
	s_cmp_lg_u64 s[8:9], 0
	s_cbranch_scc0 .LBB70_15
; %bb.10:
	v_cmp_gt_i64_e32 vcc, s[2:3], v[2:3]
                                        ; implicit-def: $vgpr4_vgpr5
	s_and_saveexec_b64 s[2:3], vcc
	s_xor_b64 s[2:3], exec, s[2:3]
                                        ; implicit-def: $sgpr6_sgpr7
	s_cbranch_execz .LBB70_12
; %bb.11:
	v_lshlrev_b64 v[4:5], 3, v[2:3]
	v_mov_b32_e32 v1, s9
	v_add_co_u32_e32 v4, vcc, s8, v4
	v_addc_co_u32_e32 v5, vcc, v1, v5, vcc
	global_load_dwordx2 v[4:5], v[4:5], off
	s_mov_b64 s[0:1], exec
	s_mov_b32 s7, 0
	s_waitcnt vmcnt(0)
	v_subrev_co_u32_e32 v4, vcc, s16, v4
	v_subbrev_co_u32_e32 v5, vcc, 0, v5, vcc
.LBB70_12:
	s_or_b64 exec, exec, s[2:3]
.LBB70_13:
	s_and_saveexec_b64 s[2:3], s[0:1]
	s_cbranch_execnz .LBB70_19
.LBB70_14:
	s_endpgm
.LBB70_15:
                                        ; implicit-def: $vgpr4_vgpr5
                                        ; implicit-def: $sgpr6_sgpr7
	s_cbranch_execz .LBB70_13
; %bb.16:
	s_load_dwordx2 s[2:3], s[4:5], 0x0
                                        ; implicit-def: $vgpr4_vgpr5
	s_waitcnt lgkmcnt(0)
	v_cmp_gt_i64_e32 vcc, s[2:3], v[2:3]
	s_and_saveexec_b64 s[2:3], vcc
                                        ; implicit-def: $sgpr6_sgpr7
; %bb.17:
	s_mov_b32 s7, 0
	s_or_b64 s[0:1], s[0:1], exec
	v_pk_mov_b32 v[4:5], v[2:3], v[2:3] op_sel:[0,1]
; %bb.18:
	s_or_b64 exec, exec, s[2:3]
	s_and_saveexec_b64 s[2:3], s[0:1]
	s_cbranch_execz .LBB70_14
.LBB70_19:
	s_load_dwordx8 s[8:15], s[4:5], 0x28
	v_lshlrev_b64 v[2:3], 3, v[4:5]
	v_mov_b32_e32 v11, s7
	v_and_b32_e32 v0, 3, v0
	s_waitcnt lgkmcnt(0)
	v_mov_b32_e32 v1, s9
	v_add_co_u32_e32 v6, vcc, s8, v2
	v_addc_co_u32_e32 v7, vcc, v1, v3, vcc
	v_add_co_u32_e32 v1, vcc, 8, v6
	global_load_dwordx2 v[8:9], v[6:7], off
	v_addc_co_u32_e32 v6, vcc, 0, v7, vcc
	v_mov_b32_e32 v7, s11
	v_add_co_u32_e32 v2, vcc, s10, v2
	s_cmp_eq_u64 s[10:11], 0
	v_addc_co_u32_e32 v3, vcc, v7, v3, vcc
	s_cselect_b64 vcc, -1, 0
	v_cndmask_b32_e32 v3, v3, v6, vcc
	v_cndmask_b32_e32 v2, v2, v1, vcc
	global_load_dwordx2 v[2:3], v[2:3], off
	s_load_dwordx2 s[8:9], s[4:5], 0x48
	s_load_dword s0, s[4:5], 0x8
	v_mov_b32_e32 v12, s15
	v_mov_b32_e32 v1, 0
	s_waitcnt lgkmcnt(0)
	s_cmp_eq_u32 s0, 1
	s_waitcnt vmcnt(1)
	v_subrev_co_u32_e32 v6, vcc, s16, v8
	v_subb_co_u32_e32 v7, vcc, v9, v11, vcc
	v_add_co_u32_e32 v6, vcc, v6, v0
	v_addc_co_u32_e32 v7, vcc, 0, v7, vcc
	s_waitcnt vmcnt(0)
	v_subrev_co_u32_e32 v10, vcc, s16, v2
	v_subb_co_u32_e32 v11, vcc, v3, v11, vcc
	v_lshlrev_b64 v[2:3], 4, v[6:7]
	v_add_co_u32_e32 v2, vcc, s14, v2
	v_addc_co_u32_e32 v3, vcc, v12, v3, vcc
	v_cmp_lt_i64_e64 s[0:1], v[6:7], v[10:11]
	s_cbranch_scc1 .LBB70_31
; %bb.20:
	v_mov_b32_e32 v20, 0
	v_mov_b32_e32 v21, 0
	;; [unrolled: 1-line block ×3, first 2 shown]
	s_and_saveexec_b64 s[10:11], s[0:1]
	s_cbranch_execz .LBB70_30
; %bb.21:
	v_or_b32_e32 v1, 4, v0
	v_mov_b32_e32 v12, s7
	v_subrev_co_u32_e32 v1, vcc, s16, v1
	v_subb_co_u32_e32 v13, vcc, 0, v12, vcc
	v_add_co_u32_e32 v12, vcc, v1, v8
	v_addc_co_u32_e32 v13, vcc, v13, v9, vcc
	v_cmp_gt_i64_e32 vcc, v[12:13], v[10:11]
	v_cndmask_b32_e32 v1, v11, v13, vcc
	v_cndmask_b32_e32 v12, v10, v12, vcc
	v_mov_b32_e32 v15, s7
	v_sub_co_u32_e32 v16, vcc, s16, v0
	v_not_b32_e32 v14, v8
	v_subbrev_co_u32_e32 v15, vcc, 0, v15, vcc
	v_not_b32_e32 v13, v9
	v_add_co_u32_e32 v14, vcc, v16, v14
	v_addc_co_u32_e32 v13, vcc, v15, v13, vcc
	v_add_co_u32_e32 v12, vcc, v14, v12
	v_addc_co_u32_e32 v13, vcc, v13, v1, vcc
	v_lshrrev_b64 v[14:15], 2, v[12:13]
	v_add_co_u32_e32 v23, vcc, 1, v14
	v_addc_co_u32_e32 v17, vcc, 0, v15, vcc
	v_cmp_lt_u64_e32 vcc, 11, v[12:13]
	v_mov_b32_e32 v22, 0
	v_mov_b32_e32 v21, 0
	v_mov_b32_e32 v20, 0
	v_mov_b32_e32 v1, 0
	v_pk_mov_b32 v[14:15], v[6:7], v[6:7] op_sel:[0,1]
	v_pk_mov_b32 v[12:13], v[2:3], v[2:3] op_sel:[0,1]
	s_and_saveexec_b64 s[14:15], vcc
	s_cbranch_execz .LBB70_25
; %bb.22:
	v_lshlrev_b64 v[12:13], 3, v[6:7]
	v_mov_b32_e32 v1, s13
	v_add_co_u32_e32 v12, vcc, s12, v12
	v_addc_co_u32_e32 v1, vcc, v13, v1, vcc
	v_add_co_u32_e32 v18, vcc, 64, v12
	v_and_b32_e32 v16, -4, v23
	v_addc_co_u32_e32 v19, vcc, 0, v1, vcc
	s_mov_b64 s[18:19], 0
	v_mov_b32_e32 v1, 0
	v_mov_b32_e32 v24, s7
	;; [unrolled: 1-line block ×3, first 2 shown]
	s_movk_i32 s6, 0x100
	v_pk_mov_b32 v[12:13], v[2:3], v[2:3] op_sel:[0,1]
	v_pk_mov_b32 v[14:15], v[6:7], v[6:7] op_sel:[0,1]
	v_mov_b32_e32 v20, 0
	v_mov_b32_e32 v21, 0
	;; [unrolled: 1-line block ×3, first 2 shown]
.LBB70_23:                              ; =>This Inner Loop Header: Depth=1
	global_load_dwordx2 v[42:43], v[18:19], off offset:-64
	global_load_dwordx2 v[44:45], v[18:19], off offset:-32
	global_load_dwordx2 v[46:47], v[18:19], off
	global_load_dwordx2 v[48:49], v[18:19], off offset:32
	global_load_dwordx4 v[26:29], v[12:13], off
	global_load_dwordx4 v[30:33], v[12:13], off offset:64
	global_load_dwordx4 v[34:37], v[12:13], off offset:128
	;; [unrolled: 1-line block ×3, first 2 shown]
	v_add_co_u32_e64 v14, s[2:3], 16, v14
	v_addc_co_u32_e64 v15, s[2:3], 0, v15, s[2:3]
	v_add_co_u32_e64 v16, s[2:3], -4, v16
	v_addc_co_u32_e64 v17, s[2:3], -1, v17, s[2:3]
	v_cmp_eq_u64_e64 s[2:3], 0, v[16:17]
	s_or_b64 s[18:19], s[2:3], s[18:19]
	s_waitcnt vmcnt(7)
	v_subrev_co_u32_e32 v42, vcc, s16, v42
	v_subb_co_u32_e32 v43, vcc, v43, v24, vcc
	s_waitcnt vmcnt(6)
	v_subrev_co_u32_e32 v44, vcc, s16, v44
	v_subb_co_u32_e32 v45, vcc, v45, v24, vcc
	;; [unrolled: 3-line block ×4, first 2 shown]
	v_lshlrev_b64 v[42:43], 2, v[42:43]
	v_add_co_u32_e32 v42, vcc, s8, v42
	v_lshlrev_b64 v[44:45], 2, v[44:45]
	v_addc_co_u32_e32 v43, vcc, v25, v43, vcc
	v_add_co_u32_e32 v44, vcc, s8, v44
	v_lshlrev_b64 v[46:47], 2, v[46:47]
	v_addc_co_u32_e32 v45, vcc, v25, v45, vcc
	;; [unrolled: 3-line block ×3, first 2 shown]
	v_add_co_u32_e32 v48, vcc, s8, v48
	v_addc_co_u32_e32 v49, vcc, v25, v49, vcc
	global_load_dword v50, v[42:43], off
	global_load_dword v51, v[44:45], off
	;; [unrolled: 1-line block ×4, first 2 shown]
	s_waitcnt vmcnt(7)
	v_lshrrev_b16_e32 v42, 8, v26
	s_waitcnt vmcnt(6)
	v_lshrrev_b16_e32 v43, 8, v30
	;; [unrolled: 2-line block ×4, first 2 shown]
	v_bfe_i32 v42, v42, 0, 8
	v_bfe_i32 v43, v43, 0, 8
	;; [unrolled: 1-line block ×3, first 2 shown]
	v_add_co_u32_e32 v12, vcc, s6, v12
	v_bfe_i32 v45, v45, 0, 8
	v_addc_co_u32_e32 v13, vcc, 0, v13, vcc
	v_add_co_u32_e32 v18, vcc, 0x80, v18
	v_addc_co_u32_e32 v19, vcc, 0, v19, vcc
	s_waitcnt vmcnt(3)
	v_lshrrev_b16_e32 v46, 8, v50
	v_dot4c_i32_i8_e32 v21, v50, v27
	s_waitcnt vmcnt(2)
	v_lshrrev_b16_e32 v27, 8, v51
	s_waitcnt vmcnt(1)
	v_lshrrev_b16_e32 v49, 8, v52
	v_mul_i32_i24_sdwa v47, sext(v50), sext(v26) dst_sel:DWORD dst_unused:UNUSED_PAD src0_sel:BYTE_0 src1_sel:BYTE_0
	v_mul_i32_i24_sdwa v48, sext(v50), sext(v26) dst_sel:DWORD dst_unused:UNUSED_PAD src0_sel:BYTE_2 src1_sel:BYTE_2
	v_mul_i32_i24_sdwa v26, sext(v50), sext(v26) dst_sel:DWORD dst_unused:UNUSED_PAD src0_sel:BYTE_3 src1_sel:BYTE_3
	v_dot4c_i32_i8_e32 v20, v50, v28
	v_dot4c_i32_i8_e32 v1, v50, v29
	v_mul_i32_i24_sdwa v28, sext(v51), sext(v30) dst_sel:DWORD dst_unused:UNUSED_PAD src0_sel:BYTE_0 src1_sel:BYTE_0
	v_mul_i32_i24_sdwa v29, sext(v51), sext(v30) dst_sel:DWORD dst_unused:UNUSED_PAD src0_sel:BYTE_2 src1_sel:BYTE_2
	v_mul_i32_i24_sdwa v30, sext(v51), sext(v30) dst_sel:DWORD dst_unused:UNUSED_PAD src0_sel:BYTE_3 src1_sel:BYTE_3
	v_mul_i32_i24_sdwa v50, sext(v52), sext(v34) dst_sel:DWORD dst_unused:UNUSED_PAD src0_sel:BYTE_0 src1_sel:BYTE_0
	v_mul_i32_i24_sdwa v54, sext(v52), sext(v34) dst_sel:DWORD dst_unused:UNUSED_PAD src0_sel:BYTE_2 src1_sel:BYTE_2
	v_mul_i32_i24_sdwa v34, sext(v52), sext(v34) dst_sel:DWORD dst_unused:UNUSED_PAD src0_sel:BYTE_3 src1_sel:BYTE_3
	s_waitcnt vmcnt(0)
	v_lshrrev_b16_e32 v55, 8, v53
	v_bfe_i32 v46, v46, 0, 8
	v_bfe_i32 v27, v27, 0, 8
	v_dot4c_i32_i8_e32 v21, v51, v31
	v_bfe_i32 v31, v49, 0, 8
	v_mul_i32_i24_sdwa v56, sext(v53), sext(v38) dst_sel:DWORD dst_unused:UNUSED_PAD src0_sel:BYTE_0 src1_sel:BYTE_0
	v_mul_i32_i24_sdwa v57, sext(v53), sext(v38) dst_sel:DWORD dst_unused:UNUSED_PAD src0_sel:BYTE_2 src1_sel:BYTE_2
	v_mul_i32_i24_sdwa v38, sext(v53), sext(v38) dst_sel:DWORD dst_unused:UNUSED_PAD src0_sel:BYTE_3 src1_sel:BYTE_3
	v_dot4c_i32_i8_e32 v20, v51, v32
	v_bfe_i32 v32, v55, 0, 8
	v_mad_i32_i24 v26, v46, v42, v26
	v_mad_i32_i24 v27, v27, v43, v30
	;; [unrolled: 1-line block ×3, first 2 shown]
	v_dot4c_i32_i8_e32 v1, v51, v33
	v_mad_i32_i24 v31, v32, v45, v38
	v_add3_u32 v26, v47, v48, v26
	v_add3_u32 v27, v28, v29, v27
	;; [unrolled: 1-line block ×3, first 2 shown]
	v_dot4c_i32_i8_e32 v21, v52, v35
	v_dot4c_i32_i8_e32 v20, v52, v36
	;; [unrolled: 1-line block ×3, first 2 shown]
	v_add3_u32 v29, v56, v57, v31
	v_add3_u32 v26, v26, v27, v28
	v_dot4c_i32_i8_e32 v21, v53, v39
	v_dot4c_i32_i8_e32 v20, v53, v40
	;; [unrolled: 1-line block ×3, first 2 shown]
	v_add3_u32 v22, v26, v29, v22
	s_andn2_b64 exec, exec, s[18:19]
	s_cbranch_execnz .LBB70_23
; %bb.24:
	s_or_b64 exec, exec, s[18:19]
.LBB70_25:
	s_or_b64 exec, exec, s[14:15]
	v_and_b32_e32 v16, 3, v23
	v_mov_b32_e32 v17, 0
	s_mov_b64 s[14:15], 0
	v_cmp_ne_u64_e32 vcc, 0, v[16:17]
	s_and_saveexec_b64 s[2:3], vcc
	s_cbranch_execz .LBB70_29
; %bb.26:
	v_lshlrev_b64 v[14:15], 3, v[14:15]
	v_mov_b32_e32 v18, s13
	v_add_co_u32_e32 v14, vcc, s12, v14
	v_addc_co_u32_e32 v15, vcc, v18, v15, vcc
	v_lshlrev_b32_e32 v16, 1, v16
	v_mov_b32_e32 v18, s7
	v_mov_b32_e32 v19, s9
.LBB70_27:                              ; =>This Inner Loop Header: Depth=1
	global_load_dwordx2 v[28:29], v[14:15], off
	global_load_dwordx4 v[24:27], v[12:13], off
	s_waitcnt vmcnt(1)
	v_subrev_co_u32_e32 v28, vcc, s16, v28
	v_subb_co_u32_e32 v29, vcc, v29, v18, vcc
	v_lshlrev_b64 v[28:29], 2, v[28:29]
	v_add_co_u32_e32 v28, vcc, s8, v28
	v_addc_co_u32_e32 v29, vcc, v19, v29, vcc
	global_load_dword v23, v[28:29], off
	v_add_co_u32_e32 v12, vcc, 64, v12
	v_addc_co_u32_e32 v13, vcc, 0, v13, vcc
	v_add_co_u32_e32 v14, vcc, 32, v14
	v_addc_co_u32_e32 v15, vcc, 0, v15, vcc
	v_add_co_u32_e32 v16, vcc, -2, v16
	s_waitcnt vmcnt(1)
	v_lshrrev_b16_e32 v28, 8, v24
	v_addc_co_u32_e32 v17, vcc, -1, v17, vcc
	v_bfe_i32 v29, v24, 0, 8
	v_bfe_i32 v28, v28, 0, 8
	v_cmp_eq_u64_e32 vcc, 0, v[16:17]
	s_or_b64 s[14:15], vcc, s[14:15]
	s_waitcnt vmcnt(0)
	v_lshrrev_b16_e32 v30, 8, v23
	v_bfe_i32 v31, v23, 0, 8
	v_mul_i32_i24_sdwa v32, sext(v23), sext(v24) dst_sel:DWORD dst_unused:UNUSED_PAD src0_sel:BYTE_2 src1_sel:BYTE_2
	v_mul_i32_i24_sdwa v24, sext(v23), sext(v24) dst_sel:DWORD dst_unused:UNUSED_PAD src0_sel:BYTE_3 src1_sel:BYTE_3
	v_dot4c_i32_i8_e32 v21, v23, v25
	v_dot4c_i32_i8_e32 v20, v23, v26
	;; [unrolled: 1-line block ×3, first 2 shown]
	v_bfe_i32 v23, v30, 0, 8
	v_mad_i32_i24 v25, v31, v29, v32
	v_mad_i32_i24 v23, v23, v28, v24
	v_add3_u32 v22, v25, v23, v22
	s_andn2_b64 exec, exec, s[14:15]
	s_cbranch_execnz .LBB70_27
; %bb.28:
	s_or_b64 exec, exec, s[14:15]
.LBB70_29:
	s_or_b64 exec, exec, s[2:3]
.LBB70_30:
	s_or_b64 exec, exec, s[10:11]
	s_cbranch_execz .LBB70_32
	s_branch .LBB70_43
.LBB70_31:
                                        ; implicit-def: $vgpr1
                                        ; implicit-def: $vgpr20
                                        ; implicit-def: $vgpr21
                                        ; implicit-def: $vgpr22
.LBB70_32:
	v_mov_b32_e32 v1, 0
	v_mov_b32_e32 v20, 0
	;; [unrolled: 1-line block ×4, first 2 shown]
	s_and_saveexec_b64 s[10:11], s[0:1]
	s_cbranch_execz .LBB70_42
; %bb.33:
	v_or_b32_e32 v1, 4, v0
	v_mov_b32_e32 v12, s7
	v_subrev_co_u32_e32 v1, vcc, s16, v1
	v_subb_co_u32_e32 v13, vcc, 0, v12, vcc
	v_add_co_u32_e32 v12, vcc, v1, v8
	v_addc_co_u32_e32 v13, vcc, v13, v9, vcc
	v_cmp_gt_i64_e32 vcc, v[12:13], v[10:11]
	v_cndmask_b32_e32 v1, v11, v13, vcc
	v_cndmask_b32_e32 v10, v10, v12, vcc
	v_mov_b32_e32 v11, s7
	v_sub_co_u32_e32 v12, vcc, s16, v0
	v_not_b32_e32 v8, v8
	v_subbrev_co_u32_e32 v11, vcc, 0, v11, vcc
	v_not_b32_e32 v9, v9
	v_add_co_u32_e32 v8, vcc, v12, v8
	v_addc_co_u32_e32 v9, vcc, v11, v9, vcc
	v_add_co_u32_e32 v10, vcc, v8, v10
	v_addc_co_u32_e32 v11, vcc, v9, v1, vcc
	v_lshrrev_b64 v[8:9], 2, v[10:11]
	v_add_co_u32_e32 v12, vcc, 1, v8
	v_addc_co_u32_e32 v9, vcc, 0, v9, vcc
	v_cmp_lt_u64_e32 vcc, 11, v[10:11]
	v_mov_b32_e32 v22, 0
	v_mov_b32_e32 v21, 0
	;; [unrolled: 1-line block ×4, first 2 shown]
	s_and_saveexec_b64 s[14:15], vcc
	s_cbranch_execz .LBB70_37
; %bb.34:
	v_lshlrev_b64 v[10:11], 3, v[6:7]
	v_mov_b32_e32 v1, s13
	v_add_co_u32_e32 v10, vcc, s12, v10
	v_addc_co_u32_e32 v1, vcc, v11, v1, vcc
	v_add_co_u32_e32 v10, vcc, 64, v10
	v_and_b32_e32 v8, -4, v12
	v_addc_co_u32_e32 v11, vcc, 0, v1, vcc
	s_mov_b64 s[18:19], 0
	v_mov_b32_e32 v1, 0
	v_mov_b32_e32 v13, s7
	;; [unrolled: 1-line block ×3, first 2 shown]
	s_mov_b32 s6, 0xc0c0400
	s_mov_b32 s21, 0x4000c0c
	;; [unrolled: 1-line block ×8, first 2 shown]
	s_movk_i32 s28, 0x100
	v_mov_b32_e32 v20, 0
	v_mov_b32_e32 v21, 0
	;; [unrolled: 1-line block ×3, first 2 shown]
.LBB70_35:                              ; =>This Inner Loop Header: Depth=1
	global_load_dwordx2 v[36:37], v[10:11], off offset:-64
	global_load_dwordx2 v[38:39], v[10:11], off offset:-32
	global_load_dwordx2 v[40:41], v[10:11], off
	global_load_dwordx2 v[42:43], v[10:11], off offset:32
	global_load_dwordx4 v[16:19], v[2:3], off
	global_load_dwordx4 v[24:27], v[2:3], off offset:64
	global_load_dwordx4 v[28:31], v[2:3], off offset:128
	;; [unrolled: 1-line block ×3, first 2 shown]
	v_add_co_u32_e64 v6, s[0:1], 16, v6
	v_addc_co_u32_e64 v7, s[0:1], 0, v7, s[0:1]
	v_add_co_u32_e32 v2, vcc, s28, v2
	v_add_co_u32_e64 v8, s[0:1], -4, v8
	v_addc_co_u32_e64 v9, s[0:1], -1, v9, s[0:1]
	v_addc_co_u32_e32 v3, vcc, 0, v3, vcc
	v_add_co_u32_e32 v10, vcc, 0x80, v10
	v_cmp_eq_u64_e64 s[0:1], 0, v[8:9]
	v_addc_co_u32_e32 v11, vcc, 0, v11, vcc
	s_or_b64 s[18:19], s[0:1], s[18:19]
	s_waitcnt vmcnt(7)
	v_subrev_co_u32_e64 v36, s[2:3], s16, v36
	v_subb_co_u32_e64 v37, s[2:3], v37, v13, s[2:3]
	s_waitcnt vmcnt(6)
	v_subrev_co_u32_e64 v38, s[2:3], s16, v38
	v_subb_co_u32_e64 v39, s[2:3], v39, v13, s[2:3]
	;; [unrolled: 3-line block ×4, first 2 shown]
	v_lshlrev_b64 v[36:37], 2, v[36:37]
	v_add_co_u32_e64 v36, s[2:3], s8, v36
	v_lshlrev_b64 v[38:39], 2, v[38:39]
	v_addc_co_u32_e64 v37, s[2:3], v14, v37, s[2:3]
	v_add_co_u32_e64 v38, s[2:3], s8, v38
	v_lshlrev_b64 v[40:41], 2, v[40:41]
	v_addc_co_u32_e64 v39, s[2:3], v14, v39, s[2:3]
	;; [unrolled: 3-line block ×3, first 2 shown]
	v_add_co_u32_e64 v42, s[2:3], s8, v42
	v_addc_co_u32_e64 v43, s[2:3], v14, v43, s[2:3]
	global_load_dword v15, v[36:37], off
	global_load_dword v23, v[38:39], off
	;; [unrolled: 1-line block ×4, first 2 shown]
	s_waitcnt vmcnt(7)
	v_perm_b32 v36, v17, v16, s6
	v_perm_b32 v37, v19, v18, s21
	v_perm_b32 v38, v17, v16, s22
	v_perm_b32 v39, v19, v18, s23
	v_perm_b32 v40, v17, v16, s24
	v_perm_b32 v41, v19, v18, s25
	v_perm_b32 v16, v17, v16, s26
	v_perm_b32 v17, v19, v18, s27
	s_waitcnt vmcnt(6)
	v_perm_b32 v18, v25, v24, s6
	v_perm_b32 v19, v27, v26, s21
	v_perm_b32 v42, v25, v24, s22
	v_perm_b32 v43, v27, v26, s23
	v_perm_b32 v46, v25, v24, s24
	v_perm_b32 v47, v27, v26, s25
	v_perm_b32 v24, v25, v24, s26
	v_perm_b32 v25, v27, v26, s27
	;; [unrolled: 9-line block ×4, first 2 shown]
	v_or_b32_e32 v34, v37, v36
	v_or_b32_e32 v35, v39, v38
	;; [unrolled: 1-line block ×16, first 2 shown]
	s_waitcnt vmcnt(3)
	v_dot4c_i32_i8_e32 v22, v15, v34
	v_dot4c_i32_i8_e32 v21, v35, v15
	v_dot4c_i32_i8_e32 v20, v36, v15
	v_dot4c_i32_i8_e32 v1, v16, v15
	s_waitcnt vmcnt(2)
	v_dot4c_i32_i8_e32 v22, v23, v17
	v_dot4c_i32_i8_e32 v21, v18, v23
	v_dot4c_i32_i8_e32 v20, v19, v23
	v_dot4c_i32_i8_e32 v1, v24, v23
	;; [unrolled: 5-line block ×4, first 2 shown]
	s_andn2_b64 exec, exec, s[18:19]
	s_cbranch_execnz .LBB70_35
; %bb.36:
	s_or_b64 exec, exec, s[18:19]
.LBB70_37:
	s_or_b64 exec, exec, s[14:15]
	v_and_b32_e32 v8, 3, v12
	v_mov_b32_e32 v9, 0
	s_mov_b64 s[2:3], 0
	v_cmp_ne_u64_e32 vcc, 0, v[8:9]
	s_and_saveexec_b64 s[0:1], vcc
	s_cbranch_execz .LBB70_41
; %bb.38:
	v_lshlrev_b64 v[6:7], 3, v[6:7]
	v_mov_b32_e32 v10, s13
	v_add_co_u32_e32 v6, vcc, s12, v6
	v_addc_co_u32_e32 v7, vcc, v10, v7, vcc
	v_lshlrev_b32_e32 v8, 1, v8
	v_mov_b32_e32 v10, s7
	v_mov_b32_e32 v11, s9
	s_mov_b32 s6, 0xc0c0400
	s_mov_b32 s7, 0x4000c0c
	;; [unrolled: 1-line block ×8, first 2 shown]
.LBB70_39:                              ; =>This Inner Loop Header: Depth=1
	global_load_dwordx2 v[16:17], v[6:7], off
	global_load_dwordx4 v[12:15], v[2:3], off
	s_waitcnt vmcnt(1)
	v_subrev_co_u32_e32 v16, vcc, s16, v16
	v_subb_co_u32_e32 v17, vcc, v17, v10, vcc
	v_lshlrev_b64 v[16:17], 2, v[16:17]
	v_add_co_u32_e32 v16, vcc, s8, v16
	v_addc_co_u32_e32 v17, vcc, v11, v17, vcc
	global_load_dword v16, v[16:17], off
	v_add_co_u32_e32 v2, vcc, 64, v2
	v_addc_co_u32_e32 v3, vcc, 0, v3, vcc
	v_add_co_u32_e32 v6, vcc, 32, v6
	v_addc_co_u32_e32 v7, vcc, 0, v7, vcc
	v_add_co_u32_e32 v8, vcc, -2, v8
	v_addc_co_u32_e32 v9, vcc, -1, v9, vcc
	s_waitcnt vmcnt(1)
	v_perm_b32 v17, v13, v12, s6
	v_perm_b32 v18, v15, v14, s7
	;; [unrolled: 1-line block ×8, first 2 shown]
	v_cmp_eq_u64_e32 vcc, 0, v[8:9]
	v_or_b32_e32 v14, v18, v17
	v_or_b32_e32 v15, v23, v19
	;; [unrolled: 1-line block ×4, first 2 shown]
	s_or_b64 s[2:3], vcc, s[2:3]
	s_waitcnt vmcnt(0)
	v_dot4c_i32_i8_e32 v22, v16, v14
	v_dot4c_i32_i8_e32 v21, v15, v16
	;; [unrolled: 1-line block ×4, first 2 shown]
	s_andn2_b64 exec, exec, s[2:3]
	s_cbranch_execnz .LBB70_39
; %bb.40:
	s_or_b64 exec, exec, s[2:3]
.LBB70_41:
	s_or_b64 exec, exec, s[0:1]
.LBB70_42:
	s_or_b64 exec, exec, s[10:11]
.LBB70_43:
	v_mov_b32_dpp v2, v22 row_shr:1 row_mask:0xf bank_mask:0xf
	v_mov_b32_dpp v6, v21 row_shr:1 row_mask:0xf bank_mask:0xf
	;; [unrolled: 1-line block ×4, first 2 shown]
	v_add_u32_e32 v2, v2, v22
	v_add_u32_e32 v6, v6, v21
	;; [unrolled: 1-line block ×4, first 2 shown]
	v_mov_b32_dpp v3, v2 row_shr:2 row_mask:0xf bank_mask:0xf
	v_mov_b32_dpp v7, v6 row_shr:2 row_mask:0xf bank_mask:0xf
	;; [unrolled: 1-line block ×4, first 2 shown]
	v_cmp_eq_u32_e32 vcc, 3, v0
	s_and_b64 exec, exec, vcc
	s_cbranch_execz .LBB70_14
; %bb.44:
	s_load_dwordx2 s[0:1], s[4:5], 0x58
	v_add_u32_e32 v0, v2, v3
	v_add_u32_e32 v2, v6, v7
	;; [unrolled: 1-line block ×4, first 2 shown]
	s_cmp_eq_u32 s20, 0
	v_mul_lo_u32 v0, v0, s17
	v_mul_lo_u32 v8, v2, s17
	;; [unrolled: 1-line block ×4, first 2 shown]
	v_lshlrev_b64 v[4:5], 4, v[4:5]
	s_cbranch_scc1 .LBB70_46
; %bb.45:
	s_waitcnt lgkmcnt(0)
	v_mov_b32_e32 v1, s1
	v_add_co_u32_e32 v18, vcc, s0, v4
	v_addc_co_u32_e32 v19, vcc, v1, v5, vcc
	global_load_dwordx4 v[10:13], v[18:19], off
	s_waitcnt vmcnt(0)
	v_mad_u64_u32 v[14:15], s[2:3], v10, s20, v[0:1]
	v_mad_u64_u32 v[10:11], s[2:3], v11, s20, v[8:9]
	;; [unrolled: 1-line block ×4, first 2 shown]
	v_mov_b32_e32 v15, v10
	v_mov_b32_e32 v17, v12
	global_store_dwordx4 v[18:19], v[14:17], off
	s_cbranch_execnz .LBB70_14
	s_branch .LBB70_47
.LBB70_46:
.LBB70_47:
	s_waitcnt lgkmcnt(0)
	v_mov_b32_e32 v1, s1
	v_add_co_u32_e32 v4, vcc, s0, v4
	v_addc_co_u32_e32 v5, vcc, v1, v5, vcc
	v_mov_b32_e32 v1, v8
	v_mov_b32_e32 v3, v6
	global_store_dwordx4 v[4:5], v[0:3], off
	s_endpgm
	.section	.rodata,"a",@progbits
	.p2align	6, 0x0
	.amdhsa_kernel _ZN9rocsparseL18bsrxmvn_4x4_kernelILj128ELj4EillaaiEEvT3_20rocsparse_direction_NS_24const_host_device_scalarIT1_EES1_PKS1_PKT2_SA_S7_PKT4_PKT5_S5_PT6_21rocsparse_index_base_b
		.amdhsa_group_segment_fixed_size 0
		.amdhsa_private_segment_fixed_size 0
		.amdhsa_kernarg_size 104
		.amdhsa_user_sgpr_count 6
		.amdhsa_user_sgpr_private_segment_buffer 1
		.amdhsa_user_sgpr_dispatch_ptr 0
		.amdhsa_user_sgpr_queue_ptr 0
		.amdhsa_user_sgpr_kernarg_segment_ptr 1
		.amdhsa_user_sgpr_dispatch_id 0
		.amdhsa_user_sgpr_flat_scratch_init 0
		.amdhsa_user_sgpr_kernarg_preload_length 0
		.amdhsa_user_sgpr_kernarg_preload_offset 0
		.amdhsa_user_sgpr_private_segment_size 0
		.amdhsa_uses_dynamic_stack 0
		.amdhsa_system_sgpr_private_segment_wavefront_offset 0
		.amdhsa_system_sgpr_workgroup_id_x 1
		.amdhsa_system_sgpr_workgroup_id_y 0
		.amdhsa_system_sgpr_workgroup_id_z 0
		.amdhsa_system_sgpr_workgroup_info 0
		.amdhsa_system_vgpr_workitem_id 0
		.amdhsa_next_free_vgpr 58
		.amdhsa_next_free_sgpr 29
		.amdhsa_accum_offset 60
		.amdhsa_reserve_vcc 1
		.amdhsa_reserve_flat_scratch 0
		.amdhsa_float_round_mode_32 0
		.amdhsa_float_round_mode_16_64 0
		.amdhsa_float_denorm_mode_32 3
		.amdhsa_float_denorm_mode_16_64 3
		.amdhsa_dx10_clamp 1
		.amdhsa_ieee_mode 1
		.amdhsa_fp16_overflow 0
		.amdhsa_tg_split 0
		.amdhsa_exception_fp_ieee_invalid_op 0
		.amdhsa_exception_fp_denorm_src 0
		.amdhsa_exception_fp_ieee_div_zero 0
		.amdhsa_exception_fp_ieee_overflow 0
		.amdhsa_exception_fp_ieee_underflow 0
		.amdhsa_exception_fp_ieee_inexact 0
		.amdhsa_exception_int_div_zero 0
	.end_amdhsa_kernel
	.section	.text._ZN9rocsparseL18bsrxmvn_4x4_kernelILj128ELj4EillaaiEEvT3_20rocsparse_direction_NS_24const_host_device_scalarIT1_EES1_PKS1_PKT2_SA_S7_PKT4_PKT5_S5_PT6_21rocsparse_index_base_b,"axG",@progbits,_ZN9rocsparseL18bsrxmvn_4x4_kernelILj128ELj4EillaaiEEvT3_20rocsparse_direction_NS_24const_host_device_scalarIT1_EES1_PKS1_PKT2_SA_S7_PKT4_PKT5_S5_PT6_21rocsparse_index_base_b,comdat
.Lfunc_end70:
	.size	_ZN9rocsparseL18bsrxmvn_4x4_kernelILj128ELj4EillaaiEEvT3_20rocsparse_direction_NS_24const_host_device_scalarIT1_EES1_PKS1_PKT2_SA_S7_PKT4_PKT5_S5_PT6_21rocsparse_index_base_b, .Lfunc_end70-_ZN9rocsparseL18bsrxmvn_4x4_kernelILj128ELj4EillaaiEEvT3_20rocsparse_direction_NS_24const_host_device_scalarIT1_EES1_PKS1_PKT2_SA_S7_PKT4_PKT5_S5_PT6_21rocsparse_index_base_b
                                        ; -- End function
	.section	.AMDGPU.csdata,"",@progbits
; Kernel info:
; codeLenInByte = 3308
; NumSgprs: 33
; NumVgprs: 58
; NumAgprs: 0
; TotalNumVgprs: 58
; ScratchSize: 0
; MemoryBound: 0
; FloatMode: 240
; IeeeMode: 1
; LDSByteSize: 0 bytes/workgroup (compile time only)
; SGPRBlocks: 4
; VGPRBlocks: 7
; NumSGPRsForWavesPerEU: 33
; NumVGPRsForWavesPerEU: 58
; AccumOffset: 60
; Occupancy: 8
; WaveLimiterHint : 1
; COMPUTE_PGM_RSRC2:SCRATCH_EN: 0
; COMPUTE_PGM_RSRC2:USER_SGPR: 6
; COMPUTE_PGM_RSRC2:TRAP_HANDLER: 0
; COMPUTE_PGM_RSRC2:TGID_X_EN: 1
; COMPUTE_PGM_RSRC2:TGID_Y_EN: 0
; COMPUTE_PGM_RSRC2:TGID_Z_EN: 0
; COMPUTE_PGM_RSRC2:TIDIG_COMP_CNT: 0
; COMPUTE_PGM_RSRC3_GFX90A:ACCUM_OFFSET: 14
; COMPUTE_PGM_RSRC3_GFX90A:TG_SPLIT: 0
	.section	.text._ZN9rocsparseL18bsrxmvn_4x4_kernelILj128ELj8EillaaiEEvT3_20rocsparse_direction_NS_24const_host_device_scalarIT1_EES1_PKS1_PKT2_SA_S7_PKT4_PKT5_S5_PT6_21rocsparse_index_base_b,"axG",@progbits,_ZN9rocsparseL18bsrxmvn_4x4_kernelILj128ELj8EillaaiEEvT3_20rocsparse_direction_NS_24const_host_device_scalarIT1_EES1_PKS1_PKT2_SA_S7_PKT4_PKT5_S5_PT6_21rocsparse_index_base_b,comdat
	.globl	_ZN9rocsparseL18bsrxmvn_4x4_kernelILj128ELj8EillaaiEEvT3_20rocsparse_direction_NS_24const_host_device_scalarIT1_EES1_PKS1_PKT2_SA_S7_PKT4_PKT5_S5_PT6_21rocsparse_index_base_b ; -- Begin function _ZN9rocsparseL18bsrxmvn_4x4_kernelILj128ELj8EillaaiEEvT3_20rocsparse_direction_NS_24const_host_device_scalarIT1_EES1_PKS1_PKT2_SA_S7_PKT4_PKT5_S5_PT6_21rocsparse_index_base_b
	.p2align	8
	.type	_ZN9rocsparseL18bsrxmvn_4x4_kernelILj128ELj8EillaaiEEvT3_20rocsparse_direction_NS_24const_host_device_scalarIT1_EES1_PKS1_PKT2_SA_S7_PKT4_PKT5_S5_PT6_21rocsparse_index_base_b,@function
_ZN9rocsparseL18bsrxmvn_4x4_kernelILj128ELj8EillaaiEEvT3_20rocsparse_direction_NS_24const_host_device_scalarIT1_EES1_PKS1_PKT2_SA_S7_PKT4_PKT5_S5_PT6_21rocsparse_index_base_b: ; @_ZN9rocsparseL18bsrxmvn_4x4_kernelILj128ELj8EillaaiEEvT3_20rocsparse_direction_NS_24const_host_device_scalarIT1_EES1_PKS1_PKT2_SA_S7_PKT4_PKT5_S5_PT6_21rocsparse_index_base_b
; %bb.0:
	s_load_dwordx2 s[16:17], s[4:5], 0x60
	s_load_dwordx4 s[0:3], s[4:5], 0x10
	s_mov_b64 s[12:13], -1
	s_waitcnt lgkmcnt(0)
	s_bitcmp1_b32 s17, 0
	s_cselect_b64 s[8:9], -1, 0
	s_xor_b64 s[10:11], s[8:9], -1
	s_and_b64 vcc, exec, s[10:11]
                                        ; implicit-def: $sgpr17
	s_cbranch_vccnz .LBB71_4
; %bb.1:
	s_load_dwordx2 s[8:9], s[4:5], 0x50
	s_andn2_b64 vcc, exec, s[12:13]
	s_cbranch_vccz .LBB71_5
.LBB71_2:
	s_and_b64 vcc, exec, s[10:11]
	s_cbranch_vccz .LBB71_6
.LBB71_3:
	s_waitcnt lgkmcnt(0)
	s_load_dword s20, s[8:9], 0x0
	s_cbranch_execz .LBB71_7
	s_branch .LBB71_8
.LBB71_4:
	s_load_dword s17, s[0:1], 0x0
	s_load_dwordx2 s[8:9], s[4:5], 0x50
	s_cbranch_execnz .LBB71_2
.LBB71_5:
	s_waitcnt lgkmcnt(0)
	s_mov_b32 s17, s0
	s_and_b64 vcc, exec, s[10:11]
	s_cbranch_vccnz .LBB71_3
.LBB71_6:
                                        ; implicit-def: $sgpr20
.LBB71_7:
	s_waitcnt lgkmcnt(0)
	s_mov_b32 s20, s8
.LBB71_8:
	s_waitcnt lgkmcnt(0)
	s_cmp_lg_u32 s17, 0
	s_cselect_b64 s[0:1], -1, 0
	s_cmp_lg_u32 s20, 1
	s_cselect_b64 s[8:9], -1, 0
	s_or_b64 s[0:1], s[0:1], s[8:9]
	s_andn2_b64 vcc, exec, s[0:1]
	s_cbranch_vccnz .LBB71_14
; %bb.9:
	s_load_dwordx2 s[8:9], s[4:5], 0x20
	v_lshrrev_b32_e32 v1, 3, v0
	v_lshl_or_b32 v2, s6, 4, v1
	v_mov_b32_e32 v3, 0
	s_mov_b64 s[0:1], 0
	s_waitcnt lgkmcnt(0)
	s_cmp_lg_u64 s[8:9], 0
	s_cbranch_scc0 .LBB71_15
; %bb.10:
	v_cmp_gt_i64_e32 vcc, s[2:3], v[2:3]
                                        ; implicit-def: $vgpr4_vgpr5
	s_and_saveexec_b64 s[2:3], vcc
	s_xor_b64 s[2:3], exec, s[2:3]
                                        ; implicit-def: $sgpr6_sgpr7
	s_cbranch_execz .LBB71_12
; %bb.11:
	v_lshlrev_b64 v[4:5], 3, v[2:3]
	v_mov_b32_e32 v1, s9
	v_add_co_u32_e32 v4, vcc, s8, v4
	v_addc_co_u32_e32 v5, vcc, v1, v5, vcc
	global_load_dwordx2 v[4:5], v[4:5], off
	s_mov_b64 s[0:1], exec
	s_mov_b32 s7, 0
	s_waitcnt vmcnt(0)
	v_subrev_co_u32_e32 v4, vcc, s16, v4
	v_subbrev_co_u32_e32 v5, vcc, 0, v5, vcc
.LBB71_12:
	s_or_b64 exec, exec, s[2:3]
.LBB71_13:
	s_and_saveexec_b64 s[2:3], s[0:1]
	s_cbranch_execnz .LBB71_19
.LBB71_14:
	s_endpgm
.LBB71_15:
                                        ; implicit-def: $vgpr4_vgpr5
                                        ; implicit-def: $sgpr6_sgpr7
	s_cbranch_execz .LBB71_13
; %bb.16:
	s_load_dwordx2 s[2:3], s[4:5], 0x0
                                        ; implicit-def: $vgpr4_vgpr5
	s_waitcnt lgkmcnt(0)
	v_cmp_gt_i64_e32 vcc, s[2:3], v[2:3]
	s_and_saveexec_b64 s[2:3], vcc
                                        ; implicit-def: $sgpr6_sgpr7
; %bb.17:
	s_mov_b32 s7, 0
	s_or_b64 s[0:1], s[0:1], exec
	v_pk_mov_b32 v[4:5], v[2:3], v[2:3] op_sel:[0,1]
; %bb.18:
	s_or_b64 exec, exec, s[2:3]
	s_and_saveexec_b64 s[2:3], s[0:1]
	s_cbranch_execz .LBB71_14
.LBB71_19:
	s_load_dwordx8 s[8:15], s[4:5], 0x28
	v_lshlrev_b64 v[2:3], 3, v[4:5]
	v_mov_b32_e32 v11, s7
	v_and_b32_e32 v0, 7, v0
	s_waitcnt lgkmcnt(0)
	v_mov_b32_e32 v1, s9
	v_add_co_u32_e32 v6, vcc, s8, v2
	v_addc_co_u32_e32 v7, vcc, v1, v3, vcc
	v_add_co_u32_e32 v1, vcc, 8, v6
	global_load_dwordx2 v[8:9], v[6:7], off
	v_addc_co_u32_e32 v6, vcc, 0, v7, vcc
	v_mov_b32_e32 v7, s11
	v_add_co_u32_e32 v2, vcc, s10, v2
	s_cmp_eq_u64 s[10:11], 0
	v_addc_co_u32_e32 v3, vcc, v7, v3, vcc
	s_cselect_b64 vcc, -1, 0
	v_cndmask_b32_e32 v3, v3, v6, vcc
	v_cndmask_b32_e32 v2, v2, v1, vcc
	global_load_dwordx2 v[2:3], v[2:3], off
	s_load_dwordx2 s[8:9], s[4:5], 0x48
	s_load_dword s0, s[4:5], 0x8
	v_mov_b32_e32 v12, s15
	v_mov_b32_e32 v1, 0
	s_waitcnt lgkmcnt(0)
	s_cmp_eq_u32 s0, 1
	s_waitcnt vmcnt(1)
	v_subrev_co_u32_e32 v6, vcc, s16, v8
	v_subb_co_u32_e32 v7, vcc, v9, v11, vcc
	v_add_co_u32_e32 v6, vcc, v6, v0
	v_addc_co_u32_e32 v7, vcc, 0, v7, vcc
	s_waitcnt vmcnt(0)
	v_subrev_co_u32_e32 v10, vcc, s16, v2
	v_subb_co_u32_e32 v11, vcc, v3, v11, vcc
	v_lshlrev_b64 v[2:3], 4, v[6:7]
	v_add_co_u32_e32 v2, vcc, s14, v2
	v_addc_co_u32_e32 v3, vcc, v12, v3, vcc
	v_cmp_lt_i64_e64 s[0:1], v[6:7], v[10:11]
	s_cbranch_scc1 .LBB71_31
; %bb.20:
	v_mov_b32_e32 v20, 0
	v_mov_b32_e32 v21, 0
	;; [unrolled: 1-line block ×3, first 2 shown]
	s_and_saveexec_b64 s[10:11], s[0:1]
	s_cbranch_execz .LBB71_30
; %bb.21:
	v_or_b32_e32 v1, 8, v0
	v_mov_b32_e32 v12, s7
	v_subrev_co_u32_e32 v1, vcc, s16, v1
	v_subb_co_u32_e32 v13, vcc, 0, v12, vcc
	v_add_co_u32_e32 v12, vcc, v1, v8
	v_addc_co_u32_e32 v13, vcc, v13, v9, vcc
	v_cmp_gt_i64_e32 vcc, v[12:13], v[10:11]
	v_cndmask_b32_e32 v1, v11, v13, vcc
	v_cndmask_b32_e32 v12, v10, v12, vcc
	v_mov_b32_e32 v15, s7
	v_sub_co_u32_e32 v16, vcc, s16, v0
	v_not_b32_e32 v14, v8
	v_subbrev_co_u32_e32 v15, vcc, 0, v15, vcc
	v_not_b32_e32 v13, v9
	v_add_co_u32_e32 v14, vcc, v16, v14
	v_addc_co_u32_e32 v13, vcc, v15, v13, vcc
	v_add_co_u32_e32 v12, vcc, v14, v12
	v_addc_co_u32_e32 v13, vcc, v13, v1, vcc
	v_lshrrev_b64 v[14:15], 3, v[12:13]
	v_add_co_u32_e32 v23, vcc, 1, v14
	v_addc_co_u32_e32 v17, vcc, 0, v15, vcc
	v_cmp_lt_u64_e32 vcc, 23, v[12:13]
	v_mov_b32_e32 v22, 0
	v_mov_b32_e32 v21, 0
	;; [unrolled: 1-line block ×4, first 2 shown]
	v_pk_mov_b32 v[14:15], v[6:7], v[6:7] op_sel:[0,1]
	v_pk_mov_b32 v[12:13], v[2:3], v[2:3] op_sel:[0,1]
	s_and_saveexec_b64 s[14:15], vcc
	s_cbranch_execz .LBB71_25
; %bb.22:
	v_lshlrev_b64 v[12:13], 3, v[6:7]
	v_mov_b32_e32 v1, s13
	v_add_co_u32_e32 v12, vcc, s12, v12
	v_addc_co_u32_e32 v1, vcc, v13, v1, vcc
	v_add_co_u32_e32 v18, vcc, 0x80, v12
	v_and_b32_e32 v16, -4, v23
	v_addc_co_u32_e32 v19, vcc, 0, v1, vcc
	s_mov_b64 s[18:19], 0
	v_mov_b32_e32 v1, 0
	v_mov_b32_e32 v24, s7
	;; [unrolled: 1-line block ×3, first 2 shown]
	s_movk_i32 s6, 0x200
	v_pk_mov_b32 v[12:13], v[2:3], v[2:3] op_sel:[0,1]
	v_pk_mov_b32 v[14:15], v[6:7], v[6:7] op_sel:[0,1]
	v_mov_b32_e32 v20, 0
	v_mov_b32_e32 v21, 0
	;; [unrolled: 1-line block ×3, first 2 shown]
.LBB71_23:                              ; =>This Inner Loop Header: Depth=1
	global_load_dwordx2 v[42:43], v[18:19], off offset:-128
	global_load_dwordx2 v[44:45], v[18:19], off offset:-64
	global_load_dwordx2 v[46:47], v[18:19], off
	global_load_dwordx2 v[48:49], v[18:19], off offset:64
	global_load_dwordx4 v[26:29], v[12:13], off
	global_load_dwordx4 v[30:33], v[12:13], off offset:128
	global_load_dwordx4 v[34:37], v[12:13], off offset:256
	;; [unrolled: 1-line block ×3, first 2 shown]
	v_add_co_u32_e64 v14, s[2:3], 32, v14
	v_addc_co_u32_e64 v15, s[2:3], 0, v15, s[2:3]
	v_add_co_u32_e64 v16, s[2:3], -4, v16
	v_addc_co_u32_e64 v17, s[2:3], -1, v17, s[2:3]
	v_cmp_eq_u64_e64 s[2:3], 0, v[16:17]
	s_or_b64 s[18:19], s[2:3], s[18:19]
	s_waitcnt vmcnt(7)
	v_subrev_co_u32_e32 v42, vcc, s16, v42
	v_subb_co_u32_e32 v43, vcc, v43, v24, vcc
	s_waitcnt vmcnt(6)
	v_subrev_co_u32_e32 v44, vcc, s16, v44
	v_subb_co_u32_e32 v45, vcc, v45, v24, vcc
	;; [unrolled: 3-line block ×4, first 2 shown]
	v_lshlrev_b64 v[42:43], 2, v[42:43]
	v_add_co_u32_e32 v42, vcc, s8, v42
	v_lshlrev_b64 v[44:45], 2, v[44:45]
	v_addc_co_u32_e32 v43, vcc, v25, v43, vcc
	v_add_co_u32_e32 v44, vcc, s8, v44
	v_lshlrev_b64 v[46:47], 2, v[46:47]
	v_addc_co_u32_e32 v45, vcc, v25, v45, vcc
	;; [unrolled: 3-line block ×3, first 2 shown]
	v_add_co_u32_e32 v48, vcc, s8, v48
	v_addc_co_u32_e32 v49, vcc, v25, v49, vcc
	global_load_dword v50, v[42:43], off
	global_load_dword v51, v[44:45], off
	global_load_dword v52, v[46:47], off
	global_load_dword v53, v[48:49], off
	s_waitcnt vmcnt(7)
	v_lshrrev_b16_e32 v42, 8, v26
	s_waitcnt vmcnt(6)
	v_lshrrev_b16_e32 v43, 8, v30
	;; [unrolled: 2-line block ×4, first 2 shown]
	v_bfe_i32 v42, v42, 0, 8
	v_bfe_i32 v43, v43, 0, 8
	;; [unrolled: 1-line block ×3, first 2 shown]
	v_add_co_u32_e32 v12, vcc, s6, v12
	v_bfe_i32 v45, v45, 0, 8
	v_addc_co_u32_e32 v13, vcc, 0, v13, vcc
	v_add_co_u32_e32 v18, vcc, 0x100, v18
	v_addc_co_u32_e32 v19, vcc, 0, v19, vcc
	s_waitcnt vmcnt(3)
	v_lshrrev_b16_e32 v46, 8, v50
	v_dot4c_i32_i8_e32 v21, v50, v27
	s_waitcnt vmcnt(2)
	v_lshrrev_b16_e32 v27, 8, v51
	s_waitcnt vmcnt(1)
	v_lshrrev_b16_e32 v49, 8, v52
	v_mul_i32_i24_sdwa v47, sext(v50), sext(v26) dst_sel:DWORD dst_unused:UNUSED_PAD src0_sel:BYTE_0 src1_sel:BYTE_0
	v_mul_i32_i24_sdwa v48, sext(v50), sext(v26) dst_sel:DWORD dst_unused:UNUSED_PAD src0_sel:BYTE_2 src1_sel:BYTE_2
	v_mul_i32_i24_sdwa v26, sext(v50), sext(v26) dst_sel:DWORD dst_unused:UNUSED_PAD src0_sel:BYTE_3 src1_sel:BYTE_3
	v_dot4c_i32_i8_e32 v20, v50, v28
	v_dot4c_i32_i8_e32 v1, v50, v29
	v_mul_i32_i24_sdwa v28, sext(v51), sext(v30) dst_sel:DWORD dst_unused:UNUSED_PAD src0_sel:BYTE_0 src1_sel:BYTE_0
	v_mul_i32_i24_sdwa v29, sext(v51), sext(v30) dst_sel:DWORD dst_unused:UNUSED_PAD src0_sel:BYTE_2 src1_sel:BYTE_2
	v_mul_i32_i24_sdwa v30, sext(v51), sext(v30) dst_sel:DWORD dst_unused:UNUSED_PAD src0_sel:BYTE_3 src1_sel:BYTE_3
	v_mul_i32_i24_sdwa v50, sext(v52), sext(v34) dst_sel:DWORD dst_unused:UNUSED_PAD src0_sel:BYTE_0 src1_sel:BYTE_0
	v_mul_i32_i24_sdwa v54, sext(v52), sext(v34) dst_sel:DWORD dst_unused:UNUSED_PAD src0_sel:BYTE_2 src1_sel:BYTE_2
	v_mul_i32_i24_sdwa v34, sext(v52), sext(v34) dst_sel:DWORD dst_unused:UNUSED_PAD src0_sel:BYTE_3 src1_sel:BYTE_3
	s_waitcnt vmcnt(0)
	v_lshrrev_b16_e32 v55, 8, v53
	v_bfe_i32 v46, v46, 0, 8
	v_bfe_i32 v27, v27, 0, 8
	v_dot4c_i32_i8_e32 v21, v51, v31
	v_bfe_i32 v31, v49, 0, 8
	v_mul_i32_i24_sdwa v56, sext(v53), sext(v38) dst_sel:DWORD dst_unused:UNUSED_PAD src0_sel:BYTE_0 src1_sel:BYTE_0
	v_mul_i32_i24_sdwa v57, sext(v53), sext(v38) dst_sel:DWORD dst_unused:UNUSED_PAD src0_sel:BYTE_2 src1_sel:BYTE_2
	v_mul_i32_i24_sdwa v38, sext(v53), sext(v38) dst_sel:DWORD dst_unused:UNUSED_PAD src0_sel:BYTE_3 src1_sel:BYTE_3
	v_dot4c_i32_i8_e32 v20, v51, v32
	v_bfe_i32 v32, v55, 0, 8
	v_mad_i32_i24 v26, v46, v42, v26
	v_mad_i32_i24 v27, v27, v43, v30
	v_mad_i32_i24 v30, v31, v44, v34
	v_dot4c_i32_i8_e32 v1, v51, v33
	v_mad_i32_i24 v31, v32, v45, v38
	v_add3_u32 v26, v47, v48, v26
	v_add3_u32 v27, v28, v29, v27
	;; [unrolled: 1-line block ×3, first 2 shown]
	v_dot4c_i32_i8_e32 v21, v52, v35
	v_dot4c_i32_i8_e32 v20, v52, v36
	v_dot4c_i32_i8_e32 v1, v52, v37
	v_add3_u32 v29, v56, v57, v31
	v_add3_u32 v26, v26, v27, v28
	v_dot4c_i32_i8_e32 v21, v53, v39
	v_dot4c_i32_i8_e32 v20, v53, v40
	;; [unrolled: 1-line block ×3, first 2 shown]
	v_add3_u32 v22, v26, v29, v22
	s_andn2_b64 exec, exec, s[18:19]
	s_cbranch_execnz .LBB71_23
; %bb.24:
	s_or_b64 exec, exec, s[18:19]
.LBB71_25:
	s_or_b64 exec, exec, s[14:15]
	v_and_b32_e32 v16, 3, v23
	v_mov_b32_e32 v17, 0
	s_mov_b64 s[18:19], 0
	v_cmp_ne_u64_e32 vcc, 0, v[16:17]
	s_and_saveexec_b64 s[14:15], vcc
	s_cbranch_execz .LBB71_29
; %bb.26:
	v_lshlrev_b64 v[14:15], 3, v[14:15]
	v_mov_b32_e32 v18, s13
	v_add_co_u32_e32 v14, vcc, s12, v14
	v_addc_co_u32_e32 v15, vcc, v18, v15, vcc
	v_lshlrev_b32_e32 v16, 1, v16
	v_mov_b32_e32 v18, s7
	v_mov_b32_e32 v19, s9
	s_movk_i32 s6, 0x80
.LBB71_27:                              ; =>This Inner Loop Header: Depth=1
	global_load_dwordx2 v[28:29], v[14:15], off
	global_load_dwordx4 v[24:27], v[12:13], off
	v_add_co_u32_e64 v14, s[2:3], 64, v14
	v_addc_co_u32_e64 v15, s[2:3], 0, v15, s[2:3]
	v_add_co_u32_e64 v16, s[2:3], -2, v16
	v_addc_co_u32_e64 v17, s[2:3], -1, v17, s[2:3]
	s_waitcnt vmcnt(1)
	v_subrev_co_u32_e32 v28, vcc, s16, v28
	v_subb_co_u32_e32 v29, vcc, v29, v18, vcc
	v_lshlrev_b64 v[28:29], 2, v[28:29]
	v_add_co_u32_e32 v28, vcc, s8, v28
	v_addc_co_u32_e32 v29, vcc, v19, v29, vcc
	global_load_dword v23, v[28:29], off
	v_add_co_u32_e32 v12, vcc, s6, v12
	s_waitcnt vmcnt(1)
	v_lshrrev_b16_e32 v28, 8, v24
	v_addc_co_u32_e32 v13, vcc, 0, v13, vcc
	v_bfe_i32 v29, v24, 0, 8
	v_bfe_i32 v28, v28, 0, 8
	v_cmp_eq_u64_e32 vcc, 0, v[16:17]
	s_or_b64 s[18:19], vcc, s[18:19]
	s_waitcnt vmcnt(0)
	v_lshrrev_b16_e32 v30, 8, v23
	v_bfe_i32 v31, v23, 0, 8
	v_mul_i32_i24_sdwa v32, sext(v23), sext(v24) dst_sel:DWORD dst_unused:UNUSED_PAD src0_sel:BYTE_2 src1_sel:BYTE_2
	v_mul_i32_i24_sdwa v24, sext(v23), sext(v24) dst_sel:DWORD dst_unused:UNUSED_PAD src0_sel:BYTE_3 src1_sel:BYTE_3
	v_dot4c_i32_i8_e32 v21, v23, v25
	v_dot4c_i32_i8_e32 v20, v23, v26
	;; [unrolled: 1-line block ×3, first 2 shown]
	v_bfe_i32 v23, v30, 0, 8
	v_mad_i32_i24 v25, v31, v29, v32
	v_mad_i32_i24 v23, v23, v28, v24
	v_add3_u32 v22, v25, v23, v22
	s_andn2_b64 exec, exec, s[18:19]
	s_cbranch_execnz .LBB71_27
; %bb.28:
	s_or_b64 exec, exec, s[18:19]
.LBB71_29:
	s_or_b64 exec, exec, s[14:15]
.LBB71_30:
	s_or_b64 exec, exec, s[10:11]
	s_cbranch_execz .LBB71_32
	s_branch .LBB71_43
.LBB71_31:
                                        ; implicit-def: $vgpr1
                                        ; implicit-def: $vgpr20
                                        ; implicit-def: $vgpr21
                                        ; implicit-def: $vgpr22
.LBB71_32:
	v_mov_b32_e32 v1, 0
	v_mov_b32_e32 v20, 0
	;; [unrolled: 1-line block ×4, first 2 shown]
	s_and_saveexec_b64 s[10:11], s[0:1]
	s_cbranch_execz .LBB71_42
; %bb.33:
	v_or_b32_e32 v1, 8, v0
	v_mov_b32_e32 v12, s7
	v_subrev_co_u32_e32 v1, vcc, s16, v1
	v_subb_co_u32_e32 v13, vcc, 0, v12, vcc
	v_add_co_u32_e32 v12, vcc, v1, v8
	v_addc_co_u32_e32 v13, vcc, v13, v9, vcc
	v_cmp_gt_i64_e32 vcc, v[12:13], v[10:11]
	v_cndmask_b32_e32 v1, v11, v13, vcc
	v_cndmask_b32_e32 v10, v10, v12, vcc
	v_mov_b32_e32 v11, s7
	v_sub_co_u32_e32 v12, vcc, s16, v0
	v_not_b32_e32 v8, v8
	v_subbrev_co_u32_e32 v11, vcc, 0, v11, vcc
	v_not_b32_e32 v9, v9
	v_add_co_u32_e32 v8, vcc, v12, v8
	v_addc_co_u32_e32 v9, vcc, v11, v9, vcc
	v_add_co_u32_e32 v10, vcc, v8, v10
	v_addc_co_u32_e32 v11, vcc, v9, v1, vcc
	v_lshrrev_b64 v[8:9], 3, v[10:11]
	v_add_co_u32_e32 v12, vcc, 1, v8
	v_addc_co_u32_e32 v9, vcc, 0, v9, vcc
	v_cmp_lt_u64_e32 vcc, 23, v[10:11]
	v_mov_b32_e32 v22, 0
	v_mov_b32_e32 v21, 0
	;; [unrolled: 1-line block ×4, first 2 shown]
	s_and_saveexec_b64 s[14:15], vcc
	s_cbranch_execz .LBB71_37
; %bb.34:
	v_lshlrev_b64 v[10:11], 3, v[6:7]
	v_mov_b32_e32 v1, s13
	v_add_co_u32_e32 v10, vcc, s12, v10
	v_addc_co_u32_e32 v1, vcc, v11, v1, vcc
	v_add_co_u32_e32 v10, vcc, 0x80, v10
	v_and_b32_e32 v8, -4, v12
	v_addc_co_u32_e32 v11, vcc, 0, v1, vcc
	s_mov_b64 s[18:19], 0
	v_mov_b32_e32 v1, 0
	v_mov_b32_e32 v13, s7
	;; [unrolled: 1-line block ×3, first 2 shown]
	s_mov_b32 s6, 0xc0c0400
	s_mov_b32 s21, 0x4000c0c
	;; [unrolled: 1-line block ×8, first 2 shown]
	s_movk_i32 s28, 0x200
	v_mov_b32_e32 v20, 0
	v_mov_b32_e32 v21, 0
	;; [unrolled: 1-line block ×3, first 2 shown]
.LBB71_35:                              ; =>This Inner Loop Header: Depth=1
	global_load_dwordx2 v[36:37], v[10:11], off offset:-128
	global_load_dwordx2 v[38:39], v[10:11], off offset:-64
	global_load_dwordx2 v[40:41], v[10:11], off
	global_load_dwordx2 v[42:43], v[10:11], off offset:64
	global_load_dwordx4 v[16:19], v[2:3], off
	global_load_dwordx4 v[24:27], v[2:3], off offset:128
	global_load_dwordx4 v[28:31], v[2:3], off offset:256
	;; [unrolled: 1-line block ×3, first 2 shown]
	v_add_co_u32_e64 v6, s[0:1], 32, v6
	v_addc_co_u32_e64 v7, s[0:1], 0, v7, s[0:1]
	v_add_co_u32_e32 v2, vcc, s28, v2
	v_add_co_u32_e64 v8, s[0:1], -4, v8
	v_addc_co_u32_e64 v9, s[0:1], -1, v9, s[0:1]
	v_addc_co_u32_e32 v3, vcc, 0, v3, vcc
	v_add_co_u32_e32 v10, vcc, 0x100, v10
	v_cmp_eq_u64_e64 s[0:1], 0, v[8:9]
	v_addc_co_u32_e32 v11, vcc, 0, v11, vcc
	s_or_b64 s[18:19], s[0:1], s[18:19]
	s_waitcnt vmcnt(7)
	v_subrev_co_u32_e64 v36, s[2:3], s16, v36
	v_subb_co_u32_e64 v37, s[2:3], v37, v13, s[2:3]
	s_waitcnt vmcnt(6)
	v_subrev_co_u32_e64 v38, s[2:3], s16, v38
	v_subb_co_u32_e64 v39, s[2:3], v39, v13, s[2:3]
	;; [unrolled: 3-line block ×4, first 2 shown]
	v_lshlrev_b64 v[36:37], 2, v[36:37]
	v_add_co_u32_e64 v36, s[2:3], s8, v36
	v_lshlrev_b64 v[38:39], 2, v[38:39]
	v_addc_co_u32_e64 v37, s[2:3], v14, v37, s[2:3]
	v_add_co_u32_e64 v38, s[2:3], s8, v38
	v_lshlrev_b64 v[40:41], 2, v[40:41]
	v_addc_co_u32_e64 v39, s[2:3], v14, v39, s[2:3]
	;; [unrolled: 3-line block ×3, first 2 shown]
	v_add_co_u32_e64 v42, s[2:3], s8, v42
	v_addc_co_u32_e64 v43, s[2:3], v14, v43, s[2:3]
	global_load_dword v15, v[36:37], off
	global_load_dword v23, v[38:39], off
	;; [unrolled: 1-line block ×4, first 2 shown]
	s_waitcnt vmcnt(7)
	v_perm_b32 v36, v17, v16, s6
	v_perm_b32 v37, v19, v18, s21
	v_perm_b32 v38, v17, v16, s22
	v_perm_b32 v39, v19, v18, s23
	v_perm_b32 v40, v17, v16, s24
	v_perm_b32 v41, v19, v18, s25
	v_perm_b32 v16, v17, v16, s26
	v_perm_b32 v17, v19, v18, s27
	s_waitcnt vmcnt(6)
	v_perm_b32 v18, v25, v24, s6
	v_perm_b32 v19, v27, v26, s21
	v_perm_b32 v42, v25, v24, s22
	v_perm_b32 v43, v27, v26, s23
	v_perm_b32 v46, v25, v24, s24
	v_perm_b32 v47, v27, v26, s25
	v_perm_b32 v24, v25, v24, s26
	v_perm_b32 v25, v27, v26, s27
	;; [unrolled: 9-line block ×4, first 2 shown]
	v_or_b32_e32 v34, v37, v36
	v_or_b32_e32 v35, v39, v38
	v_or_b32_e32 v36, v41, v40
	v_or_b32_e32 v16, v17, v16
	v_or_b32_e32 v17, v19, v18
	v_or_b32_e32 v18, v43, v42
	v_or_b32_e32 v19, v47, v46
	v_or_b32_e32 v24, v25, v24
	v_or_b32_e32 v25, v27, v26
	v_or_b32_e32 v26, v49, v48
	v_or_b32_e32 v27, v51, v50
	v_or_b32_e32 v28, v29, v28
	v_or_b32_e32 v29, v31, v30
	v_or_b32_e32 v30, v53, v52
	v_or_b32_e32 v31, v55, v54
	v_or_b32_e32 v32, v33, v32
	s_waitcnt vmcnt(3)
	v_dot4c_i32_i8_e32 v22, v15, v34
	v_dot4c_i32_i8_e32 v21, v35, v15
	v_dot4c_i32_i8_e32 v20, v36, v15
	v_dot4c_i32_i8_e32 v1, v16, v15
	s_waitcnt vmcnt(2)
	v_dot4c_i32_i8_e32 v22, v23, v17
	v_dot4c_i32_i8_e32 v21, v18, v23
	v_dot4c_i32_i8_e32 v20, v19, v23
	v_dot4c_i32_i8_e32 v1, v24, v23
	;; [unrolled: 5-line block ×4, first 2 shown]
	s_andn2_b64 exec, exec, s[18:19]
	s_cbranch_execnz .LBB71_35
; %bb.36:
	s_or_b64 exec, exec, s[18:19]
.LBB71_37:
	s_or_b64 exec, exec, s[14:15]
	v_and_b32_e32 v8, 3, v12
	v_mov_b32_e32 v9, 0
	s_mov_b64 s[14:15], 0
	v_cmp_ne_u64_e32 vcc, 0, v[8:9]
	s_and_saveexec_b64 s[2:3], vcc
	s_cbranch_execz .LBB71_41
; %bb.38:
	v_lshlrev_b64 v[6:7], 3, v[6:7]
	v_mov_b32_e32 v10, s13
	v_add_co_u32_e32 v6, vcc, s12, v6
	v_addc_co_u32_e32 v7, vcc, v10, v7, vcc
	v_lshlrev_b32_e32 v8, 1, v8
	v_mov_b32_e32 v10, s7
	v_mov_b32_e32 v11, s9
	s_mov_b32 s6, 0xc0c0400
	s_mov_b32 s7, 0x4000c0c
	;; [unrolled: 1-line block ×8, first 2 shown]
	s_movk_i32 s22, 0x80
.LBB71_39:                              ; =>This Inner Loop Header: Depth=1
	global_load_dwordx2 v[16:17], v[6:7], off
	global_load_dwordx4 v[12:15], v[2:3], off
	v_add_co_u32_e64 v6, s[0:1], 64, v6
	v_addc_co_u32_e64 v7, s[0:1], 0, v7, s[0:1]
	v_add_co_u32_e64 v8, s[0:1], -2, v8
	v_addc_co_u32_e64 v9, s[0:1], -1, v9, s[0:1]
	s_waitcnt vmcnt(1)
	v_subrev_co_u32_e32 v16, vcc, s16, v16
	v_subb_co_u32_e32 v17, vcc, v17, v10, vcc
	v_lshlrev_b64 v[16:17], 2, v[16:17]
	v_add_co_u32_e32 v16, vcc, s8, v16
	v_addc_co_u32_e32 v17, vcc, v11, v17, vcc
	global_load_dword v16, v[16:17], off
	v_add_co_u32_e32 v2, vcc, s22, v2
	v_addc_co_u32_e32 v3, vcc, 0, v3, vcc
	s_waitcnt vmcnt(1)
	v_perm_b32 v17, v13, v12, s6
	v_perm_b32 v18, v15, v14, s7
	;; [unrolled: 1-line block ×8, first 2 shown]
	v_cmp_eq_u64_e32 vcc, 0, v[8:9]
	v_or_b32_e32 v14, v18, v17
	v_or_b32_e32 v15, v23, v19
	;; [unrolled: 1-line block ×4, first 2 shown]
	s_or_b64 s[14:15], vcc, s[14:15]
	s_waitcnt vmcnt(0)
	v_dot4c_i32_i8_e32 v22, v16, v14
	v_dot4c_i32_i8_e32 v21, v15, v16
	;; [unrolled: 1-line block ×4, first 2 shown]
	s_andn2_b64 exec, exec, s[14:15]
	s_cbranch_execnz .LBB71_39
; %bb.40:
	s_or_b64 exec, exec, s[14:15]
.LBB71_41:
	s_or_b64 exec, exec, s[2:3]
.LBB71_42:
	s_or_b64 exec, exec, s[10:11]
.LBB71_43:
	v_mov_b32_dpp v2, v22 row_shr:1 row_mask:0xf bank_mask:0xf
	v_mov_b32_dpp v6, v21 row_shr:1 row_mask:0xf bank_mask:0xf
	;; [unrolled: 1-line block ×4, first 2 shown]
	v_add_u32_e32 v2, v2, v22
	v_add_u32_e32 v6, v6, v21
	;; [unrolled: 1-line block ×4, first 2 shown]
	v_mov_b32_dpp v3, v2 row_shr:2 row_mask:0xf bank_mask:0xf
	v_mov_b32_dpp v7, v6 row_shr:2 row_mask:0xf bank_mask:0xf
	;; [unrolled: 1-line block ×4, first 2 shown]
	v_add_u32_e32 v2, v2, v3
	v_add_u32_e32 v6, v6, v7
	;; [unrolled: 1-line block ×4, first 2 shown]
	v_mov_b32_dpp v3, v2 row_shr:4 row_mask:0xf bank_mask:0xe
	v_mov_b32_dpp v7, v6 row_shr:4 row_mask:0xf bank_mask:0xe
	v_mov_b32_dpp v9, v8 row_shr:4 row_mask:0xf bank_mask:0xe
	v_mov_b32_dpp v10, v1 row_shr:4 row_mask:0xf bank_mask:0xe
	v_cmp_eq_u32_e32 vcc, 7, v0
	s_and_b64 exec, exec, vcc
	s_cbranch_execz .LBB71_14
; %bb.44:
	s_load_dwordx2 s[0:1], s[4:5], 0x58
	v_add_u32_e32 v0, v2, v3
	v_add_u32_e32 v2, v6, v7
	;; [unrolled: 1-line block ×4, first 2 shown]
	s_cmp_eq_u32 s20, 0
	v_mul_lo_u32 v0, v0, s17
	v_mul_lo_u32 v8, v2, s17
	;; [unrolled: 1-line block ×4, first 2 shown]
	v_lshlrev_b64 v[4:5], 4, v[4:5]
	s_cbranch_scc1 .LBB71_46
; %bb.45:
	s_waitcnt lgkmcnt(0)
	v_mov_b32_e32 v1, s1
	v_add_co_u32_e32 v18, vcc, s0, v4
	v_addc_co_u32_e32 v19, vcc, v1, v5, vcc
	global_load_dwordx4 v[10:13], v[18:19], off
	s_waitcnt vmcnt(0)
	v_mad_u64_u32 v[14:15], s[2:3], v10, s20, v[0:1]
	v_mad_u64_u32 v[10:11], s[2:3], v11, s20, v[8:9]
	;; [unrolled: 1-line block ×4, first 2 shown]
	v_mov_b32_e32 v15, v10
	v_mov_b32_e32 v17, v12
	global_store_dwordx4 v[18:19], v[14:17], off
	s_cbranch_execnz .LBB71_14
	s_branch .LBB71_47
.LBB71_46:
.LBB71_47:
	s_waitcnt lgkmcnt(0)
	v_mov_b32_e32 v1, s1
	v_add_co_u32_e32 v4, vcc, s0, v4
	v_addc_co_u32_e32 v5, vcc, v1, v5, vcc
	v_mov_b32_e32 v1, v8
	v_mov_b32_e32 v3, v6
	global_store_dwordx4 v[4:5], v[0:3], off
	s_endpgm
	.section	.rodata,"a",@progbits
	.p2align	6, 0x0
	.amdhsa_kernel _ZN9rocsparseL18bsrxmvn_4x4_kernelILj128ELj8EillaaiEEvT3_20rocsparse_direction_NS_24const_host_device_scalarIT1_EES1_PKS1_PKT2_SA_S7_PKT4_PKT5_S5_PT6_21rocsparse_index_base_b
		.amdhsa_group_segment_fixed_size 0
		.amdhsa_private_segment_fixed_size 0
		.amdhsa_kernarg_size 104
		.amdhsa_user_sgpr_count 6
		.amdhsa_user_sgpr_private_segment_buffer 1
		.amdhsa_user_sgpr_dispatch_ptr 0
		.amdhsa_user_sgpr_queue_ptr 0
		.amdhsa_user_sgpr_kernarg_segment_ptr 1
		.amdhsa_user_sgpr_dispatch_id 0
		.amdhsa_user_sgpr_flat_scratch_init 0
		.amdhsa_user_sgpr_kernarg_preload_length 0
		.amdhsa_user_sgpr_kernarg_preload_offset 0
		.amdhsa_user_sgpr_private_segment_size 0
		.amdhsa_uses_dynamic_stack 0
		.amdhsa_system_sgpr_private_segment_wavefront_offset 0
		.amdhsa_system_sgpr_workgroup_id_x 1
		.amdhsa_system_sgpr_workgroup_id_y 0
		.amdhsa_system_sgpr_workgroup_id_z 0
		.amdhsa_system_sgpr_workgroup_info 0
		.amdhsa_system_vgpr_workitem_id 0
		.amdhsa_next_free_vgpr 58
		.amdhsa_next_free_sgpr 29
		.amdhsa_accum_offset 60
		.amdhsa_reserve_vcc 1
		.amdhsa_reserve_flat_scratch 0
		.amdhsa_float_round_mode_32 0
		.amdhsa_float_round_mode_16_64 0
		.amdhsa_float_denorm_mode_32 3
		.amdhsa_float_denorm_mode_16_64 3
		.amdhsa_dx10_clamp 1
		.amdhsa_ieee_mode 1
		.amdhsa_fp16_overflow 0
		.amdhsa_tg_split 0
		.amdhsa_exception_fp_ieee_invalid_op 0
		.amdhsa_exception_fp_denorm_src 0
		.amdhsa_exception_fp_ieee_div_zero 0
		.amdhsa_exception_fp_ieee_overflow 0
		.amdhsa_exception_fp_ieee_underflow 0
		.amdhsa_exception_fp_ieee_inexact 0
		.amdhsa_exception_int_div_zero 0
	.end_amdhsa_kernel
	.section	.text._ZN9rocsparseL18bsrxmvn_4x4_kernelILj128ELj8EillaaiEEvT3_20rocsparse_direction_NS_24const_host_device_scalarIT1_EES1_PKS1_PKT2_SA_S7_PKT4_PKT5_S5_PT6_21rocsparse_index_base_b,"axG",@progbits,_ZN9rocsparseL18bsrxmvn_4x4_kernelILj128ELj8EillaaiEEvT3_20rocsparse_direction_NS_24const_host_device_scalarIT1_EES1_PKS1_PKT2_SA_S7_PKT4_PKT5_S5_PT6_21rocsparse_index_base_b,comdat
.Lfunc_end71:
	.size	_ZN9rocsparseL18bsrxmvn_4x4_kernelILj128ELj8EillaaiEEvT3_20rocsparse_direction_NS_24const_host_device_scalarIT1_EES1_PKS1_PKT2_SA_S7_PKT4_PKT5_S5_PT6_21rocsparse_index_base_b, .Lfunc_end71-_ZN9rocsparseL18bsrxmvn_4x4_kernelILj128ELj8EillaaiEEvT3_20rocsparse_direction_NS_24const_host_device_scalarIT1_EES1_PKS1_PKT2_SA_S7_PKT4_PKT5_S5_PT6_21rocsparse_index_base_b
                                        ; -- End function
	.section	.AMDGPU.csdata,"",@progbits
; Kernel info:
; codeLenInByte = 3404
; NumSgprs: 33
; NumVgprs: 58
; NumAgprs: 0
; TotalNumVgprs: 58
; ScratchSize: 0
; MemoryBound: 0
; FloatMode: 240
; IeeeMode: 1
; LDSByteSize: 0 bytes/workgroup (compile time only)
; SGPRBlocks: 4
; VGPRBlocks: 7
; NumSGPRsForWavesPerEU: 33
; NumVGPRsForWavesPerEU: 58
; AccumOffset: 60
; Occupancy: 8
; WaveLimiterHint : 1
; COMPUTE_PGM_RSRC2:SCRATCH_EN: 0
; COMPUTE_PGM_RSRC2:USER_SGPR: 6
; COMPUTE_PGM_RSRC2:TRAP_HANDLER: 0
; COMPUTE_PGM_RSRC2:TGID_X_EN: 1
; COMPUTE_PGM_RSRC2:TGID_Y_EN: 0
; COMPUTE_PGM_RSRC2:TGID_Z_EN: 0
; COMPUTE_PGM_RSRC2:TIDIG_COMP_CNT: 0
; COMPUTE_PGM_RSRC3_GFX90A:ACCUM_OFFSET: 14
; COMPUTE_PGM_RSRC3_GFX90A:TG_SPLIT: 0
	.section	.text._ZN9rocsparseL18bsrxmvn_4x4_kernelILj128ELj16EillaaiEEvT3_20rocsparse_direction_NS_24const_host_device_scalarIT1_EES1_PKS1_PKT2_SA_S7_PKT4_PKT5_S5_PT6_21rocsparse_index_base_b,"axG",@progbits,_ZN9rocsparseL18bsrxmvn_4x4_kernelILj128ELj16EillaaiEEvT3_20rocsparse_direction_NS_24const_host_device_scalarIT1_EES1_PKS1_PKT2_SA_S7_PKT4_PKT5_S5_PT6_21rocsparse_index_base_b,comdat
	.globl	_ZN9rocsparseL18bsrxmvn_4x4_kernelILj128ELj16EillaaiEEvT3_20rocsparse_direction_NS_24const_host_device_scalarIT1_EES1_PKS1_PKT2_SA_S7_PKT4_PKT5_S5_PT6_21rocsparse_index_base_b ; -- Begin function _ZN9rocsparseL18bsrxmvn_4x4_kernelILj128ELj16EillaaiEEvT3_20rocsparse_direction_NS_24const_host_device_scalarIT1_EES1_PKS1_PKT2_SA_S7_PKT4_PKT5_S5_PT6_21rocsparse_index_base_b
	.p2align	8
	.type	_ZN9rocsparseL18bsrxmvn_4x4_kernelILj128ELj16EillaaiEEvT3_20rocsparse_direction_NS_24const_host_device_scalarIT1_EES1_PKS1_PKT2_SA_S7_PKT4_PKT5_S5_PT6_21rocsparse_index_base_b,@function
_ZN9rocsparseL18bsrxmvn_4x4_kernelILj128ELj16EillaaiEEvT3_20rocsparse_direction_NS_24const_host_device_scalarIT1_EES1_PKS1_PKT2_SA_S7_PKT4_PKT5_S5_PT6_21rocsparse_index_base_b: ; @_ZN9rocsparseL18bsrxmvn_4x4_kernelILj128ELj16EillaaiEEvT3_20rocsparse_direction_NS_24const_host_device_scalarIT1_EES1_PKS1_PKT2_SA_S7_PKT4_PKT5_S5_PT6_21rocsparse_index_base_b
; %bb.0:
	s_load_dwordx2 s[16:17], s[4:5], 0x60
	s_load_dwordx4 s[0:3], s[4:5], 0x10
	s_mov_b64 s[12:13], -1
	s_waitcnt lgkmcnt(0)
	s_bitcmp1_b32 s17, 0
	s_cselect_b64 s[8:9], -1, 0
	s_xor_b64 s[10:11], s[8:9], -1
	s_and_b64 vcc, exec, s[10:11]
                                        ; implicit-def: $sgpr17
	s_cbranch_vccnz .LBB72_4
; %bb.1:
	s_load_dwordx2 s[8:9], s[4:5], 0x50
	s_andn2_b64 vcc, exec, s[12:13]
	s_cbranch_vccz .LBB72_5
.LBB72_2:
	s_and_b64 vcc, exec, s[10:11]
	s_cbranch_vccz .LBB72_6
.LBB72_3:
	s_waitcnt lgkmcnt(0)
	s_load_dword s20, s[8:9], 0x0
	s_cbranch_execz .LBB72_7
	s_branch .LBB72_8
.LBB72_4:
	s_load_dword s17, s[0:1], 0x0
	s_load_dwordx2 s[8:9], s[4:5], 0x50
	s_cbranch_execnz .LBB72_2
.LBB72_5:
	s_waitcnt lgkmcnt(0)
	s_mov_b32 s17, s0
	s_and_b64 vcc, exec, s[10:11]
	s_cbranch_vccnz .LBB72_3
.LBB72_6:
                                        ; implicit-def: $sgpr20
.LBB72_7:
	s_waitcnt lgkmcnt(0)
	s_mov_b32 s20, s8
.LBB72_8:
	s_waitcnt lgkmcnt(0)
	s_cmp_lg_u32 s17, 0
	s_cselect_b64 s[0:1], -1, 0
	s_cmp_lg_u32 s20, 1
	s_cselect_b64 s[8:9], -1, 0
	s_or_b64 s[0:1], s[0:1], s[8:9]
	s_andn2_b64 vcc, exec, s[0:1]
	s_cbranch_vccnz .LBB72_14
; %bb.9:
	s_load_dwordx2 s[8:9], s[4:5], 0x20
	v_lshrrev_b32_e32 v1, 4, v0
	v_lshl_or_b32 v2, s6, 3, v1
	v_mov_b32_e32 v3, 0
	s_mov_b64 s[0:1], 0
	s_waitcnt lgkmcnt(0)
	s_cmp_lg_u64 s[8:9], 0
	s_cbranch_scc0 .LBB72_15
; %bb.10:
	v_cmp_gt_i64_e32 vcc, s[2:3], v[2:3]
                                        ; implicit-def: $vgpr4_vgpr5
	s_and_saveexec_b64 s[2:3], vcc
	s_xor_b64 s[2:3], exec, s[2:3]
                                        ; implicit-def: $sgpr6_sgpr7
	s_cbranch_execz .LBB72_12
; %bb.11:
	v_lshlrev_b64 v[4:5], 3, v[2:3]
	v_mov_b32_e32 v1, s9
	v_add_co_u32_e32 v4, vcc, s8, v4
	v_addc_co_u32_e32 v5, vcc, v1, v5, vcc
	global_load_dwordx2 v[4:5], v[4:5], off
	s_mov_b64 s[0:1], exec
	s_mov_b32 s7, 0
	s_waitcnt vmcnt(0)
	v_subrev_co_u32_e32 v4, vcc, s16, v4
	v_subbrev_co_u32_e32 v5, vcc, 0, v5, vcc
.LBB72_12:
	s_or_b64 exec, exec, s[2:3]
.LBB72_13:
	s_and_saveexec_b64 s[2:3], s[0:1]
	s_cbranch_execnz .LBB72_19
.LBB72_14:
	s_endpgm
.LBB72_15:
                                        ; implicit-def: $vgpr4_vgpr5
                                        ; implicit-def: $sgpr6_sgpr7
	s_cbranch_execz .LBB72_13
; %bb.16:
	s_load_dwordx2 s[2:3], s[4:5], 0x0
                                        ; implicit-def: $vgpr4_vgpr5
	s_waitcnt lgkmcnt(0)
	v_cmp_gt_i64_e32 vcc, s[2:3], v[2:3]
	s_and_saveexec_b64 s[2:3], vcc
                                        ; implicit-def: $sgpr6_sgpr7
; %bb.17:
	s_mov_b32 s7, 0
	s_or_b64 s[0:1], s[0:1], exec
	v_pk_mov_b32 v[4:5], v[2:3], v[2:3] op_sel:[0,1]
; %bb.18:
	s_or_b64 exec, exec, s[2:3]
	s_and_saveexec_b64 s[2:3], s[0:1]
	s_cbranch_execz .LBB72_14
.LBB72_19:
	s_load_dwordx8 s[8:15], s[4:5], 0x28
	v_lshlrev_b64 v[2:3], 3, v[4:5]
	v_mov_b32_e32 v11, s7
	v_and_b32_e32 v0, 15, v0
	s_waitcnt lgkmcnt(0)
	v_mov_b32_e32 v1, s9
	v_add_co_u32_e32 v6, vcc, s8, v2
	v_addc_co_u32_e32 v7, vcc, v1, v3, vcc
	v_add_co_u32_e32 v1, vcc, 8, v6
	global_load_dwordx2 v[8:9], v[6:7], off
	v_addc_co_u32_e32 v6, vcc, 0, v7, vcc
	v_mov_b32_e32 v7, s11
	v_add_co_u32_e32 v2, vcc, s10, v2
	s_cmp_eq_u64 s[10:11], 0
	v_addc_co_u32_e32 v3, vcc, v7, v3, vcc
	s_cselect_b64 vcc, -1, 0
	v_cndmask_b32_e32 v3, v3, v6, vcc
	v_cndmask_b32_e32 v2, v2, v1, vcc
	global_load_dwordx2 v[2:3], v[2:3], off
	s_load_dwordx2 s[8:9], s[4:5], 0x48
	s_load_dword s0, s[4:5], 0x8
	v_mov_b32_e32 v12, s15
	v_mov_b32_e32 v1, 0
	s_waitcnt lgkmcnt(0)
	s_cmp_eq_u32 s0, 1
	s_waitcnt vmcnt(1)
	v_subrev_co_u32_e32 v6, vcc, s16, v8
	v_subb_co_u32_e32 v7, vcc, v9, v11, vcc
	v_add_co_u32_e32 v6, vcc, v6, v0
	v_addc_co_u32_e32 v7, vcc, 0, v7, vcc
	s_waitcnt vmcnt(0)
	v_subrev_co_u32_e32 v10, vcc, s16, v2
	v_subb_co_u32_e32 v11, vcc, v3, v11, vcc
	v_lshlrev_b64 v[2:3], 4, v[6:7]
	v_add_co_u32_e32 v2, vcc, s14, v2
	v_addc_co_u32_e32 v3, vcc, v12, v3, vcc
	v_cmp_lt_i64_e64 s[0:1], v[6:7], v[10:11]
	s_cbranch_scc1 .LBB72_31
; %bb.20:
	v_mov_b32_e32 v20, 0
	v_mov_b32_e32 v21, 0
	;; [unrolled: 1-line block ×3, first 2 shown]
	s_and_saveexec_b64 s[10:11], s[0:1]
	s_cbranch_execz .LBB72_30
; %bb.21:
	v_or_b32_e32 v1, 16, v0
	v_mov_b32_e32 v12, s7
	v_subrev_co_u32_e32 v1, vcc, s16, v1
	v_subb_co_u32_e32 v13, vcc, 0, v12, vcc
	v_add_co_u32_e32 v12, vcc, v1, v8
	v_addc_co_u32_e32 v13, vcc, v13, v9, vcc
	v_cmp_gt_i64_e32 vcc, v[12:13], v[10:11]
	v_cndmask_b32_e32 v1, v11, v13, vcc
	v_cndmask_b32_e32 v12, v10, v12, vcc
	v_mov_b32_e32 v15, s7
	v_sub_co_u32_e32 v16, vcc, s16, v0
	v_not_b32_e32 v14, v8
	v_subbrev_co_u32_e32 v15, vcc, 0, v15, vcc
	v_not_b32_e32 v13, v9
	v_add_co_u32_e32 v14, vcc, v16, v14
	v_addc_co_u32_e32 v13, vcc, v15, v13, vcc
	v_add_co_u32_e32 v12, vcc, v14, v12
	v_addc_co_u32_e32 v13, vcc, v13, v1, vcc
	v_lshrrev_b64 v[14:15], 4, v[12:13]
	v_add_co_u32_e32 v23, vcc, 1, v14
	v_addc_co_u32_e32 v17, vcc, 0, v15, vcc
	v_cmp_lt_u64_e32 vcc, 47, v[12:13]
	v_mov_b32_e32 v22, 0
	v_mov_b32_e32 v21, 0
	v_mov_b32_e32 v20, 0
	v_mov_b32_e32 v1, 0
	v_pk_mov_b32 v[14:15], v[6:7], v[6:7] op_sel:[0,1]
	v_pk_mov_b32 v[12:13], v[2:3], v[2:3] op_sel:[0,1]
	s_and_saveexec_b64 s[14:15], vcc
	s_cbranch_execz .LBB72_25
; %bb.22:
	v_lshlrev_b64 v[12:13], 3, v[6:7]
	v_mov_b32_e32 v1, s13
	v_add_co_u32_e32 v12, vcc, s12, v12
	v_addc_co_u32_e32 v1, vcc, v13, v1, vcc
	v_add_co_u32_e32 v18, vcc, 0x100, v12
	v_and_b32_e32 v16, -4, v23
	v_addc_co_u32_e32 v19, vcc, 0, v1, vcc
	s_mov_b64 s[18:19], 0
	v_mov_b32_e32 v1, 0
	v_mov_b32_e32 v24, s7
	;; [unrolled: 1-line block ×3, first 2 shown]
	s_movk_i32 s6, 0x400
	v_pk_mov_b32 v[12:13], v[2:3], v[2:3] op_sel:[0,1]
	v_pk_mov_b32 v[14:15], v[6:7], v[6:7] op_sel:[0,1]
	v_mov_b32_e32 v20, 0
	v_mov_b32_e32 v21, 0
	;; [unrolled: 1-line block ×3, first 2 shown]
.LBB72_23:                              ; =>This Inner Loop Header: Depth=1
	global_load_dwordx2 v[42:43], v[18:19], off offset:-256
	global_load_dwordx2 v[44:45], v[18:19], off offset:-128
	global_load_dwordx2 v[46:47], v[18:19], off
	global_load_dwordx2 v[48:49], v[18:19], off offset:128
	global_load_dwordx4 v[26:29], v[12:13], off
	global_load_dwordx4 v[30:33], v[12:13], off offset:256
	global_load_dwordx4 v[34:37], v[12:13], off offset:512
	;; [unrolled: 1-line block ×3, first 2 shown]
	v_add_co_u32_e64 v14, s[2:3], 64, v14
	v_addc_co_u32_e64 v15, s[2:3], 0, v15, s[2:3]
	v_add_co_u32_e64 v16, s[2:3], -4, v16
	v_addc_co_u32_e64 v17, s[2:3], -1, v17, s[2:3]
	v_cmp_eq_u64_e64 s[2:3], 0, v[16:17]
	s_or_b64 s[18:19], s[2:3], s[18:19]
	s_waitcnt vmcnt(7)
	v_subrev_co_u32_e32 v42, vcc, s16, v42
	v_subb_co_u32_e32 v43, vcc, v43, v24, vcc
	s_waitcnt vmcnt(6)
	v_subrev_co_u32_e32 v44, vcc, s16, v44
	v_subb_co_u32_e32 v45, vcc, v45, v24, vcc
	;; [unrolled: 3-line block ×4, first 2 shown]
	v_lshlrev_b64 v[42:43], 2, v[42:43]
	v_add_co_u32_e32 v42, vcc, s8, v42
	v_lshlrev_b64 v[44:45], 2, v[44:45]
	v_addc_co_u32_e32 v43, vcc, v25, v43, vcc
	v_add_co_u32_e32 v44, vcc, s8, v44
	v_lshlrev_b64 v[46:47], 2, v[46:47]
	v_addc_co_u32_e32 v45, vcc, v25, v45, vcc
	;; [unrolled: 3-line block ×3, first 2 shown]
	v_add_co_u32_e32 v48, vcc, s8, v48
	v_addc_co_u32_e32 v49, vcc, v25, v49, vcc
	global_load_dword v50, v[42:43], off
	global_load_dword v51, v[44:45], off
	;; [unrolled: 1-line block ×4, first 2 shown]
	s_waitcnt vmcnt(7)
	v_lshrrev_b16_e32 v42, 8, v26
	s_waitcnt vmcnt(6)
	v_lshrrev_b16_e32 v43, 8, v30
	;; [unrolled: 2-line block ×4, first 2 shown]
	v_bfe_i32 v42, v42, 0, 8
	v_bfe_i32 v43, v43, 0, 8
	v_bfe_i32 v44, v44, 0, 8
	v_add_co_u32_e32 v12, vcc, s6, v12
	v_bfe_i32 v45, v45, 0, 8
	v_addc_co_u32_e32 v13, vcc, 0, v13, vcc
	v_add_co_u32_e32 v18, vcc, 0x200, v18
	v_addc_co_u32_e32 v19, vcc, 0, v19, vcc
	s_waitcnt vmcnt(3)
	v_lshrrev_b16_e32 v46, 8, v50
	v_dot4c_i32_i8_e32 v21, v50, v27
	s_waitcnt vmcnt(2)
	v_lshrrev_b16_e32 v27, 8, v51
	s_waitcnt vmcnt(1)
	v_lshrrev_b16_e32 v49, 8, v52
	v_mul_i32_i24_sdwa v47, sext(v50), sext(v26) dst_sel:DWORD dst_unused:UNUSED_PAD src0_sel:BYTE_0 src1_sel:BYTE_0
	v_mul_i32_i24_sdwa v48, sext(v50), sext(v26) dst_sel:DWORD dst_unused:UNUSED_PAD src0_sel:BYTE_2 src1_sel:BYTE_2
	v_mul_i32_i24_sdwa v26, sext(v50), sext(v26) dst_sel:DWORD dst_unused:UNUSED_PAD src0_sel:BYTE_3 src1_sel:BYTE_3
	v_dot4c_i32_i8_e32 v20, v50, v28
	v_dot4c_i32_i8_e32 v1, v50, v29
	v_mul_i32_i24_sdwa v28, sext(v51), sext(v30) dst_sel:DWORD dst_unused:UNUSED_PAD src0_sel:BYTE_0 src1_sel:BYTE_0
	v_mul_i32_i24_sdwa v29, sext(v51), sext(v30) dst_sel:DWORD dst_unused:UNUSED_PAD src0_sel:BYTE_2 src1_sel:BYTE_2
	v_mul_i32_i24_sdwa v30, sext(v51), sext(v30) dst_sel:DWORD dst_unused:UNUSED_PAD src0_sel:BYTE_3 src1_sel:BYTE_3
	v_mul_i32_i24_sdwa v50, sext(v52), sext(v34) dst_sel:DWORD dst_unused:UNUSED_PAD src0_sel:BYTE_0 src1_sel:BYTE_0
	v_mul_i32_i24_sdwa v54, sext(v52), sext(v34) dst_sel:DWORD dst_unused:UNUSED_PAD src0_sel:BYTE_2 src1_sel:BYTE_2
	v_mul_i32_i24_sdwa v34, sext(v52), sext(v34) dst_sel:DWORD dst_unused:UNUSED_PAD src0_sel:BYTE_3 src1_sel:BYTE_3
	s_waitcnt vmcnt(0)
	v_lshrrev_b16_e32 v55, 8, v53
	v_bfe_i32 v46, v46, 0, 8
	v_bfe_i32 v27, v27, 0, 8
	v_dot4c_i32_i8_e32 v21, v51, v31
	v_bfe_i32 v31, v49, 0, 8
	v_mul_i32_i24_sdwa v56, sext(v53), sext(v38) dst_sel:DWORD dst_unused:UNUSED_PAD src0_sel:BYTE_0 src1_sel:BYTE_0
	v_mul_i32_i24_sdwa v57, sext(v53), sext(v38) dst_sel:DWORD dst_unused:UNUSED_PAD src0_sel:BYTE_2 src1_sel:BYTE_2
	v_mul_i32_i24_sdwa v38, sext(v53), sext(v38) dst_sel:DWORD dst_unused:UNUSED_PAD src0_sel:BYTE_3 src1_sel:BYTE_3
	v_dot4c_i32_i8_e32 v20, v51, v32
	v_bfe_i32 v32, v55, 0, 8
	v_mad_i32_i24 v26, v46, v42, v26
	v_mad_i32_i24 v27, v27, v43, v30
	;; [unrolled: 1-line block ×3, first 2 shown]
	v_dot4c_i32_i8_e32 v1, v51, v33
	v_mad_i32_i24 v31, v32, v45, v38
	v_add3_u32 v26, v47, v48, v26
	v_add3_u32 v27, v28, v29, v27
	;; [unrolled: 1-line block ×3, first 2 shown]
	v_dot4c_i32_i8_e32 v21, v52, v35
	v_dot4c_i32_i8_e32 v20, v52, v36
	v_dot4c_i32_i8_e32 v1, v52, v37
	v_add3_u32 v29, v56, v57, v31
	v_add3_u32 v26, v26, v27, v28
	v_dot4c_i32_i8_e32 v21, v53, v39
	v_dot4c_i32_i8_e32 v20, v53, v40
	;; [unrolled: 1-line block ×3, first 2 shown]
	v_add3_u32 v22, v26, v29, v22
	s_andn2_b64 exec, exec, s[18:19]
	s_cbranch_execnz .LBB72_23
; %bb.24:
	s_or_b64 exec, exec, s[18:19]
.LBB72_25:
	s_or_b64 exec, exec, s[14:15]
	v_and_b32_e32 v16, 3, v23
	v_mov_b32_e32 v17, 0
	s_mov_b64 s[18:19], 0
	v_cmp_ne_u64_e32 vcc, 0, v[16:17]
	s_and_saveexec_b64 s[14:15], vcc
	s_cbranch_execz .LBB72_29
; %bb.26:
	v_lshlrev_b64 v[14:15], 3, v[14:15]
	v_mov_b32_e32 v18, s13
	v_add_co_u32_e32 v14, vcc, s12, v14
	v_addc_co_u32_e32 v15, vcc, v18, v15, vcc
	v_lshlrev_b32_e32 v16, 1, v16
	v_mov_b32_e32 v18, s7
	v_mov_b32_e32 v19, s9
	s_movk_i32 s6, 0x100
.LBB72_27:                              ; =>This Inner Loop Header: Depth=1
	global_load_dwordx2 v[28:29], v[14:15], off
	global_load_dwordx4 v[24:27], v[12:13], off
	v_add_co_u32_e64 v16, s[2:3], -2, v16
	v_addc_co_u32_e64 v17, s[2:3], -1, v17, s[2:3]
	v_cmp_eq_u64_e64 s[2:3], 0, v[16:17]
	s_or_b64 s[18:19], s[2:3], s[18:19]
	s_waitcnt vmcnt(1)
	v_subrev_co_u32_e32 v28, vcc, s16, v28
	v_subb_co_u32_e32 v29, vcc, v29, v18, vcc
	v_lshlrev_b64 v[28:29], 2, v[28:29]
	v_add_co_u32_e32 v28, vcc, s8, v28
	v_addc_co_u32_e32 v29, vcc, v19, v29, vcc
	global_load_dword v23, v[28:29], off
	v_add_co_u32_e32 v12, vcc, s6, v12
	s_waitcnt vmcnt(1)
	v_lshrrev_b16_e32 v28, 8, v24
	v_addc_co_u32_e32 v13, vcc, 0, v13, vcc
	v_bfe_i32 v29, v24, 0, 8
	v_bfe_i32 v28, v28, 0, 8
	v_add_co_u32_e32 v14, vcc, 0x80, v14
	v_addc_co_u32_e32 v15, vcc, 0, v15, vcc
	s_waitcnt vmcnt(0)
	v_lshrrev_b16_e32 v30, 8, v23
	v_bfe_i32 v31, v23, 0, 8
	v_mul_i32_i24_sdwa v32, sext(v23), sext(v24) dst_sel:DWORD dst_unused:UNUSED_PAD src0_sel:BYTE_2 src1_sel:BYTE_2
	v_mul_i32_i24_sdwa v24, sext(v23), sext(v24) dst_sel:DWORD dst_unused:UNUSED_PAD src0_sel:BYTE_3 src1_sel:BYTE_3
	v_dot4c_i32_i8_e32 v21, v23, v25
	v_dot4c_i32_i8_e32 v20, v23, v26
	;; [unrolled: 1-line block ×3, first 2 shown]
	v_bfe_i32 v23, v30, 0, 8
	v_mad_i32_i24 v25, v31, v29, v32
	v_mad_i32_i24 v23, v23, v28, v24
	v_add3_u32 v22, v25, v23, v22
	s_andn2_b64 exec, exec, s[18:19]
	s_cbranch_execnz .LBB72_27
; %bb.28:
	s_or_b64 exec, exec, s[18:19]
.LBB72_29:
	s_or_b64 exec, exec, s[14:15]
.LBB72_30:
	s_or_b64 exec, exec, s[10:11]
	s_cbranch_execz .LBB72_32
	s_branch .LBB72_43
.LBB72_31:
                                        ; implicit-def: $vgpr1
                                        ; implicit-def: $vgpr20
                                        ; implicit-def: $vgpr21
                                        ; implicit-def: $vgpr22
.LBB72_32:
	v_mov_b32_e32 v1, 0
	v_mov_b32_e32 v20, 0
	;; [unrolled: 1-line block ×4, first 2 shown]
	s_and_saveexec_b64 s[10:11], s[0:1]
	s_cbranch_execz .LBB72_42
; %bb.33:
	v_or_b32_e32 v1, 16, v0
	v_mov_b32_e32 v12, s7
	v_subrev_co_u32_e32 v1, vcc, s16, v1
	v_subb_co_u32_e32 v13, vcc, 0, v12, vcc
	v_add_co_u32_e32 v12, vcc, v1, v8
	v_addc_co_u32_e32 v13, vcc, v13, v9, vcc
	v_cmp_gt_i64_e32 vcc, v[12:13], v[10:11]
	v_cndmask_b32_e32 v1, v11, v13, vcc
	v_cndmask_b32_e32 v10, v10, v12, vcc
	v_mov_b32_e32 v11, s7
	v_sub_co_u32_e32 v12, vcc, s16, v0
	v_not_b32_e32 v8, v8
	v_subbrev_co_u32_e32 v11, vcc, 0, v11, vcc
	v_not_b32_e32 v9, v9
	v_add_co_u32_e32 v8, vcc, v12, v8
	v_addc_co_u32_e32 v9, vcc, v11, v9, vcc
	v_add_co_u32_e32 v10, vcc, v8, v10
	v_addc_co_u32_e32 v11, vcc, v9, v1, vcc
	v_lshrrev_b64 v[8:9], 4, v[10:11]
	v_add_co_u32_e32 v12, vcc, 1, v8
	v_addc_co_u32_e32 v9, vcc, 0, v9, vcc
	v_cmp_lt_u64_e32 vcc, 47, v[10:11]
	v_mov_b32_e32 v22, 0
	v_mov_b32_e32 v21, 0
	;; [unrolled: 1-line block ×4, first 2 shown]
	s_and_saveexec_b64 s[14:15], vcc
	s_cbranch_execz .LBB72_37
; %bb.34:
	v_lshlrev_b64 v[10:11], 3, v[6:7]
	v_mov_b32_e32 v1, s13
	v_add_co_u32_e32 v10, vcc, s12, v10
	v_addc_co_u32_e32 v1, vcc, v11, v1, vcc
	v_add_co_u32_e32 v10, vcc, 0x100, v10
	v_and_b32_e32 v8, -4, v12
	v_addc_co_u32_e32 v11, vcc, 0, v1, vcc
	s_mov_b64 s[18:19], 0
	v_mov_b32_e32 v1, 0
	v_mov_b32_e32 v13, s7
	;; [unrolled: 1-line block ×3, first 2 shown]
	s_mov_b32 s6, 0xc0c0400
	s_mov_b32 s21, 0x4000c0c
	;; [unrolled: 1-line block ×8, first 2 shown]
	s_movk_i32 s28, 0x400
	v_mov_b32_e32 v20, 0
	v_mov_b32_e32 v21, 0
	;; [unrolled: 1-line block ×3, first 2 shown]
.LBB72_35:                              ; =>This Inner Loop Header: Depth=1
	global_load_dwordx2 v[36:37], v[10:11], off offset:-256
	global_load_dwordx2 v[38:39], v[10:11], off offset:-128
	global_load_dwordx2 v[40:41], v[10:11], off
	global_load_dwordx2 v[42:43], v[10:11], off offset:128
	global_load_dwordx4 v[16:19], v[2:3], off
	global_load_dwordx4 v[24:27], v[2:3], off offset:256
	global_load_dwordx4 v[28:31], v[2:3], off offset:512
	;; [unrolled: 1-line block ×3, first 2 shown]
	v_add_co_u32_e64 v6, s[0:1], 64, v6
	v_addc_co_u32_e64 v7, s[0:1], 0, v7, s[0:1]
	v_add_co_u32_e32 v2, vcc, s28, v2
	v_add_co_u32_e64 v8, s[0:1], -4, v8
	v_addc_co_u32_e64 v9, s[0:1], -1, v9, s[0:1]
	v_addc_co_u32_e32 v3, vcc, 0, v3, vcc
	v_add_co_u32_e32 v10, vcc, 0x200, v10
	v_cmp_eq_u64_e64 s[0:1], 0, v[8:9]
	v_addc_co_u32_e32 v11, vcc, 0, v11, vcc
	s_or_b64 s[18:19], s[0:1], s[18:19]
	s_waitcnt vmcnt(7)
	v_subrev_co_u32_e64 v36, s[2:3], s16, v36
	v_subb_co_u32_e64 v37, s[2:3], v37, v13, s[2:3]
	s_waitcnt vmcnt(6)
	v_subrev_co_u32_e64 v38, s[2:3], s16, v38
	v_subb_co_u32_e64 v39, s[2:3], v39, v13, s[2:3]
	;; [unrolled: 3-line block ×4, first 2 shown]
	v_lshlrev_b64 v[36:37], 2, v[36:37]
	v_add_co_u32_e64 v36, s[2:3], s8, v36
	v_lshlrev_b64 v[38:39], 2, v[38:39]
	v_addc_co_u32_e64 v37, s[2:3], v14, v37, s[2:3]
	v_add_co_u32_e64 v38, s[2:3], s8, v38
	v_lshlrev_b64 v[40:41], 2, v[40:41]
	v_addc_co_u32_e64 v39, s[2:3], v14, v39, s[2:3]
	;; [unrolled: 3-line block ×3, first 2 shown]
	v_add_co_u32_e64 v42, s[2:3], s8, v42
	v_addc_co_u32_e64 v43, s[2:3], v14, v43, s[2:3]
	global_load_dword v15, v[36:37], off
	global_load_dword v23, v[38:39], off
	;; [unrolled: 1-line block ×4, first 2 shown]
	s_waitcnt vmcnt(7)
	v_perm_b32 v36, v17, v16, s6
	v_perm_b32 v37, v19, v18, s21
	v_perm_b32 v38, v17, v16, s22
	v_perm_b32 v39, v19, v18, s23
	v_perm_b32 v40, v17, v16, s24
	v_perm_b32 v41, v19, v18, s25
	v_perm_b32 v16, v17, v16, s26
	v_perm_b32 v17, v19, v18, s27
	s_waitcnt vmcnt(6)
	v_perm_b32 v18, v25, v24, s6
	v_perm_b32 v19, v27, v26, s21
	v_perm_b32 v42, v25, v24, s22
	v_perm_b32 v43, v27, v26, s23
	v_perm_b32 v46, v25, v24, s24
	v_perm_b32 v47, v27, v26, s25
	v_perm_b32 v24, v25, v24, s26
	v_perm_b32 v25, v27, v26, s27
	;; [unrolled: 9-line block ×4, first 2 shown]
	v_or_b32_e32 v34, v37, v36
	v_or_b32_e32 v35, v39, v38
	;; [unrolled: 1-line block ×16, first 2 shown]
	s_waitcnt vmcnt(3)
	v_dot4c_i32_i8_e32 v22, v15, v34
	v_dot4c_i32_i8_e32 v21, v35, v15
	v_dot4c_i32_i8_e32 v20, v36, v15
	v_dot4c_i32_i8_e32 v1, v16, v15
	s_waitcnt vmcnt(2)
	v_dot4c_i32_i8_e32 v22, v23, v17
	v_dot4c_i32_i8_e32 v21, v18, v23
	v_dot4c_i32_i8_e32 v20, v19, v23
	v_dot4c_i32_i8_e32 v1, v24, v23
	;; [unrolled: 5-line block ×4, first 2 shown]
	s_andn2_b64 exec, exec, s[18:19]
	s_cbranch_execnz .LBB72_35
; %bb.36:
	s_or_b64 exec, exec, s[18:19]
.LBB72_37:
	s_or_b64 exec, exec, s[14:15]
	v_and_b32_e32 v8, 3, v12
	v_mov_b32_e32 v9, 0
	s_mov_b64 s[14:15], 0
	v_cmp_ne_u64_e32 vcc, 0, v[8:9]
	s_and_saveexec_b64 s[2:3], vcc
	s_cbranch_execz .LBB72_41
; %bb.38:
	v_lshlrev_b64 v[6:7], 3, v[6:7]
	v_mov_b32_e32 v10, s13
	v_add_co_u32_e32 v6, vcc, s12, v6
	v_addc_co_u32_e32 v7, vcc, v10, v7, vcc
	v_lshlrev_b32_e32 v8, 1, v8
	v_mov_b32_e32 v10, s7
	v_mov_b32_e32 v11, s9
	s_mov_b32 s6, 0xc0c0400
	s_mov_b32 s7, 0x4000c0c
	;; [unrolled: 1-line block ×8, first 2 shown]
	s_movk_i32 s22, 0x100
.LBB72_39:                              ; =>This Inner Loop Header: Depth=1
	global_load_dwordx2 v[16:17], v[6:7], off
	global_load_dwordx4 v[12:15], v[2:3], off
	v_add_co_u32_e64 v8, s[0:1], -2, v8
	v_addc_co_u32_e64 v9, s[0:1], -1, v9, s[0:1]
	v_cmp_eq_u64_e64 s[0:1], 0, v[8:9]
	s_or_b64 s[14:15], s[0:1], s[14:15]
	s_waitcnt vmcnt(1)
	v_subrev_co_u32_e32 v16, vcc, s16, v16
	v_subb_co_u32_e32 v17, vcc, v17, v10, vcc
	v_lshlrev_b64 v[16:17], 2, v[16:17]
	v_add_co_u32_e32 v16, vcc, s8, v16
	v_addc_co_u32_e32 v17, vcc, v11, v17, vcc
	global_load_dword v16, v[16:17], off
	v_add_co_u32_e32 v2, vcc, s22, v2
	v_addc_co_u32_e32 v3, vcc, 0, v3, vcc
	s_waitcnt vmcnt(1)
	v_perm_b32 v17, v13, v12, s6
	v_perm_b32 v18, v15, v14, s7
	;; [unrolled: 1-line block ×8, first 2 shown]
	v_add_co_u32_e32 v6, vcc, 0x80, v6
	v_or_b32_e32 v14, v18, v17
	v_or_b32_e32 v15, v23, v19
	;; [unrolled: 1-line block ×4, first 2 shown]
	v_addc_co_u32_e32 v7, vcc, 0, v7, vcc
	s_waitcnt vmcnt(0)
	v_dot4c_i32_i8_e32 v22, v16, v14
	v_dot4c_i32_i8_e32 v21, v15, v16
	;; [unrolled: 1-line block ×4, first 2 shown]
	s_andn2_b64 exec, exec, s[14:15]
	s_cbranch_execnz .LBB72_39
; %bb.40:
	s_or_b64 exec, exec, s[14:15]
.LBB72_41:
	s_or_b64 exec, exec, s[2:3]
.LBB72_42:
	s_or_b64 exec, exec, s[10:11]
.LBB72_43:
	v_mov_b32_dpp v2, v22 row_shr:1 row_mask:0xf bank_mask:0xf
	v_mov_b32_dpp v6, v21 row_shr:1 row_mask:0xf bank_mask:0xf
	v_mov_b32_dpp v8, v20 row_shr:1 row_mask:0xf bank_mask:0xf
	v_mov_b32_dpp v10, v1 row_shr:1 row_mask:0xf bank_mask:0xf
	v_add_u32_e32 v2, v2, v22
	v_add_u32_e32 v6, v6, v21
	v_add_u32_e32 v8, v8, v20
	v_add_u32_e32 v1, v10, v1
	v_mov_b32_dpp v3, v2 row_shr:2 row_mask:0xf bank_mask:0xf
	v_mov_b32_dpp v7, v6 row_shr:2 row_mask:0xf bank_mask:0xf
	v_mov_b32_dpp v9, v8 row_shr:2 row_mask:0xf bank_mask:0xf
	v_mov_b32_dpp v10, v1 row_shr:2 row_mask:0xf bank_mask:0xf
	v_add_u32_e32 v2, v2, v3
	v_add_u32_e32 v6, v6, v7
	v_add_u32_e32 v8, v8, v9
	v_add_u32_e32 v1, v1, v10
	;; [unrolled: 8-line block ×3, first 2 shown]
	v_mov_b32_dpp v3, v2 row_shr:8 row_mask:0xf bank_mask:0xc
	v_mov_b32_dpp v7, v6 row_shr:8 row_mask:0xf bank_mask:0xc
	;; [unrolled: 1-line block ×4, first 2 shown]
	v_cmp_eq_u32_e32 vcc, 15, v0
	s_and_b64 exec, exec, vcc
	s_cbranch_execz .LBB72_14
; %bb.44:
	s_load_dwordx2 s[0:1], s[4:5], 0x58
	v_add_u32_e32 v0, v2, v3
	v_add_u32_e32 v2, v6, v7
	;; [unrolled: 1-line block ×4, first 2 shown]
	s_cmp_eq_u32 s20, 0
	v_mul_lo_u32 v0, v0, s17
	v_mul_lo_u32 v8, v2, s17
	;; [unrolled: 1-line block ×4, first 2 shown]
	v_lshlrev_b64 v[4:5], 4, v[4:5]
	s_cbranch_scc1 .LBB72_46
; %bb.45:
	s_waitcnt lgkmcnt(0)
	v_mov_b32_e32 v1, s1
	v_add_co_u32_e32 v18, vcc, s0, v4
	v_addc_co_u32_e32 v19, vcc, v1, v5, vcc
	global_load_dwordx4 v[10:13], v[18:19], off
	s_waitcnt vmcnt(0)
	v_mad_u64_u32 v[14:15], s[2:3], v10, s20, v[0:1]
	v_mad_u64_u32 v[10:11], s[2:3], v11, s20, v[8:9]
	;; [unrolled: 1-line block ×4, first 2 shown]
	v_mov_b32_e32 v15, v10
	v_mov_b32_e32 v17, v12
	global_store_dwordx4 v[18:19], v[14:17], off
	s_cbranch_execnz .LBB72_14
	s_branch .LBB72_47
.LBB72_46:
.LBB72_47:
	s_waitcnt lgkmcnt(0)
	v_mov_b32_e32 v1, s1
	v_add_co_u32_e32 v4, vcc, s0, v4
	v_addc_co_u32_e32 v5, vcc, v1, v5, vcc
	v_mov_b32_e32 v1, v8
	v_mov_b32_e32 v3, v6
	global_store_dwordx4 v[4:5], v[0:3], off
	s_endpgm
	.section	.rodata,"a",@progbits
	.p2align	6, 0x0
	.amdhsa_kernel _ZN9rocsparseL18bsrxmvn_4x4_kernelILj128ELj16EillaaiEEvT3_20rocsparse_direction_NS_24const_host_device_scalarIT1_EES1_PKS1_PKT2_SA_S7_PKT4_PKT5_S5_PT6_21rocsparse_index_base_b
		.amdhsa_group_segment_fixed_size 0
		.amdhsa_private_segment_fixed_size 0
		.amdhsa_kernarg_size 104
		.amdhsa_user_sgpr_count 6
		.amdhsa_user_sgpr_private_segment_buffer 1
		.amdhsa_user_sgpr_dispatch_ptr 0
		.amdhsa_user_sgpr_queue_ptr 0
		.amdhsa_user_sgpr_kernarg_segment_ptr 1
		.amdhsa_user_sgpr_dispatch_id 0
		.amdhsa_user_sgpr_flat_scratch_init 0
		.amdhsa_user_sgpr_kernarg_preload_length 0
		.amdhsa_user_sgpr_kernarg_preload_offset 0
		.amdhsa_user_sgpr_private_segment_size 0
		.amdhsa_uses_dynamic_stack 0
		.amdhsa_system_sgpr_private_segment_wavefront_offset 0
		.amdhsa_system_sgpr_workgroup_id_x 1
		.amdhsa_system_sgpr_workgroup_id_y 0
		.amdhsa_system_sgpr_workgroup_id_z 0
		.amdhsa_system_sgpr_workgroup_info 0
		.amdhsa_system_vgpr_workitem_id 0
		.amdhsa_next_free_vgpr 58
		.amdhsa_next_free_sgpr 29
		.amdhsa_accum_offset 60
		.amdhsa_reserve_vcc 1
		.amdhsa_reserve_flat_scratch 0
		.amdhsa_float_round_mode_32 0
		.amdhsa_float_round_mode_16_64 0
		.amdhsa_float_denorm_mode_32 3
		.amdhsa_float_denorm_mode_16_64 3
		.amdhsa_dx10_clamp 1
		.amdhsa_ieee_mode 1
		.amdhsa_fp16_overflow 0
		.amdhsa_tg_split 0
		.amdhsa_exception_fp_ieee_invalid_op 0
		.amdhsa_exception_fp_denorm_src 0
		.amdhsa_exception_fp_ieee_div_zero 0
		.amdhsa_exception_fp_ieee_overflow 0
		.amdhsa_exception_fp_ieee_underflow 0
		.amdhsa_exception_fp_ieee_inexact 0
		.amdhsa_exception_int_div_zero 0
	.end_amdhsa_kernel
	.section	.text._ZN9rocsparseL18bsrxmvn_4x4_kernelILj128ELj16EillaaiEEvT3_20rocsparse_direction_NS_24const_host_device_scalarIT1_EES1_PKS1_PKT2_SA_S7_PKT4_PKT5_S5_PT6_21rocsparse_index_base_b,"axG",@progbits,_ZN9rocsparseL18bsrxmvn_4x4_kernelILj128ELj16EillaaiEEvT3_20rocsparse_direction_NS_24const_host_device_scalarIT1_EES1_PKS1_PKT2_SA_S7_PKT4_PKT5_S5_PT6_21rocsparse_index_base_b,comdat
.Lfunc_end72:
	.size	_ZN9rocsparseL18bsrxmvn_4x4_kernelILj128ELj16EillaaiEEvT3_20rocsparse_direction_NS_24const_host_device_scalarIT1_EES1_PKS1_PKT2_SA_S7_PKT4_PKT5_S5_PT6_21rocsparse_index_base_b, .Lfunc_end72-_ZN9rocsparseL18bsrxmvn_4x4_kernelILj128ELj16EillaaiEEvT3_20rocsparse_direction_NS_24const_host_device_scalarIT1_EES1_PKS1_PKT2_SA_S7_PKT4_PKT5_S5_PT6_21rocsparse_index_base_b
                                        ; -- End function
	.section	.AMDGPU.csdata,"",@progbits
; Kernel info:
; codeLenInByte = 3452
; NumSgprs: 33
; NumVgprs: 58
; NumAgprs: 0
; TotalNumVgprs: 58
; ScratchSize: 0
; MemoryBound: 0
; FloatMode: 240
; IeeeMode: 1
; LDSByteSize: 0 bytes/workgroup (compile time only)
; SGPRBlocks: 4
; VGPRBlocks: 7
; NumSGPRsForWavesPerEU: 33
; NumVGPRsForWavesPerEU: 58
; AccumOffset: 60
; Occupancy: 8
; WaveLimiterHint : 1
; COMPUTE_PGM_RSRC2:SCRATCH_EN: 0
; COMPUTE_PGM_RSRC2:USER_SGPR: 6
; COMPUTE_PGM_RSRC2:TRAP_HANDLER: 0
; COMPUTE_PGM_RSRC2:TGID_X_EN: 1
; COMPUTE_PGM_RSRC2:TGID_Y_EN: 0
; COMPUTE_PGM_RSRC2:TGID_Z_EN: 0
; COMPUTE_PGM_RSRC2:TIDIG_COMP_CNT: 0
; COMPUTE_PGM_RSRC3_GFX90A:ACCUM_OFFSET: 14
; COMPUTE_PGM_RSRC3_GFX90A:TG_SPLIT: 0
	.section	.text._ZN9rocsparseL18bsrxmvn_4x4_kernelILj128ELj32EillaaiEEvT3_20rocsparse_direction_NS_24const_host_device_scalarIT1_EES1_PKS1_PKT2_SA_S7_PKT4_PKT5_S5_PT6_21rocsparse_index_base_b,"axG",@progbits,_ZN9rocsparseL18bsrxmvn_4x4_kernelILj128ELj32EillaaiEEvT3_20rocsparse_direction_NS_24const_host_device_scalarIT1_EES1_PKS1_PKT2_SA_S7_PKT4_PKT5_S5_PT6_21rocsparse_index_base_b,comdat
	.globl	_ZN9rocsparseL18bsrxmvn_4x4_kernelILj128ELj32EillaaiEEvT3_20rocsparse_direction_NS_24const_host_device_scalarIT1_EES1_PKS1_PKT2_SA_S7_PKT4_PKT5_S5_PT6_21rocsparse_index_base_b ; -- Begin function _ZN9rocsparseL18bsrxmvn_4x4_kernelILj128ELj32EillaaiEEvT3_20rocsparse_direction_NS_24const_host_device_scalarIT1_EES1_PKS1_PKT2_SA_S7_PKT4_PKT5_S5_PT6_21rocsparse_index_base_b
	.p2align	8
	.type	_ZN9rocsparseL18bsrxmvn_4x4_kernelILj128ELj32EillaaiEEvT3_20rocsparse_direction_NS_24const_host_device_scalarIT1_EES1_PKS1_PKT2_SA_S7_PKT4_PKT5_S5_PT6_21rocsparse_index_base_b,@function
_ZN9rocsparseL18bsrxmvn_4x4_kernelILj128ELj32EillaaiEEvT3_20rocsparse_direction_NS_24const_host_device_scalarIT1_EES1_PKS1_PKT2_SA_S7_PKT4_PKT5_S5_PT6_21rocsparse_index_base_b: ; @_ZN9rocsparseL18bsrxmvn_4x4_kernelILj128ELj32EillaaiEEvT3_20rocsparse_direction_NS_24const_host_device_scalarIT1_EES1_PKS1_PKT2_SA_S7_PKT4_PKT5_S5_PT6_21rocsparse_index_base_b
; %bb.0:
	s_load_dwordx2 s[16:17], s[4:5], 0x60
	s_load_dwordx4 s[0:3], s[4:5], 0x10
	s_mov_b64 s[12:13], -1
	s_waitcnt lgkmcnt(0)
	s_bitcmp1_b32 s17, 0
	s_cselect_b64 s[8:9], -1, 0
	s_xor_b64 s[10:11], s[8:9], -1
	s_and_b64 vcc, exec, s[10:11]
                                        ; implicit-def: $sgpr17
	s_cbranch_vccnz .LBB73_4
; %bb.1:
	s_load_dwordx2 s[8:9], s[4:5], 0x50
	s_andn2_b64 vcc, exec, s[12:13]
	s_cbranch_vccz .LBB73_5
.LBB73_2:
	s_and_b64 vcc, exec, s[10:11]
	s_cbranch_vccz .LBB73_6
.LBB73_3:
	s_waitcnt lgkmcnt(0)
	s_load_dword s20, s[8:9], 0x0
	s_cbranch_execz .LBB73_7
	s_branch .LBB73_8
.LBB73_4:
	s_load_dword s17, s[0:1], 0x0
	s_load_dwordx2 s[8:9], s[4:5], 0x50
	s_cbranch_execnz .LBB73_2
.LBB73_5:
	s_waitcnt lgkmcnt(0)
	s_mov_b32 s17, s0
	s_and_b64 vcc, exec, s[10:11]
	s_cbranch_vccnz .LBB73_3
.LBB73_6:
                                        ; implicit-def: $sgpr20
.LBB73_7:
	s_waitcnt lgkmcnt(0)
	s_mov_b32 s20, s8
.LBB73_8:
	s_waitcnt lgkmcnt(0)
	s_cmp_lg_u32 s17, 0
	s_cselect_b64 s[0:1], -1, 0
	s_cmp_lg_u32 s20, 1
	s_cselect_b64 s[8:9], -1, 0
	s_or_b64 s[0:1], s[0:1], s[8:9]
	s_andn2_b64 vcc, exec, s[0:1]
	s_cbranch_vccnz .LBB73_14
; %bb.9:
	s_load_dwordx2 s[8:9], s[4:5], 0x20
	v_lshrrev_b32_e32 v1, 5, v0
	v_lshl_or_b32 v2, s6, 2, v1
	v_mov_b32_e32 v3, 0
	s_mov_b64 s[0:1], 0
	s_waitcnt lgkmcnt(0)
	s_cmp_lg_u64 s[8:9], 0
	s_cbranch_scc0 .LBB73_15
; %bb.10:
	v_cmp_gt_i64_e32 vcc, s[2:3], v[2:3]
                                        ; implicit-def: $vgpr4_vgpr5
	s_and_saveexec_b64 s[2:3], vcc
	s_xor_b64 s[2:3], exec, s[2:3]
                                        ; implicit-def: $sgpr6_sgpr7
	s_cbranch_execz .LBB73_12
; %bb.11:
	v_lshlrev_b64 v[4:5], 3, v[2:3]
	v_mov_b32_e32 v1, s9
	v_add_co_u32_e32 v4, vcc, s8, v4
	v_addc_co_u32_e32 v5, vcc, v1, v5, vcc
	global_load_dwordx2 v[4:5], v[4:5], off
	s_mov_b64 s[0:1], exec
	s_mov_b32 s7, 0
	s_waitcnt vmcnt(0)
	v_subrev_co_u32_e32 v4, vcc, s16, v4
	v_subbrev_co_u32_e32 v5, vcc, 0, v5, vcc
.LBB73_12:
	s_or_b64 exec, exec, s[2:3]
.LBB73_13:
	s_and_saveexec_b64 s[2:3], s[0:1]
	s_cbranch_execnz .LBB73_19
.LBB73_14:
	s_endpgm
.LBB73_15:
                                        ; implicit-def: $vgpr4_vgpr5
                                        ; implicit-def: $sgpr6_sgpr7
	s_cbranch_execz .LBB73_13
; %bb.16:
	s_load_dwordx2 s[2:3], s[4:5], 0x0
                                        ; implicit-def: $vgpr4_vgpr5
	s_waitcnt lgkmcnt(0)
	v_cmp_gt_i64_e32 vcc, s[2:3], v[2:3]
	s_and_saveexec_b64 s[2:3], vcc
                                        ; implicit-def: $sgpr6_sgpr7
; %bb.17:
	s_mov_b32 s7, 0
	s_or_b64 s[0:1], s[0:1], exec
	v_pk_mov_b32 v[4:5], v[2:3], v[2:3] op_sel:[0,1]
; %bb.18:
	s_or_b64 exec, exec, s[2:3]
	s_and_saveexec_b64 s[2:3], s[0:1]
	s_cbranch_execz .LBB73_14
.LBB73_19:
	s_load_dwordx8 s[8:15], s[4:5], 0x28
	v_lshlrev_b64 v[2:3], 3, v[4:5]
	v_mov_b32_e32 v11, s7
	v_and_b32_e32 v0, 31, v0
	s_waitcnt lgkmcnt(0)
	v_mov_b32_e32 v1, s9
	v_add_co_u32_e32 v6, vcc, s8, v2
	v_addc_co_u32_e32 v7, vcc, v1, v3, vcc
	v_add_co_u32_e32 v1, vcc, 8, v6
	global_load_dwordx2 v[8:9], v[6:7], off
	v_addc_co_u32_e32 v6, vcc, 0, v7, vcc
	v_mov_b32_e32 v7, s11
	v_add_co_u32_e32 v2, vcc, s10, v2
	s_cmp_eq_u64 s[10:11], 0
	v_addc_co_u32_e32 v3, vcc, v7, v3, vcc
	s_cselect_b64 vcc, -1, 0
	v_cndmask_b32_e32 v3, v3, v6, vcc
	v_cndmask_b32_e32 v2, v2, v1, vcc
	global_load_dwordx2 v[2:3], v[2:3], off
	s_load_dwordx2 s[8:9], s[4:5], 0x48
	s_load_dword s0, s[4:5], 0x8
	v_mov_b32_e32 v12, s15
	v_mov_b32_e32 v1, 0
	s_waitcnt lgkmcnt(0)
	s_cmp_eq_u32 s0, 1
	s_waitcnt vmcnt(1)
	v_subrev_co_u32_e32 v6, vcc, s16, v8
	v_subb_co_u32_e32 v7, vcc, v9, v11, vcc
	v_add_co_u32_e32 v6, vcc, v6, v0
	v_addc_co_u32_e32 v7, vcc, 0, v7, vcc
	s_waitcnt vmcnt(0)
	v_subrev_co_u32_e32 v10, vcc, s16, v2
	v_subb_co_u32_e32 v11, vcc, v3, v11, vcc
	v_lshlrev_b64 v[2:3], 4, v[6:7]
	v_add_co_u32_e32 v2, vcc, s14, v2
	v_addc_co_u32_e32 v3, vcc, v12, v3, vcc
	v_cmp_lt_i64_e64 s[0:1], v[6:7], v[10:11]
	s_cbranch_scc1 .LBB73_31
; %bb.20:
	v_mov_b32_e32 v20, 0
	v_mov_b32_e32 v21, 0
	v_mov_b32_e32 v22, 0
	s_and_saveexec_b64 s[10:11], s[0:1]
	s_cbranch_execz .LBB73_30
; %bb.21:
	v_or_b32_e32 v1, 32, v0
	v_mov_b32_e32 v12, s7
	v_subrev_co_u32_e32 v1, vcc, s16, v1
	v_subb_co_u32_e32 v13, vcc, 0, v12, vcc
	v_add_co_u32_e32 v12, vcc, v1, v8
	v_addc_co_u32_e32 v13, vcc, v13, v9, vcc
	v_cmp_gt_i64_e32 vcc, v[12:13], v[10:11]
	v_cndmask_b32_e32 v1, v11, v13, vcc
	v_cndmask_b32_e32 v12, v10, v12, vcc
	v_mov_b32_e32 v15, s7
	v_sub_co_u32_e32 v16, vcc, s16, v0
	v_not_b32_e32 v14, v8
	v_subbrev_co_u32_e32 v15, vcc, 0, v15, vcc
	v_not_b32_e32 v13, v9
	v_add_co_u32_e32 v14, vcc, v16, v14
	v_addc_co_u32_e32 v13, vcc, v15, v13, vcc
	v_add_co_u32_e32 v12, vcc, v14, v12
	v_addc_co_u32_e32 v13, vcc, v13, v1, vcc
	v_lshrrev_b64 v[14:15], 5, v[12:13]
	v_add_co_u32_e32 v23, vcc, 1, v14
	v_addc_co_u32_e32 v17, vcc, 0, v15, vcc
	s_mov_b64 s[2:3], 0x5f
	v_cmp_lt_u64_e32 vcc, s[2:3], v[12:13]
	v_mov_b32_e32 v22, 0
	v_mov_b32_e32 v21, 0
	;; [unrolled: 1-line block ×4, first 2 shown]
	v_pk_mov_b32 v[14:15], v[6:7], v[6:7] op_sel:[0,1]
	v_pk_mov_b32 v[12:13], v[2:3], v[2:3] op_sel:[0,1]
	s_and_saveexec_b64 s[14:15], vcc
	s_cbranch_execz .LBB73_25
; %bb.22:
	v_lshlrev_b64 v[12:13], 3, v[6:7]
	v_mov_b32_e32 v1, s13
	v_add_co_u32_e32 v12, vcc, s12, v12
	v_addc_co_u32_e32 v1, vcc, v13, v1, vcc
	v_add_co_u32_e32 v18, vcc, 0x200, v12
	v_and_b32_e32 v16, -4, v23
	v_addc_co_u32_e32 v19, vcc, 0, v1, vcc
	s_mov_b64 s[18:19], 0
	v_mov_b32_e32 v1, 0
	v_mov_b32_e32 v24, s7
	;; [unrolled: 1-line block ×3, first 2 shown]
	s_movk_i32 s6, 0x800
	s_movk_i32 s21, 0x80
	v_pk_mov_b32 v[12:13], v[2:3], v[2:3] op_sel:[0,1]
	v_pk_mov_b32 v[14:15], v[6:7], v[6:7] op_sel:[0,1]
	v_mov_b32_e32 v20, 0
	v_mov_b32_e32 v21, 0
	;; [unrolled: 1-line block ×3, first 2 shown]
.LBB73_23:                              ; =>This Inner Loop Header: Depth=1
	global_load_dwordx2 v[42:43], v[18:19], off offset:-512
	global_load_dwordx2 v[44:45], v[18:19], off offset:-256
	global_load_dwordx2 v[46:47], v[18:19], off
	global_load_dwordx2 v[48:49], v[18:19], off offset:256
	global_load_dwordx4 v[26:29], v[12:13], off
	global_load_dwordx4 v[30:33], v[12:13], off offset:512
	global_load_dwordx4 v[34:37], v[12:13], off offset:1024
	;; [unrolled: 1-line block ×3, first 2 shown]
	v_add_co_u32_e64 v16, s[2:3], -4, v16
	v_addc_co_u32_e64 v17, s[2:3], -1, v17, s[2:3]
	v_cmp_eq_u64_e64 s[2:3], 0, v[16:17]
	s_or_b64 s[18:19], s[2:3], s[18:19]
	s_waitcnt vmcnt(7)
	v_subrev_co_u32_e32 v42, vcc, s16, v42
	v_subb_co_u32_e32 v43, vcc, v43, v24, vcc
	s_waitcnt vmcnt(6)
	v_subrev_co_u32_e32 v44, vcc, s16, v44
	v_subb_co_u32_e32 v45, vcc, v45, v24, vcc
	;; [unrolled: 3-line block ×4, first 2 shown]
	v_lshlrev_b64 v[42:43], 2, v[42:43]
	v_add_co_u32_e32 v42, vcc, s8, v42
	v_lshlrev_b64 v[44:45], 2, v[44:45]
	v_addc_co_u32_e32 v43, vcc, v25, v43, vcc
	v_add_co_u32_e32 v44, vcc, s8, v44
	v_lshlrev_b64 v[46:47], 2, v[46:47]
	v_addc_co_u32_e32 v45, vcc, v25, v45, vcc
	;; [unrolled: 3-line block ×3, first 2 shown]
	v_add_co_u32_e32 v48, vcc, s8, v48
	v_addc_co_u32_e32 v49, vcc, v25, v49, vcc
	global_load_dword v50, v[42:43], off
	global_load_dword v51, v[44:45], off
	;; [unrolled: 1-line block ×4, first 2 shown]
	v_add_co_u32_e32 v12, vcc, s6, v12
	s_waitcnt vmcnt(7)
	v_lshrrev_b16_e32 v42, 8, v26
	s_waitcnt vmcnt(6)
	v_lshrrev_b16_e32 v43, 8, v30
	;; [unrolled: 2-line block ×3, first 2 shown]
	v_addc_co_u32_e32 v13, vcc, 0, v13, vcc
	s_waitcnt vmcnt(4)
	v_lshrrev_b16_e32 v45, 8, v38
	v_bfe_i32 v42, v42, 0, 8
	v_bfe_i32 v43, v43, 0, 8
	;; [unrolled: 1-line block ×3, first 2 shown]
	v_add_co_u32_e32 v14, vcc, s21, v14
	v_bfe_i32 v45, v45, 0, 8
	v_addc_co_u32_e32 v15, vcc, 0, v15, vcc
	v_add_co_u32_e32 v18, vcc, 0x400, v18
	v_addc_co_u32_e32 v19, vcc, 0, v19, vcc
	s_waitcnt vmcnt(3)
	v_lshrrev_b16_e32 v46, 8, v50
	v_dot4c_i32_i8_e32 v21, v50, v27
	s_waitcnt vmcnt(2)
	v_lshrrev_b16_e32 v27, 8, v51
	s_waitcnt vmcnt(1)
	v_lshrrev_b16_e32 v49, 8, v52
	v_mul_i32_i24_sdwa v47, sext(v50), sext(v26) dst_sel:DWORD dst_unused:UNUSED_PAD src0_sel:BYTE_0 src1_sel:BYTE_0
	v_mul_i32_i24_sdwa v48, sext(v50), sext(v26) dst_sel:DWORD dst_unused:UNUSED_PAD src0_sel:BYTE_2 src1_sel:BYTE_2
	v_mul_i32_i24_sdwa v26, sext(v50), sext(v26) dst_sel:DWORD dst_unused:UNUSED_PAD src0_sel:BYTE_3 src1_sel:BYTE_3
	v_dot4c_i32_i8_e32 v20, v50, v28
	v_dot4c_i32_i8_e32 v1, v50, v29
	v_mul_i32_i24_sdwa v28, sext(v51), sext(v30) dst_sel:DWORD dst_unused:UNUSED_PAD src0_sel:BYTE_0 src1_sel:BYTE_0
	v_mul_i32_i24_sdwa v29, sext(v51), sext(v30) dst_sel:DWORD dst_unused:UNUSED_PAD src0_sel:BYTE_2 src1_sel:BYTE_2
	v_mul_i32_i24_sdwa v30, sext(v51), sext(v30) dst_sel:DWORD dst_unused:UNUSED_PAD src0_sel:BYTE_3 src1_sel:BYTE_3
	v_mul_i32_i24_sdwa v50, sext(v52), sext(v34) dst_sel:DWORD dst_unused:UNUSED_PAD src0_sel:BYTE_0 src1_sel:BYTE_0
	v_mul_i32_i24_sdwa v54, sext(v52), sext(v34) dst_sel:DWORD dst_unused:UNUSED_PAD src0_sel:BYTE_2 src1_sel:BYTE_2
	v_mul_i32_i24_sdwa v34, sext(v52), sext(v34) dst_sel:DWORD dst_unused:UNUSED_PAD src0_sel:BYTE_3 src1_sel:BYTE_3
	s_waitcnt vmcnt(0)
	v_lshrrev_b16_e32 v55, 8, v53
	v_bfe_i32 v46, v46, 0, 8
	v_bfe_i32 v27, v27, 0, 8
	v_dot4c_i32_i8_e32 v21, v51, v31
	v_bfe_i32 v31, v49, 0, 8
	v_mul_i32_i24_sdwa v56, sext(v53), sext(v38) dst_sel:DWORD dst_unused:UNUSED_PAD src0_sel:BYTE_0 src1_sel:BYTE_0
	v_mul_i32_i24_sdwa v57, sext(v53), sext(v38) dst_sel:DWORD dst_unused:UNUSED_PAD src0_sel:BYTE_2 src1_sel:BYTE_2
	v_mul_i32_i24_sdwa v38, sext(v53), sext(v38) dst_sel:DWORD dst_unused:UNUSED_PAD src0_sel:BYTE_3 src1_sel:BYTE_3
	v_dot4c_i32_i8_e32 v20, v51, v32
	v_bfe_i32 v32, v55, 0, 8
	v_mad_i32_i24 v26, v46, v42, v26
	v_mad_i32_i24 v27, v27, v43, v30
	;; [unrolled: 1-line block ×3, first 2 shown]
	v_dot4c_i32_i8_e32 v1, v51, v33
	v_mad_i32_i24 v31, v32, v45, v38
	v_add3_u32 v26, v47, v48, v26
	v_add3_u32 v27, v28, v29, v27
	;; [unrolled: 1-line block ×3, first 2 shown]
	v_dot4c_i32_i8_e32 v21, v52, v35
	v_dot4c_i32_i8_e32 v20, v52, v36
	;; [unrolled: 1-line block ×3, first 2 shown]
	v_add3_u32 v29, v56, v57, v31
	v_add3_u32 v26, v26, v27, v28
	v_dot4c_i32_i8_e32 v21, v53, v39
	v_dot4c_i32_i8_e32 v20, v53, v40
	;; [unrolled: 1-line block ×3, first 2 shown]
	v_add3_u32 v22, v26, v29, v22
	s_andn2_b64 exec, exec, s[18:19]
	s_cbranch_execnz .LBB73_23
; %bb.24:
	s_or_b64 exec, exec, s[18:19]
.LBB73_25:
	s_or_b64 exec, exec, s[14:15]
	v_and_b32_e32 v16, 3, v23
	v_mov_b32_e32 v17, 0
	s_mov_b64 s[18:19], 0
	v_cmp_ne_u64_e32 vcc, 0, v[16:17]
	s_and_saveexec_b64 s[14:15], vcc
	s_cbranch_execz .LBB73_29
; %bb.26:
	v_lshlrev_b64 v[14:15], 3, v[14:15]
	v_mov_b32_e32 v18, s13
	v_add_co_u32_e32 v14, vcc, s12, v14
	v_addc_co_u32_e32 v15, vcc, v18, v15, vcc
	v_lshlrev_b32_e32 v16, 1, v16
	v_mov_b32_e32 v18, s7
	v_mov_b32_e32 v19, s9
	s_movk_i32 s6, 0x200
.LBB73_27:                              ; =>This Inner Loop Header: Depth=1
	global_load_dwordx2 v[28:29], v[14:15], off
	global_load_dwordx4 v[24:27], v[12:13], off
	v_add_co_u32_e64 v16, s[2:3], -2, v16
	v_addc_co_u32_e64 v17, s[2:3], -1, v17, s[2:3]
	v_cmp_eq_u64_e64 s[2:3], 0, v[16:17]
	s_or_b64 s[18:19], s[2:3], s[18:19]
	s_waitcnt vmcnt(1)
	v_subrev_co_u32_e32 v28, vcc, s16, v28
	v_subb_co_u32_e32 v29, vcc, v29, v18, vcc
	v_lshlrev_b64 v[28:29], 2, v[28:29]
	v_add_co_u32_e32 v28, vcc, s8, v28
	v_addc_co_u32_e32 v29, vcc, v19, v29, vcc
	global_load_dword v23, v[28:29], off
	v_add_co_u32_e32 v12, vcc, s6, v12
	s_waitcnt vmcnt(1)
	v_lshrrev_b16_e32 v28, 8, v24
	v_addc_co_u32_e32 v13, vcc, 0, v13, vcc
	v_bfe_i32 v29, v24, 0, 8
	v_bfe_i32 v28, v28, 0, 8
	v_add_co_u32_e32 v14, vcc, 0x100, v14
	v_addc_co_u32_e32 v15, vcc, 0, v15, vcc
	s_waitcnt vmcnt(0)
	v_lshrrev_b16_e32 v30, 8, v23
	v_bfe_i32 v31, v23, 0, 8
	v_mul_i32_i24_sdwa v32, sext(v23), sext(v24) dst_sel:DWORD dst_unused:UNUSED_PAD src0_sel:BYTE_2 src1_sel:BYTE_2
	v_mul_i32_i24_sdwa v24, sext(v23), sext(v24) dst_sel:DWORD dst_unused:UNUSED_PAD src0_sel:BYTE_3 src1_sel:BYTE_3
	v_dot4c_i32_i8_e32 v21, v23, v25
	v_dot4c_i32_i8_e32 v20, v23, v26
	;; [unrolled: 1-line block ×3, first 2 shown]
	v_bfe_i32 v23, v30, 0, 8
	v_mad_i32_i24 v25, v31, v29, v32
	v_mad_i32_i24 v23, v23, v28, v24
	v_add3_u32 v22, v25, v23, v22
	s_andn2_b64 exec, exec, s[18:19]
	s_cbranch_execnz .LBB73_27
; %bb.28:
	s_or_b64 exec, exec, s[18:19]
.LBB73_29:
	s_or_b64 exec, exec, s[14:15]
.LBB73_30:
	s_or_b64 exec, exec, s[10:11]
	s_cbranch_execz .LBB73_32
	s_branch .LBB73_43
.LBB73_31:
                                        ; implicit-def: $vgpr1
                                        ; implicit-def: $vgpr20
                                        ; implicit-def: $vgpr21
                                        ; implicit-def: $vgpr22
.LBB73_32:
	v_mov_b32_e32 v1, 0
	v_mov_b32_e32 v20, 0
	;; [unrolled: 1-line block ×4, first 2 shown]
	s_and_saveexec_b64 s[10:11], s[0:1]
	s_cbranch_execz .LBB73_42
; %bb.33:
	v_or_b32_e32 v1, 32, v0
	v_mov_b32_e32 v12, s7
	v_subrev_co_u32_e32 v1, vcc, s16, v1
	v_subb_co_u32_e32 v13, vcc, 0, v12, vcc
	v_add_co_u32_e32 v12, vcc, v1, v8
	v_addc_co_u32_e32 v13, vcc, v13, v9, vcc
	v_cmp_gt_i64_e32 vcc, v[12:13], v[10:11]
	v_cndmask_b32_e32 v1, v11, v13, vcc
	v_cndmask_b32_e32 v10, v10, v12, vcc
	v_mov_b32_e32 v11, s7
	v_sub_co_u32_e32 v12, vcc, s16, v0
	v_not_b32_e32 v8, v8
	v_subbrev_co_u32_e32 v11, vcc, 0, v11, vcc
	v_not_b32_e32 v9, v9
	v_add_co_u32_e32 v8, vcc, v12, v8
	v_addc_co_u32_e32 v9, vcc, v11, v9, vcc
	v_add_co_u32_e32 v10, vcc, v8, v10
	v_addc_co_u32_e32 v11, vcc, v9, v1, vcc
	v_lshrrev_b64 v[8:9], 5, v[10:11]
	v_add_co_u32_e32 v12, vcc, 1, v8
	v_addc_co_u32_e32 v9, vcc, 0, v9, vcc
	s_mov_b64 s[0:1], 0x5f
	v_cmp_lt_u64_e32 vcc, s[0:1], v[10:11]
	v_mov_b32_e32 v22, 0
	v_mov_b32_e32 v21, 0
	;; [unrolled: 1-line block ×4, first 2 shown]
	s_and_saveexec_b64 s[14:15], vcc
	s_cbranch_execz .LBB73_37
; %bb.34:
	v_lshlrev_b64 v[10:11], 3, v[6:7]
	v_mov_b32_e32 v1, s13
	v_add_co_u32_e32 v10, vcc, s12, v10
	v_addc_co_u32_e32 v1, vcc, v11, v1, vcc
	v_add_co_u32_e32 v10, vcc, 0x200, v10
	v_and_b32_e32 v8, -4, v12
	v_addc_co_u32_e32 v11, vcc, 0, v1, vcc
	s_mov_b64 s[18:19], 0
	v_mov_b32_e32 v1, 0
	v_mov_b32_e32 v13, s7
	;; [unrolled: 1-line block ×3, first 2 shown]
	s_mov_b32 s6, 0xc0c0400
	s_mov_b32 s21, 0x4000c0c
	;; [unrolled: 1-line block ×8, first 2 shown]
	s_movk_i32 s28, 0x800
	s_movk_i32 s29, 0x80
	v_mov_b32_e32 v20, 0
	v_mov_b32_e32 v21, 0
	;; [unrolled: 1-line block ×3, first 2 shown]
.LBB73_35:                              ; =>This Inner Loop Header: Depth=1
	global_load_dwordx2 v[36:37], v[10:11], off offset:-512
	global_load_dwordx2 v[38:39], v[10:11], off offset:-256
	global_load_dwordx2 v[40:41], v[10:11], off
	global_load_dwordx2 v[42:43], v[10:11], off offset:256
	global_load_dwordx4 v[16:19], v[2:3], off
	global_load_dwordx4 v[24:27], v[2:3], off offset:512
	global_load_dwordx4 v[28:31], v[2:3], off offset:1024
	;; [unrolled: 1-line block ×3, first 2 shown]
	v_add_co_u32_e32 v2, vcc, s28, v2
	v_addc_co_u32_e32 v3, vcc, 0, v3, vcc
	v_add_co_u32_e64 v8, s[0:1], -4, v8
	v_add_co_u32_e32 v6, vcc, s29, v6
	v_addc_co_u32_e64 v9, s[0:1], -1, v9, s[0:1]
	v_addc_co_u32_e32 v7, vcc, 0, v7, vcc
	v_cmp_eq_u64_e64 s[0:1], 0, v[8:9]
	v_add_co_u32_e32 v10, vcc, 0x400, v10
	s_or_b64 s[18:19], s[0:1], s[18:19]
	v_addc_co_u32_e32 v11, vcc, 0, v11, vcc
	s_waitcnt vmcnt(7)
	v_subrev_co_u32_e64 v36, s[2:3], s16, v36
	v_subb_co_u32_e64 v37, s[2:3], v37, v13, s[2:3]
	s_waitcnt vmcnt(6)
	v_subrev_co_u32_e64 v38, s[2:3], s16, v38
	v_subb_co_u32_e64 v39, s[2:3], v39, v13, s[2:3]
	s_waitcnt vmcnt(5)
	v_subrev_co_u32_e64 v40, s[2:3], s16, v40
	v_subb_co_u32_e64 v41, s[2:3], v41, v13, s[2:3]
	s_waitcnt vmcnt(4)
	v_subrev_co_u32_e64 v42, s[2:3], s16, v42
	v_subb_co_u32_e64 v43, s[2:3], v43, v13, s[2:3]
	v_lshlrev_b64 v[36:37], 2, v[36:37]
	v_add_co_u32_e64 v36, s[2:3], s8, v36
	v_lshlrev_b64 v[38:39], 2, v[38:39]
	v_addc_co_u32_e64 v37, s[2:3], v14, v37, s[2:3]
	v_add_co_u32_e64 v38, s[2:3], s8, v38
	v_lshlrev_b64 v[40:41], 2, v[40:41]
	v_addc_co_u32_e64 v39, s[2:3], v14, v39, s[2:3]
	;; [unrolled: 3-line block ×3, first 2 shown]
	v_add_co_u32_e64 v42, s[2:3], s8, v42
	v_addc_co_u32_e64 v43, s[2:3], v14, v43, s[2:3]
	global_load_dword v15, v[36:37], off
	global_load_dword v23, v[38:39], off
	;; [unrolled: 1-line block ×4, first 2 shown]
	s_waitcnt vmcnt(7)
	v_perm_b32 v36, v17, v16, s6
	v_perm_b32 v37, v19, v18, s21
	v_perm_b32 v38, v17, v16, s22
	v_perm_b32 v39, v19, v18, s23
	v_perm_b32 v40, v17, v16, s24
	v_perm_b32 v41, v19, v18, s25
	v_perm_b32 v16, v17, v16, s26
	v_perm_b32 v17, v19, v18, s27
	s_waitcnt vmcnt(6)
	v_perm_b32 v18, v25, v24, s6
	v_perm_b32 v19, v27, v26, s21
	v_perm_b32 v42, v25, v24, s22
	v_perm_b32 v43, v27, v26, s23
	v_perm_b32 v46, v25, v24, s24
	v_perm_b32 v47, v27, v26, s25
	v_perm_b32 v24, v25, v24, s26
	v_perm_b32 v25, v27, v26, s27
	;; [unrolled: 9-line block ×4, first 2 shown]
	v_or_b32_e32 v34, v37, v36
	v_or_b32_e32 v35, v39, v38
	;; [unrolled: 1-line block ×16, first 2 shown]
	s_waitcnt vmcnt(3)
	v_dot4c_i32_i8_e32 v22, v15, v34
	v_dot4c_i32_i8_e32 v21, v35, v15
	v_dot4c_i32_i8_e32 v20, v36, v15
	v_dot4c_i32_i8_e32 v1, v16, v15
	s_waitcnt vmcnt(2)
	v_dot4c_i32_i8_e32 v22, v23, v17
	v_dot4c_i32_i8_e32 v21, v18, v23
	v_dot4c_i32_i8_e32 v20, v19, v23
	v_dot4c_i32_i8_e32 v1, v24, v23
	;; [unrolled: 5-line block ×4, first 2 shown]
	s_andn2_b64 exec, exec, s[18:19]
	s_cbranch_execnz .LBB73_35
; %bb.36:
	s_or_b64 exec, exec, s[18:19]
.LBB73_37:
	s_or_b64 exec, exec, s[14:15]
	v_and_b32_e32 v8, 3, v12
	v_mov_b32_e32 v9, 0
	s_mov_b64 s[14:15], 0
	v_cmp_ne_u64_e32 vcc, 0, v[8:9]
	s_and_saveexec_b64 s[2:3], vcc
	s_cbranch_execz .LBB73_41
; %bb.38:
	v_lshlrev_b64 v[6:7], 3, v[6:7]
	v_mov_b32_e32 v10, s13
	v_add_co_u32_e32 v6, vcc, s12, v6
	v_addc_co_u32_e32 v7, vcc, v10, v7, vcc
	v_lshlrev_b32_e32 v8, 1, v8
	v_mov_b32_e32 v10, s7
	v_mov_b32_e32 v11, s9
	s_mov_b32 s6, 0xc0c0400
	s_mov_b32 s7, 0x4000c0c
	;; [unrolled: 1-line block ×8, first 2 shown]
	s_movk_i32 s22, 0x200
.LBB73_39:                              ; =>This Inner Loop Header: Depth=1
	global_load_dwordx2 v[16:17], v[6:7], off
	global_load_dwordx4 v[12:15], v[2:3], off
	v_add_co_u32_e64 v8, s[0:1], -2, v8
	v_addc_co_u32_e64 v9, s[0:1], -1, v9, s[0:1]
	v_cmp_eq_u64_e64 s[0:1], 0, v[8:9]
	s_or_b64 s[14:15], s[0:1], s[14:15]
	s_waitcnt vmcnt(1)
	v_subrev_co_u32_e32 v16, vcc, s16, v16
	v_subb_co_u32_e32 v17, vcc, v17, v10, vcc
	v_lshlrev_b64 v[16:17], 2, v[16:17]
	v_add_co_u32_e32 v16, vcc, s8, v16
	v_addc_co_u32_e32 v17, vcc, v11, v17, vcc
	global_load_dword v16, v[16:17], off
	v_add_co_u32_e32 v2, vcc, s22, v2
	v_addc_co_u32_e32 v3, vcc, 0, v3, vcc
	s_waitcnt vmcnt(1)
	v_perm_b32 v17, v13, v12, s6
	v_perm_b32 v18, v15, v14, s7
	;; [unrolled: 1-line block ×8, first 2 shown]
	v_add_co_u32_e32 v6, vcc, 0x100, v6
	v_or_b32_e32 v14, v18, v17
	v_or_b32_e32 v15, v23, v19
	;; [unrolled: 1-line block ×4, first 2 shown]
	v_addc_co_u32_e32 v7, vcc, 0, v7, vcc
	s_waitcnt vmcnt(0)
	v_dot4c_i32_i8_e32 v22, v16, v14
	v_dot4c_i32_i8_e32 v21, v15, v16
	;; [unrolled: 1-line block ×4, first 2 shown]
	s_andn2_b64 exec, exec, s[14:15]
	s_cbranch_execnz .LBB73_39
; %bb.40:
	s_or_b64 exec, exec, s[14:15]
.LBB73_41:
	s_or_b64 exec, exec, s[2:3]
.LBB73_42:
	s_or_b64 exec, exec, s[10:11]
.LBB73_43:
	v_mov_b32_dpp v2, v22 row_shr:1 row_mask:0xf bank_mask:0xf
	v_mov_b32_dpp v6, v21 row_shr:1 row_mask:0xf bank_mask:0xf
	v_mov_b32_dpp v8, v20 row_shr:1 row_mask:0xf bank_mask:0xf
	v_mov_b32_dpp v10, v1 row_shr:1 row_mask:0xf bank_mask:0xf
	v_add_u32_e32 v2, v2, v22
	v_add_u32_e32 v6, v6, v21
	v_add_u32_e32 v8, v8, v20
	v_add_u32_e32 v1, v10, v1
	v_mov_b32_dpp v3, v2 row_shr:2 row_mask:0xf bank_mask:0xf
	v_mov_b32_dpp v7, v6 row_shr:2 row_mask:0xf bank_mask:0xf
	v_mov_b32_dpp v9, v8 row_shr:2 row_mask:0xf bank_mask:0xf
	v_mov_b32_dpp v10, v1 row_shr:2 row_mask:0xf bank_mask:0xf
	v_add_u32_e32 v2, v2, v3
	v_add_u32_e32 v6, v6, v7
	v_add_u32_e32 v8, v8, v9
	v_add_u32_e32 v1, v1, v10
	;; [unrolled: 8-line block ×4, first 2 shown]
	v_mov_b32_dpp v3, v2 row_bcast:15 row_mask:0xa bank_mask:0xf
	v_mov_b32_dpp v7, v6 row_bcast:15 row_mask:0xa bank_mask:0xf
	;; [unrolled: 1-line block ×4, first 2 shown]
	v_cmp_eq_u32_e32 vcc, 31, v0
	s_and_b64 exec, exec, vcc
	s_cbranch_execz .LBB73_14
; %bb.44:
	s_load_dwordx2 s[0:1], s[4:5], 0x58
	v_add_u32_e32 v0, v2, v3
	v_add_u32_e32 v2, v6, v7
	;; [unrolled: 1-line block ×4, first 2 shown]
	s_cmp_eq_u32 s20, 0
	v_mul_lo_u32 v0, v0, s17
	v_mul_lo_u32 v8, v2, s17
	;; [unrolled: 1-line block ×4, first 2 shown]
	v_lshlrev_b64 v[4:5], 4, v[4:5]
	s_cbranch_scc1 .LBB73_46
; %bb.45:
	s_waitcnt lgkmcnt(0)
	v_mov_b32_e32 v1, s1
	v_add_co_u32_e32 v18, vcc, s0, v4
	v_addc_co_u32_e32 v19, vcc, v1, v5, vcc
	global_load_dwordx4 v[10:13], v[18:19], off
	s_waitcnt vmcnt(0)
	v_mad_u64_u32 v[14:15], s[2:3], v10, s20, v[0:1]
	v_mad_u64_u32 v[10:11], s[2:3], v11, s20, v[8:9]
	v_mad_u64_u32 v[16:17], s[2:3], v12, s20, v[2:3]
	v_mad_u64_u32 v[12:13], s[2:3], v13, s20, v[6:7]
	v_mov_b32_e32 v15, v10
	v_mov_b32_e32 v17, v12
	global_store_dwordx4 v[18:19], v[14:17], off
	s_cbranch_execnz .LBB73_14
	s_branch .LBB73_47
.LBB73_46:
.LBB73_47:
	s_waitcnt lgkmcnt(0)
	v_mov_b32_e32 v1, s1
	v_add_co_u32_e32 v4, vcc, s0, v4
	v_addc_co_u32_e32 v5, vcc, v1, v5, vcc
	v_mov_b32_e32 v1, v8
	v_mov_b32_e32 v3, v6
	global_store_dwordx4 v[4:5], v[0:3], off
	s_endpgm
	.section	.rodata,"a",@progbits
	.p2align	6, 0x0
	.amdhsa_kernel _ZN9rocsparseL18bsrxmvn_4x4_kernelILj128ELj32EillaaiEEvT3_20rocsparse_direction_NS_24const_host_device_scalarIT1_EES1_PKS1_PKT2_SA_S7_PKT4_PKT5_S5_PT6_21rocsparse_index_base_b
		.amdhsa_group_segment_fixed_size 0
		.amdhsa_private_segment_fixed_size 0
		.amdhsa_kernarg_size 104
		.amdhsa_user_sgpr_count 6
		.amdhsa_user_sgpr_private_segment_buffer 1
		.amdhsa_user_sgpr_dispatch_ptr 0
		.amdhsa_user_sgpr_queue_ptr 0
		.amdhsa_user_sgpr_kernarg_segment_ptr 1
		.amdhsa_user_sgpr_dispatch_id 0
		.amdhsa_user_sgpr_flat_scratch_init 0
		.amdhsa_user_sgpr_kernarg_preload_length 0
		.amdhsa_user_sgpr_kernarg_preload_offset 0
		.amdhsa_user_sgpr_private_segment_size 0
		.amdhsa_uses_dynamic_stack 0
		.amdhsa_system_sgpr_private_segment_wavefront_offset 0
		.amdhsa_system_sgpr_workgroup_id_x 1
		.amdhsa_system_sgpr_workgroup_id_y 0
		.amdhsa_system_sgpr_workgroup_id_z 0
		.amdhsa_system_sgpr_workgroup_info 0
		.amdhsa_system_vgpr_workitem_id 0
		.amdhsa_next_free_vgpr 58
		.amdhsa_next_free_sgpr 30
		.amdhsa_accum_offset 60
		.amdhsa_reserve_vcc 1
		.amdhsa_reserve_flat_scratch 0
		.amdhsa_float_round_mode_32 0
		.amdhsa_float_round_mode_16_64 0
		.amdhsa_float_denorm_mode_32 3
		.amdhsa_float_denorm_mode_16_64 3
		.amdhsa_dx10_clamp 1
		.amdhsa_ieee_mode 1
		.amdhsa_fp16_overflow 0
		.amdhsa_tg_split 0
		.amdhsa_exception_fp_ieee_invalid_op 0
		.amdhsa_exception_fp_denorm_src 0
		.amdhsa_exception_fp_ieee_div_zero 0
		.amdhsa_exception_fp_ieee_overflow 0
		.amdhsa_exception_fp_ieee_underflow 0
		.amdhsa_exception_fp_ieee_inexact 0
		.amdhsa_exception_int_div_zero 0
	.end_amdhsa_kernel
	.section	.text._ZN9rocsparseL18bsrxmvn_4x4_kernelILj128ELj32EillaaiEEvT3_20rocsparse_direction_NS_24const_host_device_scalarIT1_EES1_PKS1_PKT2_SA_S7_PKT4_PKT5_S5_PT6_21rocsparse_index_base_b,"axG",@progbits,_ZN9rocsparseL18bsrxmvn_4x4_kernelILj128ELj32EillaaiEEvT3_20rocsparse_direction_NS_24const_host_device_scalarIT1_EES1_PKS1_PKT2_SA_S7_PKT4_PKT5_S5_PT6_21rocsparse_index_base_b,comdat
.Lfunc_end73:
	.size	_ZN9rocsparseL18bsrxmvn_4x4_kernelILj128ELj32EillaaiEEvT3_20rocsparse_direction_NS_24const_host_device_scalarIT1_EES1_PKS1_PKT2_SA_S7_PKT4_PKT5_S5_PT6_21rocsparse_index_base_b, .Lfunc_end73-_ZN9rocsparseL18bsrxmvn_4x4_kernelILj128ELj32EillaaiEEvT3_20rocsparse_direction_NS_24const_host_device_scalarIT1_EES1_PKS1_PKT2_SA_S7_PKT4_PKT5_S5_PT6_21rocsparse_index_base_b
                                        ; -- End function
	.section	.AMDGPU.csdata,"",@progbits
; Kernel info:
; codeLenInByte = 3508
; NumSgprs: 34
; NumVgprs: 58
; NumAgprs: 0
; TotalNumVgprs: 58
; ScratchSize: 0
; MemoryBound: 0
; FloatMode: 240
; IeeeMode: 1
; LDSByteSize: 0 bytes/workgroup (compile time only)
; SGPRBlocks: 4
; VGPRBlocks: 7
; NumSGPRsForWavesPerEU: 34
; NumVGPRsForWavesPerEU: 58
; AccumOffset: 60
; Occupancy: 8
; WaveLimiterHint : 1
; COMPUTE_PGM_RSRC2:SCRATCH_EN: 0
; COMPUTE_PGM_RSRC2:USER_SGPR: 6
; COMPUTE_PGM_RSRC2:TRAP_HANDLER: 0
; COMPUTE_PGM_RSRC2:TGID_X_EN: 1
; COMPUTE_PGM_RSRC2:TGID_Y_EN: 0
; COMPUTE_PGM_RSRC2:TGID_Z_EN: 0
; COMPUTE_PGM_RSRC2:TIDIG_COMP_CNT: 0
; COMPUTE_PGM_RSRC3_GFX90A:ACCUM_OFFSET: 14
; COMPUTE_PGM_RSRC3_GFX90A:TG_SPLIT: 0
	.section	.text._ZN9rocsparseL18bsrxmvn_4x4_kernelILj128ELj64EillaaiEEvT3_20rocsparse_direction_NS_24const_host_device_scalarIT1_EES1_PKS1_PKT2_SA_S7_PKT4_PKT5_S5_PT6_21rocsparse_index_base_b,"axG",@progbits,_ZN9rocsparseL18bsrxmvn_4x4_kernelILj128ELj64EillaaiEEvT3_20rocsparse_direction_NS_24const_host_device_scalarIT1_EES1_PKS1_PKT2_SA_S7_PKT4_PKT5_S5_PT6_21rocsparse_index_base_b,comdat
	.globl	_ZN9rocsparseL18bsrxmvn_4x4_kernelILj128ELj64EillaaiEEvT3_20rocsparse_direction_NS_24const_host_device_scalarIT1_EES1_PKS1_PKT2_SA_S7_PKT4_PKT5_S5_PT6_21rocsparse_index_base_b ; -- Begin function _ZN9rocsparseL18bsrxmvn_4x4_kernelILj128ELj64EillaaiEEvT3_20rocsparse_direction_NS_24const_host_device_scalarIT1_EES1_PKS1_PKT2_SA_S7_PKT4_PKT5_S5_PT6_21rocsparse_index_base_b
	.p2align	8
	.type	_ZN9rocsparseL18bsrxmvn_4x4_kernelILj128ELj64EillaaiEEvT3_20rocsparse_direction_NS_24const_host_device_scalarIT1_EES1_PKS1_PKT2_SA_S7_PKT4_PKT5_S5_PT6_21rocsparse_index_base_b,@function
_ZN9rocsparseL18bsrxmvn_4x4_kernelILj128ELj64EillaaiEEvT3_20rocsparse_direction_NS_24const_host_device_scalarIT1_EES1_PKS1_PKT2_SA_S7_PKT4_PKT5_S5_PT6_21rocsparse_index_base_b: ; @_ZN9rocsparseL18bsrxmvn_4x4_kernelILj128ELj64EillaaiEEvT3_20rocsparse_direction_NS_24const_host_device_scalarIT1_EES1_PKS1_PKT2_SA_S7_PKT4_PKT5_S5_PT6_21rocsparse_index_base_b
; %bb.0:
	s_load_dwordx2 s[16:17], s[4:5], 0x60
	s_load_dwordx4 s[0:3], s[4:5], 0x10
	s_mov_b64 s[12:13], -1
	s_waitcnt lgkmcnt(0)
	s_bitcmp1_b32 s17, 0
	s_cselect_b64 s[8:9], -1, 0
	s_xor_b64 s[10:11], s[8:9], -1
	s_and_b64 vcc, exec, s[10:11]
                                        ; implicit-def: $sgpr17
	s_cbranch_vccnz .LBB74_4
; %bb.1:
	s_load_dwordx2 s[8:9], s[4:5], 0x50
	s_andn2_b64 vcc, exec, s[12:13]
	s_cbranch_vccz .LBB74_5
.LBB74_2:
	s_and_b64 vcc, exec, s[10:11]
	s_cbranch_vccz .LBB74_6
.LBB74_3:
	s_waitcnt lgkmcnt(0)
	s_load_dword s20, s[8:9], 0x0
	s_cbranch_execz .LBB74_7
	s_branch .LBB74_8
.LBB74_4:
	s_load_dword s17, s[0:1], 0x0
	s_load_dwordx2 s[8:9], s[4:5], 0x50
	s_cbranch_execnz .LBB74_2
.LBB74_5:
	s_waitcnt lgkmcnt(0)
	s_mov_b32 s17, s0
	s_and_b64 vcc, exec, s[10:11]
	s_cbranch_vccnz .LBB74_3
.LBB74_6:
                                        ; implicit-def: $sgpr20
.LBB74_7:
	s_waitcnt lgkmcnt(0)
	s_mov_b32 s20, s8
.LBB74_8:
	s_waitcnt lgkmcnt(0)
	s_cmp_lg_u32 s17, 0
	s_cselect_b64 s[0:1], -1, 0
	s_cmp_lg_u32 s20, 1
	s_cselect_b64 s[8:9], -1, 0
	s_or_b64 s[0:1], s[0:1], s[8:9]
	s_andn2_b64 vcc, exec, s[0:1]
	s_cbranch_vccnz .LBB74_14
; %bb.9:
	s_load_dwordx2 s[8:9], s[4:5], 0x20
	v_lshrrev_b32_e32 v1, 6, v0
	v_lshl_or_b32 v4, s6, 1, v1
	v_mov_b32_e32 v5, 0
	s_mov_b64 s[0:1], 0
	s_waitcnt lgkmcnt(0)
	s_cmp_lg_u64 s[8:9], 0
	s_cbranch_scc0 .LBB74_15
; %bb.10:
	v_cmp_gt_i64_e32 vcc, s[2:3], v[4:5]
                                        ; implicit-def: $vgpr2_vgpr3
	s_and_saveexec_b64 s[2:3], vcc
	s_xor_b64 s[2:3], exec, s[2:3]
                                        ; implicit-def: $sgpr6_sgpr7
	s_cbranch_execz .LBB74_12
; %bb.11:
	v_lshlrev_b64 v[2:3], 3, v[4:5]
	v_mov_b32_e32 v1, s9
	v_add_co_u32_e32 v2, vcc, s8, v2
	v_addc_co_u32_e32 v3, vcc, v1, v3, vcc
	global_load_dwordx2 v[2:3], v[2:3], off
	s_mov_b64 s[0:1], exec
	s_mov_b32 s7, 0
	s_waitcnt vmcnt(0)
	v_subrev_co_u32_e32 v2, vcc, s16, v2
	v_subbrev_co_u32_e32 v3, vcc, 0, v3, vcc
.LBB74_12:
	s_or_b64 exec, exec, s[2:3]
.LBB74_13:
	s_and_saveexec_b64 s[2:3], s[0:1]
	s_cbranch_execnz .LBB74_19
.LBB74_14:
	s_endpgm
.LBB74_15:
                                        ; implicit-def: $vgpr2_vgpr3
                                        ; implicit-def: $sgpr6_sgpr7
	s_cbranch_execz .LBB74_13
; %bb.16:
	s_load_dwordx2 s[2:3], s[4:5], 0x0
                                        ; implicit-def: $vgpr2_vgpr3
	s_waitcnt lgkmcnt(0)
	v_cmp_gt_i64_e32 vcc, s[2:3], v[4:5]
	s_and_saveexec_b64 s[2:3], vcc
                                        ; implicit-def: $sgpr6_sgpr7
; %bb.17:
	s_mov_b32 s7, 0
	s_or_b64 s[0:1], s[0:1], exec
	v_pk_mov_b32 v[2:3], v[4:5], v[4:5] op_sel:[0,1]
; %bb.18:
	s_or_b64 exec, exec, s[2:3]
	s_and_saveexec_b64 s[2:3], s[0:1]
	s_cbranch_execz .LBB74_14
.LBB74_19:
	s_load_dwordx8 s[8:15], s[4:5], 0x28
	v_lshlrev_b64 v[4:5], 3, v[2:3]
	v_mov_b32_e32 v11, s7
	v_and_b32_e32 v0, 63, v0
	s_waitcnt lgkmcnt(0)
	v_mov_b32_e32 v1, s9
	v_add_co_u32_e32 v6, vcc, s8, v4
	v_addc_co_u32_e32 v7, vcc, v1, v5, vcc
	v_add_co_u32_e32 v1, vcc, 8, v6
	global_load_dwordx2 v[8:9], v[6:7], off
	v_addc_co_u32_e32 v6, vcc, 0, v7, vcc
	v_mov_b32_e32 v7, s11
	v_add_co_u32_e32 v4, vcc, s10, v4
	s_cmp_eq_u64 s[10:11], 0
	v_addc_co_u32_e32 v5, vcc, v7, v5, vcc
	s_cselect_b64 vcc, -1, 0
	v_cndmask_b32_e32 v5, v5, v6, vcc
	v_cndmask_b32_e32 v4, v4, v1, vcc
	global_load_dwordx2 v[4:5], v[4:5], off
	s_load_dwordx2 s[8:9], s[4:5], 0x48
	s_load_dword s0, s[4:5], 0x8
	v_mov_b32_e32 v12, s15
	v_mov_b32_e32 v1, 0
	s_waitcnt lgkmcnt(0)
	s_cmp_eq_u32 s0, 1
	s_waitcnt vmcnt(1)
	v_subrev_co_u32_e32 v6, vcc, s16, v8
	v_subb_co_u32_e32 v7, vcc, v9, v11, vcc
	v_add_co_u32_e32 v6, vcc, v6, v0
	v_addc_co_u32_e32 v7, vcc, 0, v7, vcc
	s_waitcnt vmcnt(0)
	v_subrev_co_u32_e32 v10, vcc, s16, v4
	v_subb_co_u32_e32 v11, vcc, v5, v11, vcc
	v_lshlrev_b64 v[4:5], 4, v[6:7]
	v_add_co_u32_e32 v4, vcc, s14, v4
	v_addc_co_u32_e32 v5, vcc, v12, v5, vcc
	v_cmp_lt_i64_e64 s[0:1], v[6:7], v[10:11]
	s_cbranch_scc1 .LBB74_31
; %bb.20:
	v_mov_b32_e32 v20, 0
	v_mov_b32_e32 v22, 0
	;; [unrolled: 1-line block ×3, first 2 shown]
	s_and_saveexec_b64 s[10:11], s[0:1]
	s_cbranch_execz .LBB74_30
; %bb.21:
	v_or_b32_e32 v1, 64, v0
	v_mov_b32_e32 v12, s7
	v_subrev_co_u32_e32 v1, vcc, s16, v1
	v_subb_co_u32_e32 v13, vcc, 0, v12, vcc
	v_add_co_u32_e32 v12, vcc, v1, v8
	v_addc_co_u32_e32 v13, vcc, v13, v9, vcc
	v_cmp_gt_i64_e32 vcc, v[12:13], v[10:11]
	v_cndmask_b32_e32 v1, v11, v13, vcc
	v_cndmask_b32_e32 v12, v10, v12, vcc
	v_mov_b32_e32 v15, s7
	v_sub_co_u32_e32 v16, vcc, s16, v0
	v_not_b32_e32 v14, v8
	v_subbrev_co_u32_e32 v15, vcc, 0, v15, vcc
	v_not_b32_e32 v13, v9
	v_add_co_u32_e32 v14, vcc, v16, v14
	v_addc_co_u32_e32 v13, vcc, v15, v13, vcc
	v_add_co_u32_e32 v12, vcc, v14, v12
	v_addc_co_u32_e32 v13, vcc, v13, v1, vcc
	v_lshrrev_b64 v[14:15], 6, v[12:13]
	v_add_co_u32_e32 v23, vcc, 1, v14
	v_addc_co_u32_e32 v17, vcc, 0, v15, vcc
	s_mov_b64 s[2:3], 0xbf
	v_cmp_lt_u64_e32 vcc, s[2:3], v[12:13]
	v_mov_b32_e32 v21, 0
	v_mov_b32_e32 v22, 0
	;; [unrolled: 1-line block ×4, first 2 shown]
	v_pk_mov_b32 v[14:15], v[6:7], v[6:7] op_sel:[0,1]
	v_pk_mov_b32 v[12:13], v[4:5], v[4:5] op_sel:[0,1]
	s_and_saveexec_b64 s[14:15], vcc
	s_cbranch_execz .LBB74_25
; %bb.22:
	v_lshlrev_b64 v[12:13], 3, v[6:7]
	v_mov_b32_e32 v1, s13
	v_add_co_u32_e32 v12, vcc, s12, v12
	v_addc_co_u32_e32 v1, vcc, v13, v1, vcc
	v_add_co_u32_e32 v18, vcc, 0x400, v12
	v_and_b32_e32 v16, -4, v23
	v_addc_co_u32_e32 v19, vcc, 0, v1, vcc
	s_mov_b64 s[18:19], 0
	v_mov_b32_e32 v1, 0
	v_mov_b32_e32 v24, s7
	;; [unrolled: 1-line block ×3, first 2 shown]
	s_movk_i32 s6, 0x1000
	s_movk_i32 s21, 0x100
	v_pk_mov_b32 v[12:13], v[4:5], v[4:5] op_sel:[0,1]
	v_pk_mov_b32 v[14:15], v[6:7], v[6:7] op_sel:[0,1]
	v_mov_b32_e32 v20, 0
	v_mov_b32_e32 v22, 0
	;; [unrolled: 1-line block ×3, first 2 shown]
.LBB74_23:                              ; =>This Inner Loop Header: Depth=1
	global_load_dwordx2 v[42:43], v[18:19], off offset:-1024
	global_load_dwordx2 v[44:45], v[18:19], off offset:-512
	global_load_dwordx2 v[46:47], v[18:19], off
	global_load_dwordx2 v[48:49], v[18:19], off offset:512
	global_load_dwordx4 v[26:29], v[12:13], off
	global_load_dwordx4 v[30:33], v[12:13], off offset:1024
	global_load_dwordx4 v[34:37], v[12:13], off offset:2048
	;; [unrolled: 1-line block ×3, first 2 shown]
	v_add_co_u32_e64 v16, s[2:3], -4, v16
	v_addc_co_u32_e64 v17, s[2:3], -1, v17, s[2:3]
	v_cmp_eq_u64_e64 s[2:3], 0, v[16:17]
	s_or_b64 s[18:19], s[2:3], s[18:19]
	s_waitcnt vmcnt(7)
	v_subrev_co_u32_e32 v42, vcc, s16, v42
	v_subb_co_u32_e32 v43, vcc, v43, v24, vcc
	s_waitcnt vmcnt(6)
	v_subrev_co_u32_e32 v44, vcc, s16, v44
	v_subb_co_u32_e32 v45, vcc, v45, v24, vcc
	;; [unrolled: 3-line block ×4, first 2 shown]
	v_lshlrev_b64 v[42:43], 2, v[42:43]
	v_add_co_u32_e32 v42, vcc, s8, v42
	v_lshlrev_b64 v[44:45], 2, v[44:45]
	v_addc_co_u32_e32 v43, vcc, v25, v43, vcc
	v_add_co_u32_e32 v44, vcc, s8, v44
	v_lshlrev_b64 v[46:47], 2, v[46:47]
	v_addc_co_u32_e32 v45, vcc, v25, v45, vcc
	;; [unrolled: 3-line block ×3, first 2 shown]
	v_add_co_u32_e32 v48, vcc, s8, v48
	v_addc_co_u32_e32 v49, vcc, v25, v49, vcc
	global_load_dword v50, v[42:43], off
	global_load_dword v51, v[44:45], off
	;; [unrolled: 1-line block ×4, first 2 shown]
	s_waitcnt vmcnt(7)
	v_lshrrev_b16_e32 v42, 8, v29
	s_waitcnt vmcnt(6)
	v_lshrrev_b16_e32 v43, 8, v33
	;; [unrolled: 2-line block ×3, first 2 shown]
	v_add_co_u32_e32 v12, vcc, s6, v12
	v_bfe_i32 v42, v42, 0, 8
	v_bfe_i32 v43, v43, 0, 8
	;; [unrolled: 1-line block ×3, first 2 shown]
	v_addc_co_u32_e32 v13, vcc, 0, v13, vcc
	v_add_co_u32_e32 v14, vcc, s21, v14
	s_waitcnt vmcnt(4)
	v_bfe_i32 v45, v41, 8, 8
	v_addc_co_u32_e32 v15, vcc, 0, v15, vcc
	v_add_co_u32_e32 v18, vcc, 0x800, v18
	v_addc_co_u32_e32 v19, vcc, 0, v19, vcc
	s_waitcnt vmcnt(3)
	v_lshrrev_b16_e32 v46, 8, v50
	v_dot4c_i32_i8_e32 v21, v50, v26
	v_dot4c_i32_i8_e32 v22, v50, v27
	;; [unrolled: 1-line block ×3, first 2 shown]
	v_mul_i32_i24_sdwa v26, sext(v29), sext(v50) dst_sel:DWORD dst_unused:UNUSED_PAD src0_sel:BYTE_0 src1_sel:BYTE_0
	v_mul_i32_i24_sdwa v27, sext(v29), sext(v50) dst_sel:DWORD dst_unused:UNUSED_PAD src0_sel:BYTE_2 src1_sel:BYTE_2
	v_mul_i32_i24_sdwa v28, sext(v29), sext(v50) dst_sel:DWORD dst_unused:UNUSED_PAD src0_sel:BYTE_3 src1_sel:BYTE_3
	s_waitcnt vmcnt(2)
	v_lshrrev_b16_e32 v29, 8, v51
	s_waitcnt vmcnt(1)
	v_lshrrev_b16_e32 v49, 8, v52
	v_mul_i32_i24_sdwa v47, sext(v33), sext(v51) dst_sel:DWORD dst_unused:UNUSED_PAD src0_sel:BYTE_0 src1_sel:BYTE_0
	v_mul_i32_i24_sdwa v48, sext(v33), sext(v51) dst_sel:DWORD dst_unused:UNUSED_PAD src0_sel:BYTE_2 src1_sel:BYTE_2
	v_mul_i32_i24_sdwa v33, sext(v33), sext(v51) dst_sel:DWORD dst_unused:UNUSED_PAD src0_sel:BYTE_3 src1_sel:BYTE_3
	v_mul_i32_i24_sdwa v50, sext(v37), sext(v52) dst_sel:DWORD dst_unused:UNUSED_PAD src0_sel:BYTE_0 src1_sel:BYTE_0
	v_mul_i32_i24_sdwa v54, sext(v37), sext(v52) dst_sel:DWORD dst_unused:UNUSED_PAD src0_sel:BYTE_2 src1_sel:BYTE_2
	v_mul_i32_i24_sdwa v37, sext(v37), sext(v52) dst_sel:DWORD dst_unused:UNUSED_PAD src0_sel:BYTE_3 src1_sel:BYTE_3
	v_bfe_i32 v46, v46, 0, 8
	v_bfe_i32 v29, v29, 0, 8
	v_dot4c_i32_i8_e32 v21, v51, v30
	v_bfe_i32 v30, v49, 0, 8
	v_mad_i32_i24 v28, v42, v46, v28
	v_mad_i32_i24 v29, v43, v29, v33
	;; [unrolled: 1-line block ×3, first 2 shown]
	s_waitcnt vmcnt(0)
	v_bfe_i32 v55, v53, 8, 8
	v_mul_i32_i24_sdwa v57, sext(v41), sext(v53) dst_sel:DWORD dst_unused:UNUSED_PAD src0_sel:BYTE_2 src1_sel:BYTE_2
	v_add3_u32 v26, v26, v27, v28
	v_add3_u32 v27, v47, v48, v29
	;; [unrolled: 1-line block ×3, first 2 shown]
	v_mul_i32_i24_sdwa v56, sext(v41), sext(v53) dst_sel:DWORD dst_unused:UNUSED_PAD src0_sel:BYTE_0 src1_sel:BYTE_0
	v_dot4c_i32_i8_e32 v22, v51, v31
	v_dot4c_i32_i8_e32 v20, v51, v32
	v_mad_i32_i24 v31, v45, v55, v57
	v_add3_u32 v26, v26, v27, v28
	v_mul_i32_i24_sdwa v41, sext(v41), sext(v53) dst_sel:DWORD dst_unused:UNUSED_PAD src0_sel:BYTE_3 src1_sel:BYTE_3
	v_dot4c_i32_i8_e32 v21, v52, v34
	v_dot4c_i32_i8_e32 v22, v52, v35
	;; [unrolled: 1-line block ×3, first 2 shown]
	v_add3_u32 v26, v26, v56, v31
	v_dot4c_i32_i8_e32 v21, v53, v38
	v_dot4c_i32_i8_e32 v22, v39, v53
	v_dot4c_i32_i8_e32 v20, v40, v53
	v_add3_u32 v1, v26, v1, v41
	s_andn2_b64 exec, exec, s[18:19]
	s_cbranch_execnz .LBB74_23
; %bb.24:
	s_or_b64 exec, exec, s[18:19]
.LBB74_25:
	s_or_b64 exec, exec, s[14:15]
	v_and_b32_e32 v16, 3, v23
	v_mov_b32_e32 v17, 0
	s_mov_b64 s[18:19], 0
	v_cmp_ne_u64_e32 vcc, 0, v[16:17]
	s_and_saveexec_b64 s[14:15], vcc
	s_cbranch_execz .LBB74_29
; %bb.26:
	v_lshlrev_b64 v[14:15], 3, v[14:15]
	v_mov_b32_e32 v18, s13
	v_add_co_u32_e32 v14, vcc, s12, v14
	v_addc_co_u32_e32 v15, vcc, v18, v15, vcc
	v_lshlrev_b32_e32 v16, 1, v16
	v_mov_b32_e32 v18, s7
	v_mov_b32_e32 v19, s9
	s_movk_i32 s6, 0x200
.LBB74_27:                              ; =>This Inner Loop Header: Depth=1
	global_load_dwordx2 v[28:29], v[14:15], off
	global_load_dwordx4 v[24:27], v[12:13], off
	v_add_co_u32_e64 v16, s[2:3], -2, v16
	v_addc_co_u32_e64 v17, s[2:3], -1, v17, s[2:3]
	v_cmp_eq_u64_e64 s[2:3], 0, v[16:17]
	s_or_b64 s[18:19], s[2:3], s[18:19]
	s_waitcnt vmcnt(1)
	v_subrev_co_u32_e32 v28, vcc, s16, v28
	v_subb_co_u32_e32 v29, vcc, v29, v18, vcc
	v_lshlrev_b64 v[28:29], 2, v[28:29]
	v_add_co_u32_e32 v28, vcc, s8, v28
	v_addc_co_u32_e32 v29, vcc, v19, v29, vcc
	global_load_dword v23, v[28:29], off
	v_add_co_u32_e32 v14, vcc, s6, v14
	v_addc_co_u32_e32 v15, vcc, 0, v15, vcc
	v_add_co_u32_e32 v12, vcc, 0x400, v12
	v_addc_co_u32_e32 v13, vcc, 0, v13, vcc
	s_waitcnt vmcnt(0)
	v_dot4c_i32_i8_e32 v21, v24, v23
	v_dot4c_i32_i8_e32 v22, v25, v23
	;; [unrolled: 1-line block ×4, first 2 shown]
	s_andn2_b64 exec, exec, s[18:19]
	s_cbranch_execnz .LBB74_27
; %bb.28:
	s_or_b64 exec, exec, s[18:19]
.LBB74_29:
	s_or_b64 exec, exec, s[14:15]
.LBB74_30:
	s_or_b64 exec, exec, s[10:11]
	s_cbranch_execz .LBB74_32
	s_branch .LBB74_43
.LBB74_31:
                                        ; implicit-def: $vgpr1
                                        ; implicit-def: $vgpr20
                                        ; implicit-def: $vgpr22
                                        ; implicit-def: $vgpr21
.LBB74_32:
	v_mov_b32_e32 v1, 0
	v_mov_b32_e32 v20, 0
	;; [unrolled: 1-line block ×4, first 2 shown]
	s_and_saveexec_b64 s[10:11], s[0:1]
	s_cbranch_execz .LBB74_42
; %bb.33:
	v_or_b32_e32 v1, 64, v0
	v_mov_b32_e32 v12, s7
	v_subrev_co_u32_e32 v1, vcc, s16, v1
	v_subb_co_u32_e32 v13, vcc, 0, v12, vcc
	v_add_co_u32_e32 v12, vcc, v1, v8
	v_addc_co_u32_e32 v13, vcc, v13, v9, vcc
	v_cmp_gt_i64_e32 vcc, v[12:13], v[10:11]
	v_cndmask_b32_e32 v1, v11, v13, vcc
	v_cndmask_b32_e32 v10, v10, v12, vcc
	v_mov_b32_e32 v11, s7
	v_sub_co_u32_e32 v12, vcc, s16, v0
	v_not_b32_e32 v8, v8
	v_subbrev_co_u32_e32 v11, vcc, 0, v11, vcc
	v_not_b32_e32 v9, v9
	v_add_co_u32_e32 v8, vcc, v12, v8
	v_addc_co_u32_e32 v9, vcc, v11, v9, vcc
	v_add_co_u32_e32 v10, vcc, v8, v10
	v_addc_co_u32_e32 v11, vcc, v9, v1, vcc
	v_lshrrev_b64 v[8:9], 6, v[10:11]
	v_add_co_u32_e32 v12, vcc, 1, v8
	v_addc_co_u32_e32 v9, vcc, 0, v9, vcc
	s_mov_b64 s[0:1], 0xbf
	v_cmp_lt_u64_e32 vcc, s[0:1], v[10:11]
	v_mov_b32_e32 v21, 0
	v_mov_b32_e32 v22, 0
	;; [unrolled: 1-line block ×4, first 2 shown]
	s_and_saveexec_b64 s[14:15], vcc
	s_cbranch_execz .LBB74_37
; %bb.34:
	v_lshlrev_b64 v[10:11], 3, v[6:7]
	v_mov_b32_e32 v1, s13
	v_add_co_u32_e32 v10, vcc, s12, v10
	v_addc_co_u32_e32 v1, vcc, v11, v1, vcc
	v_add_co_u32_e32 v10, vcc, 0x400, v10
	v_and_b32_e32 v8, -4, v12
	v_addc_co_u32_e32 v11, vcc, 0, v1, vcc
	s_mov_b64 s[18:19], 0
	v_mov_b32_e32 v1, 0
	v_mov_b32_e32 v13, s7
	;; [unrolled: 1-line block ×3, first 2 shown]
	s_mov_b32 s6, 0xc0c0400
	s_mov_b32 s21, 0x4000c0c
	;; [unrolled: 1-line block ×8, first 2 shown]
	s_movk_i32 s28, 0x1000
	s_movk_i32 s29, 0x100
	v_mov_b32_e32 v20, 0
	v_mov_b32_e32 v22, 0
	;; [unrolled: 1-line block ×3, first 2 shown]
.LBB74_35:                              ; =>This Inner Loop Header: Depth=1
	global_load_dwordx2 v[36:37], v[10:11], off offset:-1024
	global_load_dwordx2 v[38:39], v[10:11], off offset:-512
	global_load_dwordx2 v[40:41], v[10:11], off
	global_load_dwordx2 v[42:43], v[10:11], off offset:512
	global_load_dwordx4 v[16:19], v[4:5], off
	global_load_dwordx4 v[24:27], v[4:5], off offset:1024
	global_load_dwordx4 v[28:31], v[4:5], off offset:2048
	;; [unrolled: 1-line block ×3, first 2 shown]
	v_add_co_u32_e32 v4, vcc, s28, v4
	v_addc_co_u32_e32 v5, vcc, 0, v5, vcc
	v_add_co_u32_e64 v8, s[0:1], -4, v8
	v_add_co_u32_e32 v6, vcc, s29, v6
	v_addc_co_u32_e64 v9, s[0:1], -1, v9, s[0:1]
	v_addc_co_u32_e32 v7, vcc, 0, v7, vcc
	v_cmp_eq_u64_e64 s[0:1], 0, v[8:9]
	v_add_co_u32_e32 v10, vcc, 0x800, v10
	s_or_b64 s[18:19], s[0:1], s[18:19]
	v_addc_co_u32_e32 v11, vcc, 0, v11, vcc
	s_waitcnt vmcnt(7)
	v_subrev_co_u32_e64 v36, s[2:3], s16, v36
	v_subb_co_u32_e64 v37, s[2:3], v37, v13, s[2:3]
	s_waitcnt vmcnt(6)
	v_subrev_co_u32_e64 v38, s[2:3], s16, v38
	v_subb_co_u32_e64 v39, s[2:3], v39, v13, s[2:3]
	;; [unrolled: 3-line block ×4, first 2 shown]
	v_lshlrev_b64 v[36:37], 2, v[36:37]
	v_add_co_u32_e64 v36, s[2:3], s8, v36
	v_lshlrev_b64 v[38:39], 2, v[38:39]
	v_addc_co_u32_e64 v37, s[2:3], v14, v37, s[2:3]
	v_add_co_u32_e64 v38, s[2:3], s8, v38
	v_lshlrev_b64 v[40:41], 2, v[40:41]
	v_addc_co_u32_e64 v39, s[2:3], v14, v39, s[2:3]
	;; [unrolled: 3-line block ×3, first 2 shown]
	v_add_co_u32_e64 v42, s[2:3], s8, v42
	v_addc_co_u32_e64 v43, s[2:3], v14, v43, s[2:3]
	global_load_dword v15, v[36:37], off
	global_load_dword v23, v[38:39], off
	;; [unrolled: 1-line block ×4, first 2 shown]
	s_waitcnt vmcnt(7)
	v_perm_b32 v36, v17, v16, s6
	v_perm_b32 v37, v19, v18, s21
	v_perm_b32 v38, v17, v16, s22
	v_perm_b32 v39, v19, v18, s23
	v_perm_b32 v40, v17, v16, s24
	v_perm_b32 v41, v19, v18, s25
	v_perm_b32 v16, v17, v16, s26
	v_perm_b32 v17, v19, v18, s27
	s_waitcnt vmcnt(6)
	v_perm_b32 v18, v25, v24, s6
	v_perm_b32 v19, v27, v26, s21
	v_perm_b32 v42, v25, v24, s22
	v_perm_b32 v43, v27, v26, s23
	v_perm_b32 v46, v25, v24, s24
	v_perm_b32 v47, v27, v26, s25
	v_perm_b32 v24, v25, v24, s26
	v_perm_b32 v25, v27, v26, s27
	;; [unrolled: 9-line block ×4, first 2 shown]
	v_or_b32_e32 v34, v37, v36
	v_or_b32_e32 v35, v39, v38
	;; [unrolled: 1-line block ×16, first 2 shown]
	s_waitcnt vmcnt(3)
	v_dot4c_i32_i8_e32 v21, v15, v34
	v_dot4c_i32_i8_e32 v22, v35, v15
	v_dot4c_i32_i8_e32 v20, v36, v15
	v_dot4c_i32_i8_e32 v1, v16, v15
	s_waitcnt vmcnt(2)
	v_dot4c_i32_i8_e32 v21, v23, v17
	v_dot4c_i32_i8_e32 v22, v18, v23
	v_dot4c_i32_i8_e32 v20, v19, v23
	v_dot4c_i32_i8_e32 v1, v24, v23
	;; [unrolled: 5-line block ×4, first 2 shown]
	s_andn2_b64 exec, exec, s[18:19]
	s_cbranch_execnz .LBB74_35
; %bb.36:
	s_or_b64 exec, exec, s[18:19]
.LBB74_37:
	s_or_b64 exec, exec, s[14:15]
	v_and_b32_e32 v8, 3, v12
	v_mov_b32_e32 v9, 0
	s_mov_b64 s[14:15], 0
	v_cmp_ne_u64_e32 vcc, 0, v[8:9]
	s_and_saveexec_b64 s[2:3], vcc
	s_cbranch_execz .LBB74_41
; %bb.38:
	v_lshlrev_b64 v[6:7], 3, v[6:7]
	v_mov_b32_e32 v10, s13
	v_add_co_u32_e32 v6, vcc, s12, v6
	v_addc_co_u32_e32 v7, vcc, v10, v7, vcc
	v_lshlrev_b32_e32 v8, 1, v8
	v_mov_b32_e32 v10, s7
	v_mov_b32_e32 v11, s9
	s_mov_b32 s6, 0xc0c0400
	s_mov_b32 s7, 0x4000c0c
	;; [unrolled: 1-line block ×8, first 2 shown]
	s_movk_i32 s22, 0x200
.LBB74_39:                              ; =>This Inner Loop Header: Depth=1
	global_load_dwordx2 v[16:17], v[6:7], off
	global_load_dwordx4 v[12:15], v[4:5], off
	v_add_co_u32_e64 v8, s[0:1], -2, v8
	v_addc_co_u32_e64 v9, s[0:1], -1, v9, s[0:1]
	v_cmp_eq_u64_e64 s[0:1], 0, v[8:9]
	s_or_b64 s[14:15], s[0:1], s[14:15]
	s_waitcnt vmcnt(1)
	v_subrev_co_u32_e32 v16, vcc, s16, v16
	v_subb_co_u32_e32 v17, vcc, v17, v10, vcc
	v_lshlrev_b64 v[16:17], 2, v[16:17]
	v_add_co_u32_e32 v16, vcc, s8, v16
	v_addc_co_u32_e32 v17, vcc, v11, v17, vcc
	global_load_dword v16, v[16:17], off
	v_add_co_u32_e32 v6, vcc, s22, v6
	v_addc_co_u32_e32 v7, vcc, 0, v7, vcc
	s_waitcnt vmcnt(1)
	v_perm_b32 v17, v13, v12, s6
	v_perm_b32 v18, v15, v14, s7
	;; [unrolled: 1-line block ×8, first 2 shown]
	v_add_co_u32_e32 v4, vcc, 0x400, v4
	v_or_b32_e32 v14, v18, v17
	v_or_b32_e32 v15, v23, v19
	v_or_b32_e32 v17, v25, v24
	v_or_b32_e32 v12, v13, v12
	v_addc_co_u32_e32 v5, vcc, 0, v5, vcc
	s_waitcnt vmcnt(0)
	v_dot4c_i32_i8_e32 v21, v14, v16
	v_dot4c_i32_i8_e32 v22, v15, v16
	;; [unrolled: 1-line block ×4, first 2 shown]
	s_andn2_b64 exec, exec, s[14:15]
	s_cbranch_execnz .LBB74_39
; %bb.40:
	s_or_b64 exec, exec, s[14:15]
.LBB74_41:
	s_or_b64 exec, exec, s[2:3]
.LBB74_42:
	s_or_b64 exec, exec, s[10:11]
.LBB74_43:
	v_mov_b32_dpp v4, v21 row_shr:1 row_mask:0xf bank_mask:0xf
	v_mov_b32_dpp v5, v22 row_shr:1 row_mask:0xf bank_mask:0xf
	v_mov_b32_dpp v8, v20 row_shr:1 row_mask:0xf bank_mask:0xf
	v_mov_b32_dpp v9, v1 row_shr:1 row_mask:0xf bank_mask:0xf
	v_add_u32_e32 v5, v5, v22
	v_add_u32_e32 v4, v4, v21
	v_add_u32_e32 v1, v9, v1
	v_add_u32_e32 v8, v8, v20
	v_mov_b32_dpp v6, v4 row_shr:2 row_mask:0xf bank_mask:0xf
	v_mov_b32_dpp v7, v5 row_shr:2 row_mask:0xf bank_mask:0xf
	v_mov_b32_dpp v9, v8 row_shr:2 row_mask:0xf bank_mask:0xf
	v_mov_b32_dpp v10, v1 row_shr:2 row_mask:0xf bank_mask:0xf
	v_add_u32_e32 v5, v5, v7
	v_add_u32_e32 v4, v4, v6
	v_add_u32_e32 v1, v1, v10
	v_add_u32_e32 v8, v8, v9
	;; [unrolled: 8-line block ×4, first 2 shown]
	v_mov_b32_dpp v7, v6 row_bcast:15 row_mask:0xa bank_mask:0xf
	v_mov_b32_dpp v4, v5 row_bcast:15 row_mask:0xa bank_mask:0xf
	;; [unrolled: 1-line block ×4, first 2 shown]
	v_add_u32_e32 v4, v5, v4
	v_add_u32_e32 v5, v6, v7
	;; [unrolled: 1-line block ×4, first 2 shown]
	v_mov_b32_dpp v6, v5 row_bcast:31 row_mask:0xc bank_mask:0xf
	v_mov_b32_dpp v7, v4 row_bcast:31 row_mask:0xc bank_mask:0xf
	v_mov_b32_dpp v9, v8 row_bcast:31 row_mask:0xc bank_mask:0xf
	v_mov_b32_dpp v10, v1 row_bcast:31 row_mask:0xc bank_mask:0xf
	v_cmp_eq_u32_e32 vcc, 63, v0
	s_and_b64 exec, exec, vcc
	s_cbranch_execz .LBB74_14
; %bb.44:
	s_load_dwordx2 s[0:1], s[4:5], 0x58
	v_add_u32_e32 v4, v4, v7
	v_add_u32_e32 v0, v5, v6
	v_add_u32_e32 v1, v1, v10
	v_add_u32_e32 v5, v8, v9
	s_cmp_eq_u32 s20, 0
	v_lshlrev_b64 v[8:9], 4, v[2:3]
	v_mul_lo_u32 v0, v0, s17
	v_mul_lo_u32 v6, v4, s17
	;; [unrolled: 1-line block ×4, first 2 shown]
	s_cbranch_scc1 .LBB74_46
; %bb.45:
	s_waitcnt lgkmcnt(0)
	v_mov_b32_e32 v1, s1
	v_add_co_u32_e32 v14, vcc, s0, v8
	v_addc_co_u32_e32 v15, vcc, v1, v9, vcc
	global_load_dwordx4 v[10:13], v[14:15], off
	s_waitcnt vmcnt(0)
	v_mad_u64_u32 v[16:17], s[2:3], v11, s20, v[6:7]
	v_mad_u64_u32 v[10:11], s[2:3], v10, s20, v[0:1]
	;; [unrolled: 1-line block ×4, first 2 shown]
	v_mov_b32_e32 v11, v16
	v_mov_b32_e32 v13, v18
	global_store_dwordx4 v[14:15], v[10:13], off
	s_cbranch_execnz .LBB74_14
	s_branch .LBB74_47
.LBB74_46:
.LBB74_47:
	s_waitcnt lgkmcnt(0)
	v_mov_b32_e32 v1, s1
	v_add_co_u32_e32 v8, vcc, s0, v8
	v_addc_co_u32_e32 v9, vcc, v1, v9, vcc
	v_mov_b32_e32 v1, v6
	v_mov_b32_e32 v3, v4
	global_store_dwordx4 v[8:9], v[0:3], off
	s_endpgm
	.section	.rodata,"a",@progbits
	.p2align	6, 0x0
	.amdhsa_kernel _ZN9rocsparseL18bsrxmvn_4x4_kernelILj128ELj64EillaaiEEvT3_20rocsparse_direction_NS_24const_host_device_scalarIT1_EES1_PKS1_PKT2_SA_S7_PKT4_PKT5_S5_PT6_21rocsparse_index_base_b
		.amdhsa_group_segment_fixed_size 0
		.amdhsa_private_segment_fixed_size 0
		.amdhsa_kernarg_size 104
		.amdhsa_user_sgpr_count 6
		.amdhsa_user_sgpr_private_segment_buffer 1
		.amdhsa_user_sgpr_dispatch_ptr 0
		.amdhsa_user_sgpr_queue_ptr 0
		.amdhsa_user_sgpr_kernarg_segment_ptr 1
		.amdhsa_user_sgpr_dispatch_id 0
		.amdhsa_user_sgpr_flat_scratch_init 0
		.amdhsa_user_sgpr_kernarg_preload_length 0
		.amdhsa_user_sgpr_kernarg_preload_offset 0
		.amdhsa_user_sgpr_private_segment_size 0
		.amdhsa_uses_dynamic_stack 0
		.amdhsa_system_sgpr_private_segment_wavefront_offset 0
		.amdhsa_system_sgpr_workgroup_id_x 1
		.amdhsa_system_sgpr_workgroup_id_y 0
		.amdhsa_system_sgpr_workgroup_id_z 0
		.amdhsa_system_sgpr_workgroup_info 0
		.amdhsa_system_vgpr_workitem_id 0
		.amdhsa_next_free_vgpr 58
		.amdhsa_next_free_sgpr 30
		.amdhsa_accum_offset 60
		.amdhsa_reserve_vcc 1
		.amdhsa_reserve_flat_scratch 0
		.amdhsa_float_round_mode_32 0
		.amdhsa_float_round_mode_16_64 0
		.amdhsa_float_denorm_mode_32 3
		.amdhsa_float_denorm_mode_16_64 3
		.amdhsa_dx10_clamp 1
		.amdhsa_ieee_mode 1
		.amdhsa_fp16_overflow 0
		.amdhsa_tg_split 0
		.amdhsa_exception_fp_ieee_invalid_op 0
		.amdhsa_exception_fp_denorm_src 0
		.amdhsa_exception_fp_ieee_div_zero 0
		.amdhsa_exception_fp_ieee_overflow 0
		.amdhsa_exception_fp_ieee_underflow 0
		.amdhsa_exception_fp_ieee_inexact 0
		.amdhsa_exception_int_div_zero 0
	.end_amdhsa_kernel
	.section	.text._ZN9rocsparseL18bsrxmvn_4x4_kernelILj128ELj64EillaaiEEvT3_20rocsparse_direction_NS_24const_host_device_scalarIT1_EES1_PKS1_PKT2_SA_S7_PKT4_PKT5_S5_PT6_21rocsparse_index_base_b,"axG",@progbits,_ZN9rocsparseL18bsrxmvn_4x4_kernelILj128ELj64EillaaiEEvT3_20rocsparse_direction_NS_24const_host_device_scalarIT1_EES1_PKS1_PKT2_SA_S7_PKT4_PKT5_S5_PT6_21rocsparse_index_base_b,comdat
.Lfunc_end74:
	.size	_ZN9rocsparseL18bsrxmvn_4x4_kernelILj128ELj64EillaaiEEvT3_20rocsparse_direction_NS_24const_host_device_scalarIT1_EES1_PKS1_PKT2_SA_S7_PKT4_PKT5_S5_PT6_21rocsparse_index_base_b, .Lfunc_end74-_ZN9rocsparseL18bsrxmvn_4x4_kernelILj128ELj64EillaaiEEvT3_20rocsparse_direction_NS_24const_host_device_scalarIT1_EES1_PKS1_PKT2_SA_S7_PKT4_PKT5_S5_PT6_21rocsparse_index_base_b
                                        ; -- End function
	.section	.AMDGPU.csdata,"",@progbits
; Kernel info:
; codeLenInByte = 3468
; NumSgprs: 34
; NumVgprs: 58
; NumAgprs: 0
; TotalNumVgprs: 58
; ScratchSize: 0
; MemoryBound: 0
; FloatMode: 240
; IeeeMode: 1
; LDSByteSize: 0 bytes/workgroup (compile time only)
; SGPRBlocks: 4
; VGPRBlocks: 7
; NumSGPRsForWavesPerEU: 34
; NumVGPRsForWavesPerEU: 58
; AccumOffset: 60
; Occupancy: 8
; WaveLimiterHint : 1
; COMPUTE_PGM_RSRC2:SCRATCH_EN: 0
; COMPUTE_PGM_RSRC2:USER_SGPR: 6
; COMPUTE_PGM_RSRC2:TRAP_HANDLER: 0
; COMPUTE_PGM_RSRC2:TGID_X_EN: 1
; COMPUTE_PGM_RSRC2:TGID_Y_EN: 0
; COMPUTE_PGM_RSRC2:TGID_Z_EN: 0
; COMPUTE_PGM_RSRC2:TIDIG_COMP_CNT: 0
; COMPUTE_PGM_RSRC3_GFX90A:ACCUM_OFFSET: 14
; COMPUTE_PGM_RSRC3_GFX90A:TG_SPLIT: 0
	.section	.text._ZN9rocsparseL18bsrxmvn_4x4_kernelILj128ELj4EfiiaafEEvT3_20rocsparse_direction_NS_24const_host_device_scalarIT1_EES1_PKS1_PKT2_SA_S7_PKT4_PKT5_S5_PT6_21rocsparse_index_base_b,"axG",@progbits,_ZN9rocsparseL18bsrxmvn_4x4_kernelILj128ELj4EfiiaafEEvT3_20rocsparse_direction_NS_24const_host_device_scalarIT1_EES1_PKS1_PKT2_SA_S7_PKT4_PKT5_S5_PT6_21rocsparse_index_base_b,comdat
	.globl	_ZN9rocsparseL18bsrxmvn_4x4_kernelILj128ELj4EfiiaafEEvT3_20rocsparse_direction_NS_24const_host_device_scalarIT1_EES1_PKS1_PKT2_SA_S7_PKT4_PKT5_S5_PT6_21rocsparse_index_base_b ; -- Begin function _ZN9rocsparseL18bsrxmvn_4x4_kernelILj128ELj4EfiiaafEEvT3_20rocsparse_direction_NS_24const_host_device_scalarIT1_EES1_PKS1_PKT2_SA_S7_PKT4_PKT5_S5_PT6_21rocsparse_index_base_b
	.p2align	8
	.type	_ZN9rocsparseL18bsrxmvn_4x4_kernelILj128ELj4EfiiaafEEvT3_20rocsparse_direction_NS_24const_host_device_scalarIT1_EES1_PKS1_PKT2_SA_S7_PKT4_PKT5_S5_PT6_21rocsparse_index_base_b,@function
_ZN9rocsparseL18bsrxmvn_4x4_kernelILj128ELj4EfiiaafEEvT3_20rocsparse_direction_NS_24const_host_device_scalarIT1_EES1_PKS1_PKT2_SA_S7_PKT4_PKT5_S5_PT6_21rocsparse_index_base_b: ; @_ZN9rocsparseL18bsrxmvn_4x4_kernelILj128ELj4EfiiaafEEvT3_20rocsparse_direction_NS_24const_host_device_scalarIT1_EES1_PKS1_PKT2_SA_S7_PKT4_PKT5_S5_PT6_21rocsparse_index_base_b
; %bb.0:
	s_load_dwordx2 s[20:21], s[4:5], 0x58
	s_load_dwordx2 s[16:17], s[4:5], 0x8
	;; [unrolled: 1-line block ×3, first 2 shown]
	s_waitcnt lgkmcnt(0)
	s_bitcmp1_b32 s21, 0
	s_cselect_b64 s[2:3], -1, 0
	s_xor_b64 s[0:1], s[2:3], -1
	s_and_b64 vcc, exec, s[2:3]
	s_cbranch_vccnz .LBB75_2
; %bb.1:
	s_load_dword s16, s[16:17], 0x0
.LBB75_2:
	s_andn2_b64 vcc, exec, s[0:1]
	s_cbranch_vccnz .LBB75_4
; %bb.3:
	s_load_dword s18, s[18:19], 0x0
.LBB75_4:
	s_waitcnt lgkmcnt(0)
	v_cmp_neq_f32_e64 s[0:1], s16, 0
	v_cmp_neq_f32_e64 s[2:3], s18, 1.0
	s_or_b64 s[0:1], s[0:1], s[2:3]
	s_andn2_b64 vcc, exec, s[0:1]
	s_cbranch_vccnz .LBB75_10
; %bb.5:
	s_load_dwordx2 s[8:9], s[4:5], 0x18
	s_load_dwordx2 s[0:1], s[4:5], 0x0
	v_lshrrev_b32_e32 v1, 2, v0
	v_lshl_or_b32 v16, s6, 5, v1
	s_mov_b64 s[2:3], 0
	s_waitcnt lgkmcnt(0)
	s_cmp_lg_u64 s[8:9], 0
	s_cbranch_scc0 .LBB75_11
; %bb.6:
	s_load_dword s6, s[4:5], 0x10
                                        ; implicit-def: $vgpr1
	s_waitcnt lgkmcnt(0)
	v_cmp_gt_i32_e32 vcc, s6, v16
	s_and_saveexec_b64 s[6:7], vcc
	s_xor_b64 s[6:7], exec, s[6:7]
	s_cbranch_execz .LBB75_8
; %bb.7:
	v_ashrrev_i32_e32 v17, 31, v16
	v_lshlrev_b64 v[2:3], 2, v[16:17]
	v_mov_b32_e32 v1, s9
	v_add_co_u32_e32 v2, vcc, s8, v2
	v_addc_co_u32_e32 v3, vcc, v1, v3, vcc
	global_load_dword v1, v[2:3], off
	s_mov_b64 s[2:3], exec
	s_waitcnt vmcnt(0)
	v_subrev_u32_e32 v1, s20, v1
.LBB75_8:
	s_or_b64 exec, exec, s[6:7]
	s_branch .LBB75_12
.LBB75_9:
	v_cmp_gt_i32_e32 vcc, s0, v16
	s_andn2_b64 s[2:3], s[2:3], exec
	s_and_b64 s[6:7], vcc, exec
	s_or_b64 s[2:3], s[2:3], s[6:7]
	s_and_saveexec_b64 s[6:7], s[2:3]
	s_cbranch_execnz .LBB75_13
.LBB75_10:
	s_endpgm
.LBB75_11:
                                        ; implicit-def: $vgpr1
	s_cbranch_execnz .LBB75_9
.LBB75_12:
	v_mov_b32_e32 v16, v1
	s_and_saveexec_b64 s[6:7], s[2:3]
	s_cbranch_execz .LBB75_10
.LBB75_13:
	s_load_dwordx8 s[8:15], s[4:5], 0x20
	v_ashrrev_i32_e32 v17, 31, v16
	v_lshlrev_b64 v[2:3], 2, v[16:17]
	v_and_b32_e32 v17, 3, v0
	s_load_dwordx2 s[6:7], s[4:5], 0x40
	s_waitcnt lgkmcnt(0)
	v_mov_b32_e32 v1, s9
	v_add_co_u32_e32 v4, vcc, s8, v2
	v_addc_co_u32_e32 v5, vcc, v1, v3, vcc
	v_add_co_u32_e32 v1, vcc, 4, v4
	global_load_dword v31, v[4:5], off
	v_addc_co_u32_e32 v4, vcc, 0, v5, vcc
	v_mov_b32_e32 v5, s11
	v_add_co_u32_e32 v2, vcc, s10, v2
	s_cmp_eq_u64 s[10:11], 0
	v_addc_co_u32_e32 v3, vcc, v5, v3, vcc
	s_cselect_b64 vcc, -1, 0
	v_cndmask_b32_e32 v3, v3, v4, vcc
	v_cndmask_b32_e32 v2, v2, v1, vcc
	global_load_dword v1, v[2:3], off
	v_mov_b32_e32 v2, s15
	s_cmp_eq_u32 s1, 1
	s_waitcnt vmcnt(1)
	v_subrev_u32_e32 v0, s20, v31
	v_add_u32_e32 v18, v0, v17
	v_ashrrev_i32_e32 v19, 31, v18
	s_waitcnt vmcnt(0)
	v_subrev_u32_e32 v30, s20, v1
	v_lshlrev_b64 v[0:1], 4, v[18:19]
	v_add_co_u32_e32 v20, vcc, s14, v0
	v_addc_co_u32_e32 v21, vcc, v2, v1, vcc
	v_cmp_lt_i32_e64 s[0:1], v18, v30
	s_cbranch_scc1 .LBB75_25
; %bb.14:
	s_mov_b32 s2, 0
	v_mov_b32_e32 v23, 0
	v_mov_b32_e32 v22, 0
	v_mov_b32_e32 v25, 0
	v_mov_b32_e32 v24, 0
	s_and_saveexec_b64 s[8:9], s[0:1]
	s_cbranch_execz .LBB75_24
; %bb.15:
	v_add_u32_e32 v0, v31, v17
	v_subrev_u32_e32 v0, s20, v0
	v_add_u32_e32 v0, 4, v0
	v_max_i32_e32 v0, v0, v30
	v_not_b32_e32 v1, v31
	v_add3_u32 v0, v0, s20, v1
	v_sub_u32_e32 v0, v0, v17
	v_lshrrev_b32_e32 v1, 2, v0
	v_add_u32_e32 v1, 1, v1
	v_and_b32_e32 v1, 3, v1
	s_mov_b32 s3, s2
	v_cmp_ne_u32_e32 vcc, 0, v1
	v_pk_mov_b32 v[22:23], s[2:3], s[2:3] op_sel:[0,1]
	v_pk_mov_b32 v[24:25], s[2:3], s[2:3] op_sel:[0,1]
	v_mov_b32_e32 v26, v18
	v_pk_mov_b32 v[28:29], v[20:21], v[20:21] op_sel:[0,1]
	s_and_saveexec_b64 s[2:3], vcc
	s_cbranch_execz .LBB75_19
; %bb.16:
	v_mov_b32_e32 v24, 0
	v_lshlrev_b32_e32 v1, 4, v1
	s_mov_b64 s[10:11], 0
	v_mov_b32_e32 v2, s13
	v_mov_b32_e32 v3, s7
	v_pk_mov_b32 v[28:29], v[20:21], v[20:21] op_sel:[0,1]
	v_mov_b32_e32 v26, v18
	v_mov_b32_e32 v25, v24
	;; [unrolled: 1-line block ×4, first 2 shown]
.LBB75_17:                              ; =>This Inner Loop Header: Depth=1
	v_ashrrev_i32_e32 v27, 31, v26
	v_lshlrev_b64 v[4:5], 2, v[26:27]
	v_add_co_u32_e32 v8, vcc, s12, v4
	v_addc_co_u32_e32 v9, vcc, v2, v5, vcc
	global_load_dword v10, v[8:9], off
	global_load_dwordx4 v[4:7], v[28:29], off
	v_add_u32_e32 v1, -16, v1
	v_add_u32_e32 v26, 4, v26
	s_waitcnt vmcnt(1)
	v_subrev_u32_e32 v8, s20, v10
	v_lshlrev_b32_e32 v8, 2, v8
	v_ashrrev_i32_e32 v9, 31, v8
	v_add_co_u32_e32 v8, vcc, s6, v8
	v_addc_co_u32_e32 v9, vcc, v3, v9, vcc
	global_load_dword v19, v[8:9], off
	s_waitcnt vmcnt(1)
	v_bfe_i32 v8, v4, 0, 8
	v_lshrrev_b32_e32 v9, 8, v4
	v_lshrrev_b32_e32 v10, 16, v4
	v_lshrrev_b32_e32 v4, 24, v4
	v_lshrrev_b32_e32 v12, 8, v5
	v_lshrrev_b32_e32 v13, 16, v5
	v_lshrrev_b32_e32 v15, 8, v6
	v_bfe_i32 v11, v5, 0, 8
	v_lshrrev_b32_e32 v5, 24, v5
	v_bfe_i32 v14, v6, 0, 8
	v_lshrrev_b32_e32 v27, 16, v6
	v_lshrrev_b32_e32 v6, 24, v6
	v_bfe_i32 v35, v9, 0, 8
	v_bfe_i32 v36, v4, 0, 8
	v_bfe_i32 v9, v12, 0, 8
	v_bfe_i32 v12, v13, 0, 8
	v_bfe_i32 v37, v15, 0, 8
	v_bfe_i32 v32, v7, 0, 8
	v_lshrrev_b32_e32 v33, 8, v7
	v_lshrrev_b32_e32 v34, 16, v7
	;; [unrolled: 1-line block ×3, first 2 shown]
	v_bfe_i32 v13, v5, 0, 8
	v_bfe_i32 v27, v27, 0, 8
	;; [unrolled: 1-line block ×3, first 2 shown]
	v_cvt_f32_i32_sdwa v5, sext(v11) dst_sel:DWORD dst_unused:UNUSED_PAD src0_sel:WORD_0
	v_cvt_f32_i32_sdwa v6, sext(v14) dst_sel:DWORD dst_unused:UNUSED_PAD src0_sel:WORD_0
	;; [unrolled: 1-line block ×5, first 2 shown]
	v_bfe_i32 v15, v33, 0, 8
	v_bfe_i32 v33, v34, 0, 8
	;; [unrolled: 1-line block ×3, first 2 shown]
	v_cvt_f32_i32_sdwa v4, sext(v8) dst_sel:DWORD dst_unused:UNUSED_PAD src0_sel:WORD_0
	v_cvt_f32_i32_sdwa v7, sext(v32) dst_sel:DWORD dst_unused:UNUSED_PAD src0_sel:WORD_0
	;; [unrolled: 1-line block ×3, first 2 shown]
	v_bfe_i32 v10, v10, 0, 8
	v_cvt_f32_i32_sdwa v9, sext(v9) dst_sel:DWORD dst_unused:UNUSED_PAD src0_sel:WORD_0
	v_cvt_f32_i32_sdwa v8, sext(v35) dst_sel:DWORD dst_unused:UNUSED_PAD src0_sel:WORD_0
	v_cvt_f32_i32_sdwa v15, sext(v15) dst_sel:DWORD dst_unused:UNUSED_PAD src0_sel:WORD_0
	v_cvt_f32_i32_sdwa v35, sext(v34) dst_sel:DWORD dst_unused:UNUSED_PAD src0_sel:WORD_0
	v_cvt_f32_i32_sdwa v34, sext(v38) dst_sel:DWORD dst_unused:UNUSED_PAD src0_sel:WORD_0
	v_cvt_f32_i32_sdwa v10, sext(v10) dst_sel:DWORD dst_unused:UNUSED_PAD src0_sel:WORD_0
	v_cvt_f32_i32_sdwa v33, sext(v33) dst_sel:DWORD dst_unused:UNUSED_PAD src0_sel:WORD_0
	v_cvt_f32_i32_sdwa v13, sext(v13) dst_sel:DWORD dst_unused:UNUSED_PAD src0_sel:WORD_0
	v_add_co_u32_e32 v28, vcc, 64, v28
	v_addc_co_u32_e32 v29, vcc, 0, v29, vcc
	v_cmp_eq_u32_e32 vcc, 0, v1
	s_or_b64 s[10:11], vcc, s[10:11]
	s_waitcnt vmcnt(0)
	v_bfe_i32 v36, v19, 0, 8
	v_lshrrev_b32_e32 v37, 8, v19
	v_lshrrev_b32_e32 v27, 16, v19
	v_bfe_i32 v37, v37, 0, 8
	v_cvt_f32_i32_sdwa v36, sext(v36) dst_sel:DWORD dst_unused:UNUSED_PAD src0_sel:WORD_0
	v_lshrrev_b32_e32 v19, 24, v19
	v_bfe_i32 v27, v27, 0, 8
	v_cvt_f32_i32_sdwa v38, sext(v37) dst_sel:DWORD dst_unused:UNUSED_PAD src0_sel:WORD_0
	v_bfe_i32 v19, v19, 0, 8
	v_cvt_f32_i32_sdwa v40, sext(v27) dst_sel:DWORD dst_unused:UNUSED_PAD src0_sel:WORD_0
	v_cvt_f32_i32_sdwa v42, sext(v19) dst_sel:DWORD dst_unused:UNUSED_PAD src0_sel:WORD_0
	v_pk_fma_f32 v[4:5], v[4:5], v[36:37], v[24:25] op_sel_hi:[1,0,1]
	v_pk_fma_f32 v[6:7], v[6:7], v[36:37], v[22:23] op_sel_hi:[1,0,1]
	;; [unrolled: 1-line block ×8, first 2 shown]
	s_andn2_b64 exec, exec, s[10:11]
	s_cbranch_execnz .LBB75_17
; %bb.18:
	s_or_b64 exec, exec, s[10:11]
.LBB75_19:
	s_or_b64 exec, exec, s[2:3]
	v_cmp_lt_u32_e32 vcc, 11, v0
	s_and_saveexec_b64 s[10:11], vcc
	s_cbranch_execz .LBB75_23
; %bb.20:
	s_mov_b64 s[14:15], 0
	v_mov_b32_e32 v19, s13
	v_mov_b32_e32 v32, s7
.LBB75_21:                              ; =>This Inner Loop Header: Depth=1
	v_ashrrev_i32_e32 v27, 31, v26
	v_lshlrev_b64 v[34:35], 2, v[26:27]
	v_add_co_u32_e64 v34, s[2:3], s12, v34
	v_addc_co_u32_e64 v35, s[2:3], v19, v35, s[2:3]
	global_load_dwordx4 v[0:3], v[28:29], off
	global_load_dwordx4 v[8:11], v[28:29], off offset:64
	global_load_dwordx4 v[12:15], v[28:29], off offset:128
	global_load_dwordx4 v[4:7], v[28:29], off offset:192
	global_load_dword v27, v[34:35], off
	v_add_co_u32_e32 v28, vcc, 0x100, v28
	v_add_u32_e32 v26, 16, v26
	v_addc_co_u32_e32 v29, vcc, 0, v29, vcc
	v_cmp_ge_i32_e32 vcc, v26, v30
	s_or_b64 s[14:15], vcc, s[14:15]
	s_waitcnt vmcnt(4)
	v_bfe_i32 v42, v2, 0, 8
	v_lshrrev_b32_e32 v43, 8, v2
	v_lshrrev_b32_e32 v44, 16, v2
	;; [unrolled: 1-line block ×3, first 2 shown]
	s_waitcnt vmcnt(0)
	v_subrev_u32_e32 v2, s20, v27
	v_lshlrev_b32_e32 v2, 2, v2
	v_bfe_i32 v46, v3, 0, 8
	v_lshrrev_b32_e32 v47, 8, v3
	v_lshrrev_b32_e32 v48, 16, v3
	;; [unrolled: 1-line block ×3, first 2 shown]
	v_ashrrev_i32_e32 v3, 31, v2
	v_add_co_u32_e32 v2, vcc, s6, v2
	v_addc_co_u32_e32 v3, vcc, v32, v3, vcc
	global_load_dword v27, v[2:3], off
	v_bfe_i32 v33, v0, 0, 8
	v_lshrrev_b32_e32 v36, 8, v0
	v_lshrrev_b32_e32 v37, 16, v0
	v_lshrrev_b32_e32 v38, 24, v0
	v_bfe_i32 v0, v1, 0, 8
	v_lshrrev_b32_e32 v39, 8, v1
	v_lshrrev_b32_e32 v40, 16, v1
	v_lshrrev_b32_e32 v41, 24, v1
	;; [unrolled: 4-line block ×4, first 2 shown]
	v_cvt_f32_i32_sdwa v1, sext(v0) dst_sel:DWORD dst_unused:UNUSED_PAD src0_sel:WORD_0
	v_cvt_f32_i32_sdwa v0, sext(v33) dst_sel:DWORD dst_unused:UNUSED_PAD src0_sel:WORD_0
	;; [unrolled: 1-line block ×4, first 2 shown]
	v_lshrrev_b32_e32 v33, 8, v11
	v_lshrrev_b32_e32 v42, 16, v11
	;; [unrolled: 1-line block ×3, first 2 shown]
	v_bfe_i32 v58, v10, 0, 8
	v_bfe_i32 v53, v53, 0, 8
	;; [unrolled: 1-line block ×4, first 2 shown]
	v_lshrrev_b32_e32 v61, 24, v7
	v_bfe_i32 v61, v61, 0, 8
	s_waitcnt vmcnt(0)
	v_bfe_i32 v2, v27, 0, 8
	v_cvt_f32_i32_sdwa v2, sext(v2) dst_sel:DWORD dst_unused:UNUSED_PAD src0_sel:WORD_0
	v_pk_fma_f32 v[0:1], v[0:1], v[2:3], v[24:25] op_sel_hi:[1,0,1]
	v_pk_fma_f32 v[2:3], v[8:9], v[2:3], v[22:23] op_sel_hi:[1,0,1]
	v_bfe_i32 v23, v11, 0, 8
	global_load_dword v11, v[34:35], off offset:16
	global_load_dword v59, v[34:35], off offset:32
	;; [unrolled: 1-line block ×3, first 2 shown]
	v_lshrrev_b32_e32 v24, 8, v10
	v_lshrrev_b32_e32 v25, 16, v10
	;; [unrolled: 1-line block ×4, first 2 shown]
	v_bfe_i32 v8, v36, 0, 8
	v_bfe_i32 v9, v39, 0, 8
	;; [unrolled: 1-line block ×3, first 2 shown]
	v_cvt_f32_i32_sdwa v9, sext(v9) dst_sel:DWORD dst_unused:UNUSED_PAD src0_sel:WORD_0
	v_cvt_f32_i32_sdwa v8, sext(v8) dst_sel:DWORD dst_unused:UNUSED_PAD src0_sel:WORD_0
	;; [unrolled: 1-line block ×3, first 2 shown]
	v_lshrrev_b32_e32 v36, 16, v12
	v_bfe_i32 v36, v36, 0, 8
	v_bfe_i32 v34, v12, 0, 8
	v_lshrrev_b32_e32 v35, 8, v12
	v_lshrrev_b32_e32 v12, 24, v12
	;; [unrolled: 1-line block ×3, first 2 shown]
	v_bfe_i32 v62, v12, 0, 8
	v_cvt_f32_i32_sdwa v12, sext(v53) dst_sel:DWORD dst_unused:UNUSED_PAD src0_sel:WORD_0
	v_bfe_i32 v22, v22, 0, 8
	v_bfe_i32 v35, v35, 0, 8
	;; [unrolled: 1-line block ×3, first 2 shown]
	v_cvt_f32_i32_sdwa v53, sext(v61) dst_sel:DWORD dst_unused:UNUSED_PAD src0_sel:WORD_0
	s_waitcnt vmcnt(2)
	v_pk_fma_f32 v[0:1], v[8:9], v[10:11], v[0:1] op_sel_hi:[1,0,1]
	v_bfe_i32 v8, v43, 0, 8
	v_bfe_i32 v9, v47, 0, 8
	v_cvt_f32_i32_sdwa v9, sext(v9) dst_sel:DWORD dst_unused:UNUSED_PAD src0_sel:WORD_0
	v_cvt_f32_i32_sdwa v8, sext(v8) dst_sel:DWORD dst_unused:UNUSED_PAD src0_sel:WORD_0
	v_bfe_i32 v47, v4, 0, 8
	v_bfe_i32 v43, v14, 0, 8
	v_pk_fma_f32 v[2:3], v[8:9], v[10:11], v[2:3] op_sel_hi:[1,0,1]
	v_lshrrev_b32_e32 v10, 16, v27
	v_bfe_i32 v8, v37, 0, 8
	v_bfe_i32 v9, v40, 0, 8
	;; [unrolled: 1-line block ×3, first 2 shown]
	v_cvt_f32_i32_sdwa v9, sext(v9) dst_sel:DWORD dst_unused:UNUSED_PAD src0_sel:WORD_0
	v_cvt_f32_i32_sdwa v8, sext(v8) dst_sel:DWORD dst_unused:UNUSED_PAD src0_sel:WORD_0
	;; [unrolled: 1-line block ×3, first 2 shown]
	v_bfe_i32 v37, v13, 0, 8
	v_lshrrev_b32_e32 v40, 16, v13
	v_lshrrev_b32_e32 v13, 24, v13
	v_pk_fma_f32 v[0:1], v[8:9], v[10:11], v[0:1] op_sel_hi:[1,0,1]
	v_bfe_i32 v8, v44, 0, 8
	v_bfe_i32 v9, v48, 0, 8
	v_cvt_f32_i32_sdwa v9, sext(v9) dst_sel:DWORD dst_unused:UNUSED_PAD src0_sel:WORD_0
	v_cvt_f32_i32_sdwa v8, sext(v8) dst_sel:DWORD dst_unused:UNUSED_PAD src0_sel:WORD_0
	v_lshrrev_b32_e32 v48, 24, v4
	v_bfe_i32 v63, v13, 0, 8
	v_cvt_f32_i32_sdwa v13, sext(v57) dst_sel:DWORD dst_unused:UNUSED_PAD src0_sel:WORD_0
	v_pk_fma_f32 v[2:3], v[8:9], v[10:11], v[2:3] op_sel_hi:[1,0,1]
	v_lshrrev_b32_e32 v10, 24, v27
	v_bfe_i32 v8, v38, 0, 8
	v_bfe_i32 v9, v41, 0, 8
	;; [unrolled: 1-line block ×3, first 2 shown]
	v_cvt_f32_i32_sdwa v9, sext(v9) dst_sel:DWORD dst_unused:UNUSED_PAD src0_sel:WORD_0
	v_cvt_f32_i32_sdwa v8, sext(v8) dst_sel:DWORD dst_unused:UNUSED_PAD src0_sel:WORD_0
	;; [unrolled: 1-line block ×3, first 2 shown]
	v_lshrrev_b32_e32 v27, 8, v14
	v_bfe_i32 v27, v27, 0, 8
	v_lshrrev_b32_e32 v38, 16, v14
	v_pk_fma_f32 v[0:1], v[8:9], v[10:11], v[0:1] op_sel_hi:[1,0,1]
	v_bfe_i32 v8, v45, 0, 8
	v_bfe_i32 v9, v49, 0, 8
	v_cvt_f32_i32_sdwa v9, sext(v9) dst_sel:DWORD dst_unused:UNUSED_PAD src0_sel:WORD_0
	v_cvt_f32_i32_sdwa v8, sext(v8) dst_sel:DWORD dst_unused:UNUSED_PAD src0_sel:WORD_0
	v_bfe_i32 v49, v5, 0, 8
	v_lshrrev_b32_e32 v14, 24, v14
	v_bfe_i32 v41, v15, 0, 8
	v_pk_fma_f32 v[2:3], v[8:9], v[10:11], v[2:3] op_sel_hi:[1,0,1]
	v_subrev_u32_e32 v10, s20, v11
	v_lshlrev_b32_e32 v10, 2, v10
	v_ashrrev_i32_e32 v11, 31, v10
	v_add_co_u32_e32 v10, vcc, s6, v10
	v_addc_co_u32_e32 v11, vcc, v32, v11, vcc
	v_cvt_f32_i32_sdwa v9, sext(v54) dst_sel:DWORD dst_unused:UNUSED_PAD src0_sel:WORD_0
	global_load_dword v54, v[10:11], off
	v_cvt_f32_i32_sdwa v8, sext(v50) dst_sel:DWORD dst_unused:UNUSED_PAD src0_sel:WORD_0
	v_lshrrev_b32_e32 v50, 8, v5
	v_lshrrev_b32_e32 v44, 8, v15
	;; [unrolled: 1-line block ×4, first 2 shown]
	v_bfe_i32 v64, v14, 0, 8
	v_bfe_i32 v65, v15, 0, 8
	v_cvt_f32_i32_sdwa v15, sext(v46) dst_sel:DWORD dst_unused:UNUSED_PAD src0_sel:WORD_0
	v_cvt_f32_i32_sdwa v14, sext(v22) dst_sel:DWORD dst_unused:UNUSED_PAD src0_sel:WORD_0
	v_bfe_i32 v44, v44, 0, 8
	v_bfe_i32 v40, v40, 0, 8
	;; [unrolled: 1-line block ×4, first 2 shown]
	v_cvt_f32_i32_sdwa v22, sext(v35) dst_sel:DWORD dst_unused:UNUSED_PAD src0_sel:WORD_0
	v_cvt_f32_i32_sdwa v38, sext(v38) dst_sel:DWORD dst_unused:UNUSED_PAD src0_sel:WORD_0
	;; [unrolled: 1-line block ×3, first 2 shown]
	v_bfe_i32 v48, v48, 0, 8
	v_cvt_f32_i32_sdwa v46, sext(v48) dst_sel:DWORD dst_unused:UNUSED_PAD src0_sel:WORD_0
	s_waitcnt vmcnt(0)
	v_bfe_i32 v10, v54, 0, 8
	v_cvt_f32_i32_sdwa v10, sext(v10) dst_sel:DWORD dst_unused:UNUSED_PAD src0_sel:WORD_0
	v_pk_fma_f32 v[0:1], v[8:9], v[10:11], v[0:1] op_sel_hi:[1,0,1]
	v_cvt_f32_i32_sdwa v9, sext(v23) dst_sel:DWORD dst_unused:UNUSED_PAD src0_sel:WORD_0
	v_cvt_f32_i32_sdwa v8, sext(v58) dst_sel:DWORD dst_unused:UNUSED_PAD src0_sel:WORD_0
	v_lshrrev_b32_e32 v11, 8, v4
	v_lshrrev_b32_e32 v23, 16, v4
	v_bfe_i32 v4, v51, 0, 8
	v_pk_fma_f32 v[2:3], v[8:9], v[10:11], v[2:3] op_sel_hi:[1,0,1]
	v_bfe_i32 v8, v55, 0, 8
	v_cvt_f32_i32_sdwa v9, sext(v8) dst_sel:DWORD dst_unused:UNUSED_PAD src0_sel:WORD_0
	v_cvt_f32_i32_sdwa v8, sext(v4) dst_sel:DWORD dst_unused:UNUSED_PAD src0_sel:WORD_0
	v_lshrrev_b32_e32 v4, 8, v54
	v_bfe_i32 v4, v4, 0, 8
	v_cvt_f32_i32_sdwa v4, sext(v4) dst_sel:DWORD dst_unused:UNUSED_PAD src0_sel:WORD_0
	v_bfe_i32 v66, v11, 0, 8
	v_bfe_i32 v51, v6, 0, 8
	;; [unrolled: 1-line block ×3, first 2 shown]
	v_pk_fma_f32 v[0:1], v[8:9], v[4:5], v[0:1] op_sel_hi:[1,0,1]
	v_bfe_i32 v8, v24, 0, 8
	v_bfe_i32 v9, v33, 0, 8
	v_cvt_f32_i32_sdwa v9, sext(v9) dst_sel:DWORD dst_unused:UNUSED_PAD src0_sel:WORD_0
	v_cvt_f32_i32_sdwa v8, sext(v8) dst_sel:DWORD dst_unused:UNUSED_PAD src0_sel:WORD_0
	v_lshrrev_b32_e32 v24, 16, v5
	v_lshrrev_b32_e32 v33, 24, v5
	;; [unrolled: 1-line block ×3, first 2 shown]
	v_pk_fma_f32 v[2:3], v[8:9], v[4:5], v[2:3] op_sel_hi:[1,0,1]
	v_lshrrev_b32_e32 v8, 16, v54
	v_bfe_i32 v4, v52, 0, 8
	v_bfe_i32 v5, v56, 0, 8
	;; [unrolled: 1-line block ×3, first 2 shown]
	v_cvt_f32_i32_sdwa v5, sext(v5) dst_sel:DWORD dst_unused:UNUSED_PAD src0_sel:WORD_0
	v_cvt_f32_i32_sdwa v4, sext(v4) dst_sel:DWORD dst_unused:UNUSED_PAD src0_sel:WORD_0
	;; [unrolled: 1-line block ×3, first 2 shown]
	v_lshrrev_b32_e32 v52, 8, v6
	v_lshrrev_b32_e32 v56, 8, v7
	v_bfe_i32 v56, v56, 0, 8
	v_pk_fma_f32 v[0:1], v[4:5], v[8:9], v[0:1] op_sel_hi:[1,0,1]
	v_bfe_i32 v4, v25, 0, 8
	v_bfe_i32 v5, v42, 0, 8
	v_cvt_f32_i32_sdwa v5, sext(v5) dst_sel:DWORD dst_unused:UNUSED_PAD src0_sel:WORD_0
	v_cvt_f32_i32_sdwa v4, sext(v4) dst_sel:DWORD dst_unused:UNUSED_PAD src0_sel:WORD_0
	v_lshrrev_b32_e32 v25, 16, v6
	v_lshrrev_b32_e32 v42, 24, v6
	v_cvt_f32_i32_sdwa v6, sext(v43) dst_sel:DWORD dst_unused:UNUSED_PAD src0_sel:WORD_0
	v_pk_fma_f32 v[2:3], v[4:5], v[8:9], v[2:3] op_sel_hi:[1,0,1]
	v_subrev_u32_e32 v8, s20, v59
	v_subrev_u32_e32 v9, s20, v60
	v_lshlrev_b32_e32 v8, 2, v8
	v_lshlrev_b32_e32 v10, 2, v9
	v_ashrrev_i32_e32 v9, 31, v8
	v_add_co_u32_e32 v8, vcc, s6, v8
	v_addc_co_u32_e32 v9, vcc, v32, v9, vcc
	v_ashrrev_i32_e32 v11, 31, v10
	v_add_co_u32_e32 v10, vcc, s6, v10
	v_addc_co_u32_e32 v11, vcc, v32, v11, vcc
	global_load_dword v59, v[8:9], off
	global_load_dword v60, v[10:11], off
	v_bfe_i32 v43, v50, 0, 8
	v_bfe_i32 v50, v24, 0, 8
	v_cvt_f32_i32_sdwa v24, sext(v36) dst_sel:DWORD dst_unused:UNUSED_PAD src0_sel:WORD_0
	v_cvt_f32_i32_sdwa v36, sext(v27) dst_sel:DWORD dst_unused:UNUSED_PAD src0_sel:WORD_0
	v_lshrrev_b32_e32 v27, 24, v54
	v_bfe_i32 v27, v27, 0, 8
	v_cvt_f32_i32_sdwa v54, sext(v27) dst_sel:DWORD dst_unused:UNUSED_PAD src0_sel:WORD_0
	v_cvt_f32_i32_sdwa v11, sext(v55) dst_sel:DWORD dst_unused:UNUSED_PAD src0_sel:WORD_0
	;; [unrolled: 1-line block ×7, first 2 shown]
	v_bfe_i32 v33, v33, 0, 8
	v_cvt_f32_i32_sdwa v8, sext(v47) dst_sel:DWORD dst_unused:UNUSED_PAD src0_sel:WORD_0
	v_cvt_f32_i32_sdwa v47, sext(v33) dst_sel:DWORD dst_unused:UNUSED_PAD src0_sel:WORD_0
	v_bfe_i32 v67, v23, 0, 8
	v_cvt_f32_i32_sdwa v23, sext(v39) dst_sel:DWORD dst_unused:UNUSED_PAD src0_sel:WORD_0
	v_cvt_f32_i32_sdwa v37, sext(v44) dst_sel:DWORD dst_unused:UNUSED_PAD src0_sel:WORD_0
	;; [unrolled: 3-line block ×3, first 2 shown]
	v_cvt_f32_i32_sdwa v34, sext(v62) dst_sel:DWORD dst_unused:UNUSED_PAD src0_sel:WORD_0
	v_cvt_f32_i32_sdwa v41, sext(v65) dst_sel:DWORD dst_unused:UNUSED_PAD src0_sel:WORD_0
	;; [unrolled: 1-line block ×3, first 2 shown]
	v_bfe_i32 v52, v52, 0, 8
	v_cvt_f32_i32_sdwa v10, sext(v51) dst_sel:DWORD dst_unused:UNUSED_PAD src0_sel:WORD_0
	v_bfe_i32 v69, v42, 0, 8
	v_bfe_i32 v58, v58, 0, 8
	v_cvt_f32_i32_sdwa v43, sext(v43) dst_sel:DWORD dst_unused:UNUSED_PAD src0_sel:WORD_0
	v_cvt_f32_i32_sdwa v42, sext(v66) dst_sel:DWORD dst_unused:UNUSED_PAD src0_sel:WORD_0
	;; [unrolled: 1-line block ×8, first 2 shown]
	s_waitcnt vmcnt(1)
	v_bfe_i32 v55, v59, 0, 8
	v_pk_fma_f32 v[0:1], v[12:13], v[54:55], v[0:1] op_sel_hi:[1,0,1]
	v_lshrrev_b32_e32 v12, 8, v59
	v_bfe_i32 v56, v12, 0, 8
	v_cvt_f32_i32_sdwa v12, sext(v55) dst_sel:DWORD dst_unused:UNUSED_PAD src0_sel:WORD_0
	v_lshrrev_b32_e32 v13, 24, v59
	v_lshrrev_b32_e32 v33, 16, v59
	v_bfe_i32 v13, v13, 0, 8
	v_pk_fma_f32 v[2:3], v[14:15], v[54:55], v[2:3] op_sel_hi:[1,0,1]
	s_waitcnt vmcnt(0)
	v_lshrrev_b32_e32 v54, 24, v60
	v_bfe_i32 v33, v33, 0, 8
	v_pk_fma_f32 v[0:1], v[4:5], v[12:13], v[0:1] op_sel_hi:[1,0,1]
	v_cvt_f32_i32_sdwa v4, sext(v56) dst_sel:DWORD dst_unused:UNUSED_PAD src0_sel:WORD_0
	v_bfe_i32 v55, v54, 0, 8
	v_cvt_f32_i32_sdwa v54, sext(v33) dst_sel:DWORD dst_unused:UNUSED_PAD src0_sel:WORD_0
	v_bfe_i32 v14, v60, 0, 8
	v_lshrrev_b32_e32 v15, 8, v60
	v_pk_fma_f32 v[2:3], v[6:7], v[12:13], v[2:3] op_sel_hi:[1,0,1]
	v_cvt_f32_i32_sdwa v6, sext(v13) dst_sel:DWORD dst_unused:UNUSED_PAD src0_sel:WORD_0
	v_lshrrev_b32_e32 v27, 16, v60
	v_bfe_i32 v15, v15, 0, 8
	v_cvt_f32_i32_sdwa v14, sext(v14) dst_sel:DWORD dst_unused:UNUSED_PAD src0_sel:WORD_0
	v_bfe_i32 v27, v27, 0, 8
	v_cvt_f32_i32_sdwa v12, sext(v15) dst_sel:DWORD dst_unused:UNUSED_PAD src0_sel:WORD_0
	v_pk_fma_f32 v[0:1], v[22:23], v[4:5], v[0:1] op_sel_hi:[1,0,1]
	v_pk_fma_f32 v[2:3], v[36:37], v[4:5], v[2:3] op_sel_hi:[1,0,1]
	v_cvt_f32_i32_sdwa v56, sext(v27) dst_sel:DWORD dst_unused:UNUSED_PAD src0_sel:WORD_0
	v_pk_fma_f32 v[0:1], v[24:25], v[54:55], v[0:1] op_sel_hi:[1,0,1]
	v_pk_fma_f32 v[2:3], v[38:39], v[54:55], v[2:3] op_sel_hi:[1,0,1]
	;; [unrolled: 3-line block ×3, first 2 shown]
	v_pk_fma_f32 v[0:1], v[8:9], v[14:15], v[0:1] op_sel_hi:[1,0,1]
	v_pk_fma_f32 v[2:3], v[10:11], v[14:15], v[2:3] op_sel_hi:[1,0,1]
	;; [unrolled: 1-line block ×8, first 2 shown]
	s_andn2_b64 exec, exec, s[14:15]
	s_cbranch_execnz .LBB75_21
; %bb.22:
	s_or_b64 exec, exec, s[14:15]
.LBB75_23:
	s_or_b64 exec, exec, s[10:11]
.LBB75_24:
	s_or_b64 exec, exec, s[8:9]
	s_cbranch_execz .LBB75_26
	s_branch .LBB75_37
.LBB75_25:
                                        ; implicit-def: $vgpr23
                                        ; implicit-def: $vgpr25
.LBB75_26:
	s_mov_b32 s8, 0
	v_mov_b32_e32 v23, 0
	v_mov_b32_e32 v22, 0
	;; [unrolled: 1-line block ×4, first 2 shown]
	s_and_saveexec_b64 s[2:3], s[0:1]
	s_cbranch_execz .LBB75_36
; %bb.27:
	v_add_u32_e32 v0, v31, v17
	v_subrev_u32_e32 v0, s20, v0
	v_add_u32_e32 v0, 4, v0
	v_max_i32_e32 v0, v0, v30
	v_not_b32_e32 v1, v31
	v_add3_u32 v0, v0, s20, v1
	v_sub_u32_e32 v0, v0, v17
	v_lshrrev_b32_e32 v1, 2, v0
	v_add_u32_e32 v1, 1, v1
	v_and_b32_e32 v1, 3, v1
	s_mov_b32 s9, s8
	v_cmp_ne_u32_e32 vcc, 0, v1
	v_pk_mov_b32 v[22:23], s[8:9], s[8:9] op_sel:[0,1]
	v_pk_mov_b32 v[24:25], s[8:9], s[8:9] op_sel:[0,1]
	s_and_saveexec_b64 s[0:1], vcc
	s_cbranch_execz .LBB75_31
; %bb.28:
	v_mov_b32_e32 v24, 0
	v_lshlrev_b32_e32 v1, 4, v1
	s_mov_b64 s[8:9], 0
	v_mov_b32_e32 v2, s13
	v_mov_b32_e32 v3, s7
	;; [unrolled: 1-line block ×5, first 2 shown]
.LBB75_29:                              ; =>This Inner Loop Header: Depth=1
	v_ashrrev_i32_e32 v19, 31, v18
	v_lshlrev_b64 v[4:5], 2, v[18:19]
	v_add_co_u32_e32 v8, vcc, s12, v4
	v_addc_co_u32_e32 v9, vcc, v2, v5, vcc
	global_load_dword v10, v[8:9], off
	global_load_dwordx4 v[4:7], v[20:21], off
	v_add_u32_e32 v1, -16, v1
	v_add_u32_e32 v18, 4, v18
	s_waitcnt vmcnt(1)
	v_subrev_u32_e32 v8, s20, v10
	v_lshlrev_b32_e32 v8, 2, v8
	v_ashrrev_i32_e32 v9, 31, v8
	v_add_co_u32_e32 v8, vcc, s6, v8
	v_addc_co_u32_e32 v9, vcc, v3, v9, vcc
	global_load_dword v19, v[8:9], off
	s_waitcnt vmcnt(1)
	v_lshrrev_b32_e32 v8, 8, v4
	v_bfe_i32 v9, v4, 0, 8
	v_lshrrev_b32_e32 v10, 16, v4
	v_lshrrev_b32_e32 v4, 24, v4
	;; [unrolled: 1-line block ×4, first 2 shown]
	v_bfe_i32 v12, v5, 0, 8
	v_bfe_i32 v15, v6, 0, 8
	v_lshrrev_b32_e32 v26, 16, v6
	v_lshrrev_b32_e32 v6, 24, v6
	v_bfe_i32 v32, v10, 0, 8
	v_bfe_i32 v33, v4, 0, 8
	;; [unrolled: 1-line block ×4, first 2 shown]
	v_lshrrev_b32_e32 v11, 8, v5
	v_lshrrev_b32_e32 v5, 24, v5
	;; [unrolled: 1-line block ×3, first 2 shown]
	v_bfe_i32 v31, v8, 0, 8
	v_bfe_i32 v36, v6, 0, 8
	v_cvt_f32_i32_sdwa v4, sext(v9) dst_sel:DWORD dst_unused:UNUSED_PAD src0_sel:WORD_0
	v_cvt_f32_i32_sdwa v6, sext(v12) dst_sel:DWORD dst_unused:UNUSED_PAD src0_sel:WORD_0
	;; [unrolled: 1-line block ×5, first 2 shown]
	v_bfe_i32 v28, v7, 0, 8
	v_lshrrev_b32_e32 v29, 16, v7
	v_lshrrev_b32_e32 v7, 24, v7
	v_bfe_i32 v11, v11, 0, 8
	v_bfe_i32 v35, v5, 0, 8
	;; [unrolled: 1-line block ×3, first 2 shown]
	v_cvt_f32_i32_sdwa v5, sext(v31) dst_sel:DWORD dst_unused:UNUSED_PAD src0_sel:WORD_0
	v_bfe_i32 v26, v26, 0, 8
	v_bfe_i32 v37, v29, 0, 8
	;; [unrolled: 1-line block ×3, first 2 shown]
	v_cvt_f32_i32_sdwa v8, sext(v15) dst_sel:DWORD dst_unused:UNUSED_PAD src0_sel:WORD_0
	v_cvt_f32_i32_sdwa v7, sext(v11) dst_sel:DWORD dst_unused:UNUSED_PAD src0_sel:WORD_0
	;; [unrolled: 1-line block ×10, first 2 shown]
	v_add_co_u32_e32 v20, vcc, 64, v20
	v_addc_co_u32_e32 v21, vcc, 0, v21, vcc
	v_cmp_eq_u32_e32 vcc, 0, v1
	s_or_b64 s[8:9], vcc, s[8:9]
	s_waitcnt vmcnt(0)
	v_bfe_i32 v32, v19, 0, 8
	v_lshrrev_b32_e32 v33, 8, v19
	v_lshrrev_b32_e32 v31, 16, v19
	v_bfe_i32 v33, v33, 0, 8
	v_cvt_f32_i32_sdwa v32, sext(v32) dst_sel:DWORD dst_unused:UNUSED_PAD src0_sel:WORD_0
	v_lshrrev_b32_e32 v19, 24, v19
	v_bfe_i32 v31, v31, 0, 8
	v_cvt_f32_i32_sdwa v34, sext(v33) dst_sel:DWORD dst_unused:UNUSED_PAD src0_sel:WORD_0
	v_bfe_i32 v19, v19, 0, 8
	v_cvt_f32_i32_sdwa v36, sext(v31) dst_sel:DWORD dst_unused:UNUSED_PAD src0_sel:WORD_0
	v_cvt_f32_i32_sdwa v38, sext(v19) dst_sel:DWORD dst_unused:UNUSED_PAD src0_sel:WORD_0
	v_pk_fma_f32 v[4:5], v[4:5], v[32:33], v[24:25] op_sel_hi:[1,0,1]
	v_pk_fma_f32 v[12:13], v[12:13], v[32:33], v[22:23] op_sel_hi:[1,0,1]
	v_pk_fma_f32 v[4:5], v[6:7], v[34:35], v[4:5] op_sel_hi:[1,0,1]
	v_pk_fma_f32 v[6:7], v[14:15], v[34:35], v[12:13] op_sel_hi:[1,0,1]
	v_pk_fma_f32 v[4:5], v[8:9], v[36:37], v[4:5] op_sel_hi:[1,0,1]
	v_pk_fma_f32 v[6:7], v[26:27], v[36:37], v[6:7] op_sel_hi:[1,0,1]
	v_pk_fma_f32 v[24:25], v[10:11], v[38:39], v[4:5] op_sel_hi:[1,0,1]
	v_pk_fma_f32 v[22:23], v[28:29], v[38:39], v[6:7] op_sel_hi:[1,0,1]
	s_andn2_b64 exec, exec, s[8:9]
	s_cbranch_execnz .LBB75_29
; %bb.30:
	s_or_b64 exec, exec, s[8:9]
.LBB75_31:
	s_or_b64 exec, exec, s[0:1]
	v_cmp_lt_u32_e32 vcc, 11, v0
	s_and_saveexec_b64 s[0:1], vcc
	s_cbranch_execz .LBB75_35
; %bb.32:
	s_mov_b64 s[8:9], 0
	v_mov_b32_e32 v4, s13
	v_mov_b32_e32 v5, s7
.LBB75_33:                              ; =>This Inner Loop Header: Depth=1
	v_ashrrev_i32_e32 v19, 31, v18
	v_lshlrev_b64 v[14:15], 2, v[18:19]
	global_load_dwordx4 v[0:3], v[20:21], off
	global_load_dwordx4 v[6:9], v[20:21], off offset:64
	v_add_co_u32_e32 v14, vcc, s12, v14
	v_addc_co_u32_e32 v15, vcc, v4, v15, vcc
	global_load_dwordx4 v[10:13], v[20:21], off offset:128
	global_load_dwordx4 v[26:29], v[20:21], off offset:192
	global_load_dword v19, v[14:15], off
	global_load_dword v31, v[14:15], off offset:16
	global_load_dword v32, v[14:15], off offset:32
	;; [unrolled: 1-line block ×3, first 2 shown]
	v_add_u32_e32 v18, 16, v18
	s_waitcnt vmcnt(7)
	v_lshrrev_b32_e32 v40, 8, v2
	v_bfe_i32 v41, v2, 0, 8
	v_lshrrev_b32_e32 v42, 16, v2
	v_lshrrev_b32_e32 v43, 24, v2
	s_waitcnt vmcnt(3)
	v_subrev_u32_e32 v2, s20, v19
	v_lshrrev_b32_e32 v44, 8, v3
	v_bfe_i32 v45, v3, 0, 8
	v_lshrrev_b32_e32 v46, 16, v3
	v_lshrrev_b32_e32 v47, 24, v3
	s_waitcnt vmcnt(2)
	v_subrev_u32_e32 v3, s20, v31
	v_lshlrev_b32_e32 v2, 2, v2
	v_lshrrev_b32_e32 v56, 8, v8
	v_bfe_i32 v57, v8, 0, 8
	v_lshrrev_b32_e32 v58, 16, v8
	v_lshrrev_b32_e32 v59, 24, v8
	v_lshlrev_b32_e32 v8, 2, v3
	v_ashrrev_i32_e32 v3, 31, v2
	v_add_co_u32_e32 v2, vcc, s6, v2
	v_addc_co_u32_e32 v3, vcc, v5, v3, vcc
	global_load_dword v31, v[2:3], off
	v_lshrrev_b32_e32 v14, 8, v0
	v_lshrrev_b32_e32 v48, 8, v6
	v_bfe_i32 v49, v6, 0, 8
	v_lshrrev_b32_e32 v50, 16, v6
	v_lshrrev_b32_e32 v51, 24, v6
	;; [unrolled: 1-line block ×3, first 2 shown]
	v_bfe_i32 v53, v7, 0, 8
	v_lshrrev_b32_e32 v54, 16, v7
	v_lshrrev_b32_e32 v55, 24, v7
	s_waitcnt vmcnt(2)
	v_subrev_u32_e32 v6, s20, v32
	s_waitcnt vmcnt(1)
	v_subrev_u32_e32 v7, s20, v33
	v_lshrrev_b32_e32 v36, 8, v1
	v_bfe_i32 v37, v1, 0, 8
	v_lshrrev_b32_e32 v38, 16, v1
	v_lshrrev_b32_e32 v39, 24, v1
	;; [unrolled: 1-line block ×3, first 2 shown]
	v_bfe_i32 v61, v9, 0, 8
	v_lshrrev_b32_e32 v62, 16, v9
	v_lshrrev_b32_e32 v63, 24, v9
	v_bfe_i32 v1, v14, 0, 8
	v_lshlrev_b32_e32 v9, 2, v6
	v_lshlrev_b32_e32 v14, 2, v7
	v_ashrrev_i32_e32 v7, 31, v8
	v_add_co_u32_e32 v6, vcc, s6, v8
	v_addc_co_u32_e32 v7, vcc, v5, v7, vcc
	global_load_dword v64, v[6:7], off
	v_bfe_i32 v15, v0, 0, 8
	v_lshrrev_b32_e32 v34, 16, v0
	v_lshrrev_b32_e32 v35, 24, v0
	v_cvt_f32_i32_sdwa v0, sext(v15) dst_sel:DWORD dst_unused:UNUSED_PAD src0_sel:WORD_0
	v_ashrrev_i32_e32 v15, 31, v9
	v_add_co_u32_e32 v8, vcc, s6, v9
	v_addc_co_u32_e32 v9, vcc, v5, v15, vcc
	v_ashrrev_i32_e32 v19, 31, v14
	v_add_co_u32_e32 v14, vcc, s6, v14
	v_addc_co_u32_e32 v15, vcc, v5, v19, vcc
	global_load_dword v65, v[8:9], off
	global_load_dword v66, v[14:15], off
	v_cvt_f32_i32_sdwa v1, sext(v1) dst_sel:DWORD dst_unused:UNUSED_PAD src0_sel:WORD_0
	v_bfe_i32 v6, v35, 0, 8
	v_cvt_f32_i32_sdwa v7, sext(v6) dst_sel:DWORD dst_unused:UNUSED_PAD src0_sel:WORD_0
	v_lshrrev_b32_e32 v9, 24, v10
	v_lshrrev_b32_e32 v19, 8, v10
	v_bfe_i32 v19, v19, 0, 8
	v_bfe_i32 v35, v12, 0, 8
	v_lshrrev_b32_e32 v15, 16, v11
	v_lshrrev_b32_e32 v33, 16, v10
	;; [unrolled: 1-line block ×3, first 2 shown]
	v_bfe_i32 v32, v10, 0, 8
	v_cvt_f32_i32_sdwa v10, sext(v61) dst_sel:DWORD dst_unused:UNUSED_PAD src0_sel:WORD_0
	v_add_co_u32_e32 v20, vcc, 0x100, v20
	v_addc_co_u32_e32 v21, vcc, 0, v21, vcc
	v_cmp_ge_i32_e32 vcc, v18, v30
	s_or_b64 s[8:9], vcc, s[8:9]
	s_waitcnt vmcnt(3)
	v_bfe_i32 v2, v31, 0, 8
	v_cvt_f32_i32_sdwa v2, sext(v2) dst_sel:DWORD dst_unused:UNUSED_PAD src0_sel:WORD_0
	v_lshrrev_b32_e32 v8, 8, v31
	v_bfe_i32 v8, v8, 0, 8
	v_cvt_f32_i32_sdwa v8, sext(v8) dst_sel:DWORD dst_unused:UNUSED_PAD src0_sel:WORD_0
	v_pk_fma_f32 v[0:1], v[0:1], v[2:3], v[24:25] op_sel_hi:[1,0,1]
	v_bfe_i32 v3, v34, 0, 8
	v_cvt_f32_i32_sdwa v6, sext(v3) dst_sel:DWORD dst_unused:UNUSED_PAD src0_sel:WORD_0
	v_lshrrev_b32_e32 v24, 8, v13
	v_lshrrev_b32_e32 v25, 16, v13
	v_bfe_i32 v34, v11, 0, 8
	v_pk_fma_f32 v[2:3], v[6:7], v[2:3], v[22:23] op_sel_hi:[1,0,1]
	v_bfe_i32 v7, v36, 0, 8
	v_cvt_f32_i32_sdwa v6, sext(v37) dst_sel:DWORD dst_unused:UNUSED_PAD src0_sel:WORD_0
	v_cvt_f32_i32_sdwa v7, sext(v7) dst_sel:DWORD dst_unused:UNUSED_PAD src0_sel:WORD_0
	v_bfe_i32 v36, v13, 0, 8
	v_lshrrev_b32_e32 v13, 24, v13
	v_lshrrev_b32_e32 v37, 8, v26
	v_pk_fma_f32 v[0:1], v[6:7], v[8:9], v[0:1] op_sel_hi:[1,0,1]
	v_bfe_i32 v6, v38, 0, 8
	v_bfe_i32 v7, v39, 0, 8
	v_cvt_f32_i32_sdwa v7, sext(v7) dst_sel:DWORD dst_unused:UNUSED_PAD src0_sel:WORD_0
	v_cvt_f32_i32_sdwa v6, sext(v6) dst_sel:DWORD dst_unused:UNUSED_PAD src0_sel:WORD_0
	v_bfe_i32 v68, v13, 0, 8
	v_cvt_f32_i32_sdwa v13, sext(v19) dst_sel:DWORD dst_unused:UNUSED_PAD src0_sel:WORD_0
	v_bfe_i32 v19, v37, 0, 8
	v_pk_fma_f32 v[2:3], v[6:7], v[8:9], v[2:3] op_sel_hi:[1,0,1]
	v_lshrrev_b32_e32 v8, 16, v31
	v_bfe_i32 v7, v40, 0, 8
	v_bfe_i32 v8, v8, 0, 8
	v_cvt_f32_i32_sdwa v6, sext(v41) dst_sel:DWORD dst_unused:UNUSED_PAD src0_sel:WORD_0
	v_cvt_f32_i32_sdwa v7, sext(v7) dst_sel:DWORD dst_unused:UNUSED_PAD src0_sel:WORD_0
	;; [unrolled: 1-line block ×3, first 2 shown]
	v_bfe_i32 v38, v26, 0, 8
	v_lshrrev_b32_e32 v39, 16, v26
	v_lshrrev_b32_e32 v40, 24, v26
	v_pk_fma_f32 v[0:1], v[6:7], v[8:9], v[0:1] op_sel_hi:[1,0,1]
	v_bfe_i32 v6, v42, 0, 8
	v_bfe_i32 v7, v43, 0, 8
	v_cvt_f32_i32_sdwa v7, sext(v7) dst_sel:DWORD dst_unused:UNUSED_PAD src0_sel:WORD_0
	v_cvt_f32_i32_sdwa v6, sext(v6) dst_sel:DWORD dst_unused:UNUSED_PAD src0_sel:WORD_0
	v_lshrrev_b32_e32 v43, 8, v28
	v_bfe_i32 v26, v54, 0, 8
	v_lshrrev_b32_e32 v11, 24, v11
	v_pk_fma_f32 v[2:3], v[6:7], v[8:9], v[2:3] op_sel_hi:[1,0,1]
	v_lshrrev_b32_e32 v8, 24, v31
	v_bfe_i32 v7, v44, 0, 8
	v_bfe_i32 v8, v8, 0, 8
	v_cvt_f32_i32_sdwa v6, sext(v45) dst_sel:DWORD dst_unused:UNUSED_PAD src0_sel:WORD_0
	v_cvt_f32_i32_sdwa v7, sext(v7) dst_sel:DWORD dst_unused:UNUSED_PAD src0_sel:WORD_0
	;; [unrolled: 1-line block ×3, first 2 shown]
	v_bfe_i32 v45, v28, 0, 8
	v_lshrrev_b32_e32 v31, 8, v27
	v_bfe_i32 v44, v27, 0, 8
	v_pk_fma_f32 v[0:1], v[6:7], v[8:9], v[0:1] op_sel_hi:[1,0,1]
	v_bfe_i32 v6, v46, 0, 8
	v_bfe_i32 v7, v47, 0, 8
	v_cvt_f32_i32_sdwa v7, sext(v7) dst_sel:DWORD dst_unused:UNUSED_PAD src0_sel:WORD_0
	v_cvt_f32_i32_sdwa v6, sext(v6) dst_sel:DWORD dst_unused:UNUSED_PAD src0_sel:WORD_0
	v_lshrrev_b32_e32 v46, 16, v28
	v_lshrrev_b32_e32 v47, 24, v28
	v_bfe_i32 v28, v56, 0, 8
	v_pk_fma_f32 v[2:3], v[6:7], v[8:9], v[2:3] op_sel_hi:[1,0,1]
	v_bfe_i32 v7, v48, 0, 8
	s_waitcnt vmcnt(2)
	v_bfe_i32 v8, v64, 0, 8
	v_cvt_f32_i32_sdwa v6, sext(v49) dst_sel:DWORD dst_unused:UNUSED_PAD src0_sel:WORD_0
	v_cvt_f32_i32_sdwa v7, sext(v7) dst_sel:DWORD dst_unused:UNUSED_PAD src0_sel:WORD_0
	;; [unrolled: 1-line block ×3, first 2 shown]
	v_lshrrev_b32_e32 v41, 16, v27
	v_lshrrev_b32_e32 v42, 24, v27
	v_bfe_i32 v27, v55, 0, 8
	v_pk_fma_f32 v[0:1], v[6:7], v[8:9], v[0:1] op_sel_hi:[1,0,1]
	v_bfe_i32 v6, v50, 0, 8
	v_bfe_i32 v7, v51, 0, 8
	v_cvt_f32_i32_sdwa v7, sext(v7) dst_sel:DWORD dst_unused:UNUSED_PAD src0_sel:WORD_0
	v_cvt_f32_i32_sdwa v6, sext(v6) dst_sel:DWORD dst_unused:UNUSED_PAD src0_sel:WORD_0
	v_bfe_i32 v51, v58, 0, 8
	v_bfe_i32 v58, v15, 0, 8
	v_lshrrev_b32_e32 v22, 8, v12
	v_pk_fma_f32 v[2:3], v[6:7], v[8:9], v[2:3] op_sel_hi:[1,0,1]
	v_cvt_f32_i32_sdwa v8, sext(v57) dst_sel:DWORD dst_unused:UNUSED_PAD src0_sel:WORD_0
	v_bfe_i32 v57, v9, 0, 8
	v_cvt_f32_i32_sdwa v9, sext(v28) dst_sel:DWORD dst_unused:UNUSED_PAD src0_sel:WORD_0
	v_cvt_f32_i32_sdwa v28, sext(v35) dst_sel:DWORD dst_unused:UNUSED_PAD src0_sel:WORD_0
	;; [unrolled: 1-line block ×3, first 2 shown]
	v_lshrrev_b32_e32 v19, 8, v64
	v_bfe_i32 v7, v52, 0, 8
	v_bfe_i32 v19, v19, 0, 8
	v_cvt_f32_i32_sdwa v6, sext(v53) dst_sel:DWORD dst_unused:UNUSED_PAD src0_sel:WORD_0
	v_cvt_f32_i32_sdwa v7, sext(v7) dst_sel:DWORD dst_unused:UNUSED_PAD src0_sel:WORD_0
	v_bfe_i32 v53, v33, 0, 8
	v_bfe_i32 v33, v14, 0, 8
	v_cvt_f32_i32_sdwa v14, sext(v26) dst_sel:DWORD dst_unused:UNUSED_PAD src0_sel:WORD_0
	v_cvt_f32_i32_sdwa v26, sext(v34) dst_sel:DWORD dst_unused:UNUSED_PAD src0_sel:WORD_0
	;; [unrolled: 1-line block ×5, first 2 shown]
	v_bfe_i32 v52, v59, 0, 8
	v_bfe_i32 v59, v11, 0, 8
	v_lshrrev_b32_e32 v23, 16, v12
	v_pk_fma_f32 v[0:1], v[6:7], v[58:59], v[0:1] op_sel_hi:[1,0,1]
	v_lshrrev_b32_e32 v6, 16, v64
	v_bfe_i32 v6, v6, 0, 8
	v_cvt_f32_i32_sdwa v15, sext(v27) dst_sel:DWORD dst_unused:UNUSED_PAD src0_sel:WORD_0
	v_cvt_f32_i32_sdwa v6, sext(v6) dst_sel:DWORD dst_unused:UNUSED_PAD src0_sel:WORD_0
	v_bfe_i32 v54, v60, 0, 8
	v_bfe_i32 v60, v22, 0, 8
	;; [unrolled: 1-line block ×3, first 2 shown]
	v_cvt_f32_i32_sdwa v23, sext(v52) dst_sel:DWORD dst_unused:UNUSED_PAD src0_sel:WORD_0
	v_cvt_f32_i32_sdwa v22, sext(v51) dst_sel:DWORD dst_unused:UNUSED_PAD src0_sel:WORD_0
	v_lshrrev_b32_e32 v7, 24, v64
	v_pk_fma_f32 v[2:3], v[14:15], v[58:59], v[2:3] op_sel_hi:[1,0,1]
	s_waitcnt vmcnt(1)
	v_bfe_i32 v14, v65, 0, 8
	v_pk_fma_f32 v[0:1], v[8:9], v[6:7], v[0:1] op_sel_hi:[1,0,1]
	v_bfe_i32 v7, v7, 0, 8
	v_bfe_i32 v55, v62, 0, 8
	;; [unrolled: 1-line block ×3, first 2 shown]
	v_cvt_f32_i32_sdwa v11, sext(v54) dst_sel:DWORD dst_unused:UNUSED_PAD src0_sel:WORD_0
	v_pk_fma_f32 v[2:3], v[22:23], v[6:7], v[2:3] op_sel_hi:[1,0,1]
	v_cvt_f32_i32_sdwa v6, sext(v14) dst_sel:DWORD dst_unused:UNUSED_PAD src0_sel:WORD_0
	v_cvt_f32_i32_sdwa v14, sext(v7) dst_sel:DWORD dst_unused:UNUSED_PAD src0_sel:WORD_0
	v_lshrrev_b32_e32 v12, 24, v12
	v_bfe_i32 v63, v24, 0, 8
	v_bfe_i32 v67, v25, 0, 8
	v_cvt_f32_i32_sdwa v25, sext(v56) dst_sel:DWORD dst_unused:UNUSED_PAD src0_sel:WORD_0
	v_cvt_f32_i32_sdwa v24, sext(v55) dst_sel:DWORD dst_unused:UNUSED_PAD src0_sel:WORD_0
	v_lshrrev_b32_e32 v15, 8, v65
	v_bfe_i32 v62, v12, 0, 8
	v_cvt_f32_i32_sdwa v12, sext(v32) dst_sel:DWORD dst_unused:UNUSED_PAD src0_sel:WORD_0
	v_cvt_f32_i32_sdwa v32, sext(v36) dst_sel:DWORD dst_unused:UNUSED_PAD src0_sel:WORD_0
	v_bfe_i32 v31, v31, 0, 8
	v_cvt_f32_i32_sdwa v37, sext(v57) dst_sel:DWORD dst_unused:UNUSED_PAD src0_sel:WORD_0
	v_cvt_f32_i32_sdwa v36, sext(v53) dst_sel:DWORD dst_unused:UNUSED_PAD src0_sel:WORD_0
	v_lshrrev_b32_e32 v19, 16, v65
	v_bfe_i32 v15, v15, 0, 8
	v_lshrrev_b32_e32 v48, 8, v29
	v_bfe_i32 v49, v29, 0, 8
	v_lshrrev_b32_e32 v50, 16, v29
	v_lshrrev_b32_e32 v29, 24, v29
	v_cvt_f32_i32_sdwa v27, sext(v33) dst_sel:DWORD dst_unused:UNUSED_PAD src0_sel:WORD_0
	v_bfe_i32 v52, v39, 0, 8
	v_bfe_i32 v69, v46, 0, 8
	v_cvt_f32_i32_sdwa v39, sext(v59) dst_sel:DWORD dst_unused:UNUSED_PAD src0_sel:WORD_0
	v_cvt_f32_i32_sdwa v46, sext(v45) dst_sel:DWORD dst_unused:UNUSED_PAD src0_sel:WORD_0
	;; [unrolled: 1-line block ×3, first 2 shown]
	v_lshrrev_b32_e32 v31, 24, v65
	v_bfe_i32 v19, v19, 0, 8
	v_cvt_f32_i32_sdwa v22, sext(v15) dst_sel:DWORD dst_unused:UNUSED_PAD src0_sel:WORD_0
	v_bfe_i32 v51, v40, 0, 8
	v_bfe_i32 v54, v41, 0, 8
	;; [unrolled: 1-line block ×3, first 2 shown]
	v_cvt_f32_i32_sdwa v29, sext(v60) dst_sel:DWORD dst_unused:UNUSED_PAD src0_sel:WORD_0
	v_cvt_f32_i32_sdwa v41, sext(v62) dst_sel:DWORD dst_unused:UNUSED_PAD src0_sel:WORD_0
	;; [unrolled: 1-line block ×3, first 2 shown]
	s_waitcnt vmcnt(0)
	v_lshrrev_b32_e32 v58, 16, v66
	v_bfe_i32 v31, v31, 0, 8
	v_pk_fma_f32 v[0:1], v[10:11], v[14:15], v[0:1] op_sel_hi:[1,0,1]
	v_cvt_f32_i32_sdwa v10, sext(v19) dst_sel:DWORD dst_unused:UNUSED_PAD src0_sel:WORD_0
	v_bfe_i32 v55, v42, 0, 8
	v_bfe_i32 v56, v43, 0, 8
	v_cvt_f32_i32_sdwa v33, sext(v63) dst_sel:DWORD dst_unused:UNUSED_PAD src0_sel:WORD_0
	v_cvt_f32_i32_sdwa v43, sext(v68) dst_sel:DWORD dst_unused:UNUSED_PAD src0_sel:WORD_0
	;; [unrolled: 1-line block ×3, first 2 shown]
	v_bfe_i32 v8, v66, 0, 8
	v_lshrrev_b32_e32 v9, 8, v66
	v_bfe_i32 v23, v58, 0, 8
	v_cvt_f32_i32_sdwa v58, sext(v31) dst_sel:DWORD dst_unused:UNUSED_PAD src0_sel:WORD_0
	v_pk_fma_f32 v[2:3], v[24:25], v[14:15], v[2:3] op_sel_hi:[1,0,1]
	v_bfe_i32 v72, v50, 0, 8
	v_cvt_f32_i32_sdwa v51, sext(v51) dst_sel:DWORD dst_unused:UNUSED_PAD src0_sel:WORD_0
	v_cvt_f32_i32_sdwa v50, sext(v52) dst_sel:DWORD dst_unused:UNUSED_PAD src0_sel:WORD_0
	v_bfe_i32 v9, v9, 0, 8
	v_cvt_f32_i32_sdwa v8, sext(v8) dst_sel:DWORD dst_unused:UNUSED_PAD src0_sel:WORD_0
	v_pk_fma_f32 v[0:1], v[12:13], v[6:7], v[0:1] op_sel_hi:[1,0,1]
	v_pk_fma_f32 v[2:3], v[36:37], v[6:7], v[2:3] op_sel_hi:[1,0,1]
	v_bfe_i32 v70, v47, 0, 8
	v_cvt_f32_i32_sdwa v44, sext(v44) dst_sel:DWORD dst_unused:UNUSED_PAD src0_sel:WORD_0
	v_cvt_f32_i32_sdwa v53, sext(v55) dst_sel:DWORD dst_unused:UNUSED_PAD src0_sel:WORD_0
	;; [unrolled: 1-line block ×3, first 2 shown]
	v_lshrrev_b32_e32 v59, 24, v66
	v_cvt_f32_i32_sdwa v14, sext(v9) dst_sel:DWORD dst_unused:UNUSED_PAD src0_sel:WORD_0
	v_pk_fma_f32 v[0:1], v[26:27], v[22:23], v[0:1] op_sel_hi:[1,0,1]
	v_pk_fma_f32 v[2:3], v[38:39], v[22:23], v[2:3] op_sel_hi:[1,0,1]
	v_bfe_i32 v71, v48, 0, 8
	v_cvt_f32_i32_sdwa v47, sext(v56) dst_sel:DWORD dst_unused:UNUSED_PAD src0_sel:WORD_0
	v_cvt_f32_i32_sdwa v55, sext(v70) dst_sel:DWORD dst_unused:UNUSED_PAD src0_sel:WORD_0
	;; [unrolled: 1-line block ×3, first 2 shown]
	v_bfe_i32 v59, v59, 0, 8
	v_cvt_f32_i32_sdwa v24, sext(v23) dst_sel:DWORD dst_unused:UNUSED_PAD src0_sel:WORD_0
	v_pk_fma_f32 v[0:1], v[28:29], v[10:11], v[0:1] op_sel_hi:[1,0,1]
	v_pk_fma_f32 v[2:3], v[40:41], v[10:11], v[2:3] op_sel_hi:[1,0,1]
	v_cvt_f32_i32_sdwa v48, sext(v49) dst_sel:DWORD dst_unused:UNUSED_PAD src0_sel:WORD_0
	v_cvt_f32_i32_sdwa v49, sext(v71) dst_sel:DWORD dst_unused:UNUSED_PAD src0_sel:WORD_0
	;; [unrolled: 1-line block ×5, first 2 shown]
	v_pk_fma_f32 v[0:1], v[32:33], v[58:59], v[0:1] op_sel_hi:[1,0,1]
	v_pk_fma_f32 v[2:3], v[42:43], v[58:59], v[2:3] op_sel_hi:[1,0,1]
	;; [unrolled: 1-line block ×10, first 2 shown]
	s_andn2_b64 exec, exec, s[8:9]
	s_cbranch_execnz .LBB75_33
; %bb.34:
	s_or_b64 exec, exec, s[8:9]
.LBB75_35:
	s_or_b64 exec, exec, s[0:1]
.LBB75_36:
	s_or_b64 exec, exec, s[2:3]
.LBB75_37:
	v_mov_b32_dpp v0, v24 row_shr:1 row_mask:0xf bank_mask:0xf
	v_mov_b32_dpp v1, v25 row_shr:1 row_mask:0xf bank_mask:0xf
	v_mov_b32_dpp v4, v22 row_shr:1 row_mask:0xf bank_mask:0xf
	v_mov_b32_dpp v5, v23 row_shr:1 row_mask:0xf bank_mask:0xf
	v_pk_add_f32 v[0:1], v[24:25], v[0:1]
	v_pk_add_f32 v[4:5], v[22:23], v[4:5]
	v_cmp_eq_u32_e32 vcc, 3, v17
	v_mov_b32_dpp v2, v0 row_shr:2 row_mask:0xf bank_mask:0xf
	v_mov_b32_dpp v3, v1 row_shr:2 row_mask:0xf bank_mask:0xf
	;; [unrolled: 1-line block ×4, first 2 shown]
	s_and_b64 exec, exec, vcc
	s_cbranch_execz .LBB75_10
; %bb.38:
	s_load_dwordx2 s[0:1], s[4:5], 0x50
	v_cmp_eq_f32_e64 s[2:3], s18, 0
	v_pk_add_f32 v[2:3], v[0:1], v[2:3]
	v_pk_add_f32 v[0:1], v[4:5], v[6:7]
	s_and_b64 vcc, exec, s[2:3]
	v_lshlrev_b32_e32 v4, 2, v16
	s_cbranch_vccz .LBB75_40
; %bb.39:
	v_ashrrev_i32_e32 v5, 31, v4
	v_lshlrev_b64 v[6:7], 2, v[4:5]
	s_waitcnt lgkmcnt(0)
	v_mov_b32_e32 v5, s1
	v_add_co_u32_e32 v10, vcc, s0, v6
	v_addc_co_u32_e32 v11, vcc, v5, v7, vcc
	v_pk_mul_f32 v[6:7], s[16:17], v[2:3] op_sel_hi:[0,1]
	v_pk_mul_f32 v[8:9], s[16:17], v[0:1] op_sel_hi:[0,1]
	global_store_dwordx4 v[10:11], v[6:9], off
	s_cbranch_execnz .LBB75_10
	s_branch .LBB75_41
.LBB75_40:
.LBB75_41:
	v_ashrrev_i32_e32 v5, 31, v4
	v_lshlrev_b64 v[4:5], 2, v[4:5]
	s_waitcnt lgkmcnt(0)
	v_mov_b32_e32 v6, s1
	v_add_co_u32_e32 v8, vcc, s0, v4
	v_addc_co_u32_e32 v9, vcc, v6, v5, vcc
	global_load_dwordx4 v[4:7], v[8:9], off
	v_pk_mul_f32 v[2:3], s[16:17], v[2:3] op_sel_hi:[0,1]
	v_pk_mul_f32 v[10:11], s[16:17], v[0:1] op_sel_hi:[0,1]
	s_waitcnt vmcnt(0)
	v_pk_fma_f32 v[0:1], s[18:19], v[4:5], v[2:3] op_sel_hi:[0,1,1]
	v_pk_fma_f32 v[2:3], s[18:19], v[6:7], v[10:11] op_sel_hi:[0,1,1]
	global_store_dwordx4 v[8:9], v[0:3], off
	s_endpgm
	.section	.rodata,"a",@progbits
	.p2align	6, 0x0
	.amdhsa_kernel _ZN9rocsparseL18bsrxmvn_4x4_kernelILj128ELj4EfiiaafEEvT3_20rocsparse_direction_NS_24const_host_device_scalarIT1_EES1_PKS1_PKT2_SA_S7_PKT4_PKT5_S5_PT6_21rocsparse_index_base_b
		.amdhsa_group_segment_fixed_size 0
		.amdhsa_private_segment_fixed_size 0
		.amdhsa_kernarg_size 96
		.amdhsa_user_sgpr_count 6
		.amdhsa_user_sgpr_private_segment_buffer 1
		.amdhsa_user_sgpr_dispatch_ptr 0
		.amdhsa_user_sgpr_queue_ptr 0
		.amdhsa_user_sgpr_kernarg_segment_ptr 1
		.amdhsa_user_sgpr_dispatch_id 0
		.amdhsa_user_sgpr_flat_scratch_init 0
		.amdhsa_user_sgpr_kernarg_preload_length 0
		.amdhsa_user_sgpr_kernarg_preload_offset 0
		.amdhsa_user_sgpr_private_segment_size 0
		.amdhsa_uses_dynamic_stack 0
		.amdhsa_system_sgpr_private_segment_wavefront_offset 0
		.amdhsa_system_sgpr_workgroup_id_x 1
		.amdhsa_system_sgpr_workgroup_id_y 0
		.amdhsa_system_sgpr_workgroup_id_z 0
		.amdhsa_system_sgpr_workgroup_info 0
		.amdhsa_system_vgpr_workitem_id 0
		.amdhsa_next_free_vgpr 74
		.amdhsa_next_free_sgpr 22
		.amdhsa_accum_offset 76
		.amdhsa_reserve_vcc 1
		.amdhsa_reserve_flat_scratch 0
		.amdhsa_float_round_mode_32 0
		.amdhsa_float_round_mode_16_64 0
		.amdhsa_float_denorm_mode_32 3
		.amdhsa_float_denorm_mode_16_64 3
		.amdhsa_dx10_clamp 1
		.amdhsa_ieee_mode 1
		.amdhsa_fp16_overflow 0
		.amdhsa_tg_split 0
		.amdhsa_exception_fp_ieee_invalid_op 0
		.amdhsa_exception_fp_denorm_src 0
		.amdhsa_exception_fp_ieee_div_zero 0
		.amdhsa_exception_fp_ieee_overflow 0
		.amdhsa_exception_fp_ieee_underflow 0
		.amdhsa_exception_fp_ieee_inexact 0
		.amdhsa_exception_int_div_zero 0
	.end_amdhsa_kernel
	.section	.text._ZN9rocsparseL18bsrxmvn_4x4_kernelILj128ELj4EfiiaafEEvT3_20rocsparse_direction_NS_24const_host_device_scalarIT1_EES1_PKS1_PKT2_SA_S7_PKT4_PKT5_S5_PT6_21rocsparse_index_base_b,"axG",@progbits,_ZN9rocsparseL18bsrxmvn_4x4_kernelILj128ELj4EfiiaafEEvT3_20rocsparse_direction_NS_24const_host_device_scalarIT1_EES1_PKS1_PKT2_SA_S7_PKT4_PKT5_S5_PT6_21rocsparse_index_base_b,comdat
.Lfunc_end75:
	.size	_ZN9rocsparseL18bsrxmvn_4x4_kernelILj128ELj4EfiiaafEEvT3_20rocsparse_direction_NS_24const_host_device_scalarIT1_EES1_PKS1_PKT2_SA_S7_PKT4_PKT5_S5_PT6_21rocsparse_index_base_b, .Lfunc_end75-_ZN9rocsparseL18bsrxmvn_4x4_kernelILj128ELj4EfiiaafEEvT3_20rocsparse_direction_NS_24const_host_device_scalarIT1_EES1_PKS1_PKT2_SA_S7_PKT4_PKT5_S5_PT6_21rocsparse_index_base_b
                                        ; -- End function
	.section	.AMDGPU.csdata,"",@progbits
; Kernel info:
; codeLenInByte = 6288
; NumSgprs: 26
; NumVgprs: 74
; NumAgprs: 0
; TotalNumVgprs: 74
; ScratchSize: 0
; MemoryBound: 0
; FloatMode: 240
; IeeeMode: 1
; LDSByteSize: 0 bytes/workgroup (compile time only)
; SGPRBlocks: 3
; VGPRBlocks: 9
; NumSGPRsForWavesPerEU: 26
; NumVGPRsForWavesPerEU: 74
; AccumOffset: 76
; Occupancy: 6
; WaveLimiterHint : 1
; COMPUTE_PGM_RSRC2:SCRATCH_EN: 0
; COMPUTE_PGM_RSRC2:USER_SGPR: 6
; COMPUTE_PGM_RSRC2:TRAP_HANDLER: 0
; COMPUTE_PGM_RSRC2:TGID_X_EN: 1
; COMPUTE_PGM_RSRC2:TGID_Y_EN: 0
; COMPUTE_PGM_RSRC2:TGID_Z_EN: 0
; COMPUTE_PGM_RSRC2:TIDIG_COMP_CNT: 0
; COMPUTE_PGM_RSRC3_GFX90A:ACCUM_OFFSET: 18
; COMPUTE_PGM_RSRC3_GFX90A:TG_SPLIT: 0
	.section	.text._ZN9rocsparseL18bsrxmvn_4x4_kernelILj128ELj8EfiiaafEEvT3_20rocsparse_direction_NS_24const_host_device_scalarIT1_EES1_PKS1_PKT2_SA_S7_PKT4_PKT5_S5_PT6_21rocsparse_index_base_b,"axG",@progbits,_ZN9rocsparseL18bsrxmvn_4x4_kernelILj128ELj8EfiiaafEEvT3_20rocsparse_direction_NS_24const_host_device_scalarIT1_EES1_PKS1_PKT2_SA_S7_PKT4_PKT5_S5_PT6_21rocsparse_index_base_b,comdat
	.globl	_ZN9rocsparseL18bsrxmvn_4x4_kernelILj128ELj8EfiiaafEEvT3_20rocsparse_direction_NS_24const_host_device_scalarIT1_EES1_PKS1_PKT2_SA_S7_PKT4_PKT5_S5_PT6_21rocsparse_index_base_b ; -- Begin function _ZN9rocsparseL18bsrxmvn_4x4_kernelILj128ELj8EfiiaafEEvT3_20rocsparse_direction_NS_24const_host_device_scalarIT1_EES1_PKS1_PKT2_SA_S7_PKT4_PKT5_S5_PT6_21rocsparse_index_base_b
	.p2align	8
	.type	_ZN9rocsparseL18bsrxmvn_4x4_kernelILj128ELj8EfiiaafEEvT3_20rocsparse_direction_NS_24const_host_device_scalarIT1_EES1_PKS1_PKT2_SA_S7_PKT4_PKT5_S5_PT6_21rocsparse_index_base_b,@function
_ZN9rocsparseL18bsrxmvn_4x4_kernelILj128ELj8EfiiaafEEvT3_20rocsparse_direction_NS_24const_host_device_scalarIT1_EES1_PKS1_PKT2_SA_S7_PKT4_PKT5_S5_PT6_21rocsparse_index_base_b: ; @_ZN9rocsparseL18bsrxmvn_4x4_kernelILj128ELj8EfiiaafEEvT3_20rocsparse_direction_NS_24const_host_device_scalarIT1_EES1_PKS1_PKT2_SA_S7_PKT4_PKT5_S5_PT6_21rocsparse_index_base_b
; %bb.0:
	s_load_dwordx2 s[20:21], s[4:5], 0x58
	s_load_dwordx2 s[16:17], s[4:5], 0x8
	;; [unrolled: 1-line block ×3, first 2 shown]
	s_waitcnt lgkmcnt(0)
	s_bitcmp1_b32 s21, 0
	s_cselect_b64 s[2:3], -1, 0
	s_xor_b64 s[0:1], s[2:3], -1
	s_and_b64 vcc, exec, s[2:3]
	s_cbranch_vccnz .LBB76_2
; %bb.1:
	s_load_dword s16, s[16:17], 0x0
.LBB76_2:
	s_andn2_b64 vcc, exec, s[0:1]
	s_cbranch_vccnz .LBB76_4
; %bb.3:
	s_load_dword s18, s[18:19], 0x0
.LBB76_4:
	s_waitcnt lgkmcnt(0)
	v_cmp_neq_f32_e64 s[0:1], s16, 0
	v_cmp_neq_f32_e64 s[2:3], s18, 1.0
	s_or_b64 s[0:1], s[0:1], s[2:3]
	s_andn2_b64 vcc, exec, s[0:1]
	s_cbranch_vccnz .LBB76_10
; %bb.5:
	s_load_dwordx2 s[8:9], s[4:5], 0x18
	s_load_dwordx2 s[0:1], s[4:5], 0x0
	v_lshrrev_b32_e32 v1, 3, v0
	v_lshl_or_b32 v16, s6, 4, v1
	s_mov_b64 s[2:3], 0
	s_waitcnt lgkmcnt(0)
	s_cmp_lg_u64 s[8:9], 0
	s_cbranch_scc0 .LBB76_11
; %bb.6:
	s_load_dword s6, s[4:5], 0x10
                                        ; implicit-def: $vgpr1
	s_waitcnt lgkmcnt(0)
	v_cmp_gt_i32_e32 vcc, s6, v16
	s_and_saveexec_b64 s[6:7], vcc
	s_xor_b64 s[6:7], exec, s[6:7]
	s_cbranch_execz .LBB76_8
; %bb.7:
	v_ashrrev_i32_e32 v17, 31, v16
	v_lshlrev_b64 v[2:3], 2, v[16:17]
	v_mov_b32_e32 v1, s9
	v_add_co_u32_e32 v2, vcc, s8, v2
	v_addc_co_u32_e32 v3, vcc, v1, v3, vcc
	global_load_dword v1, v[2:3], off
	s_mov_b64 s[2:3], exec
	s_waitcnt vmcnt(0)
	v_subrev_u32_e32 v1, s20, v1
.LBB76_8:
	s_or_b64 exec, exec, s[6:7]
	s_branch .LBB76_12
.LBB76_9:
	v_cmp_gt_i32_e32 vcc, s0, v16
	s_andn2_b64 s[2:3], s[2:3], exec
	s_and_b64 s[6:7], vcc, exec
	s_or_b64 s[2:3], s[2:3], s[6:7]
	s_and_saveexec_b64 s[6:7], s[2:3]
	s_cbranch_execnz .LBB76_13
.LBB76_10:
	s_endpgm
.LBB76_11:
                                        ; implicit-def: $vgpr1
	s_cbranch_execnz .LBB76_9
.LBB76_12:
	v_mov_b32_e32 v16, v1
	s_and_saveexec_b64 s[6:7], s[2:3]
	s_cbranch_execz .LBB76_10
.LBB76_13:
	s_load_dwordx8 s[8:15], s[4:5], 0x20
	v_ashrrev_i32_e32 v17, 31, v16
	v_lshlrev_b64 v[2:3], 2, v[16:17]
	v_and_b32_e32 v17, 7, v0
	s_load_dwordx2 s[6:7], s[4:5], 0x40
	s_waitcnt lgkmcnt(0)
	v_mov_b32_e32 v1, s9
	v_add_co_u32_e32 v4, vcc, s8, v2
	v_addc_co_u32_e32 v5, vcc, v1, v3, vcc
	v_add_co_u32_e32 v1, vcc, 4, v4
	global_load_dword v31, v[4:5], off
	v_addc_co_u32_e32 v4, vcc, 0, v5, vcc
	v_mov_b32_e32 v5, s11
	v_add_co_u32_e32 v2, vcc, s10, v2
	s_cmp_eq_u64 s[10:11], 0
	v_addc_co_u32_e32 v3, vcc, v5, v3, vcc
	s_cselect_b64 vcc, -1, 0
	v_cndmask_b32_e32 v3, v3, v4, vcc
	v_cndmask_b32_e32 v2, v2, v1, vcc
	global_load_dword v1, v[2:3], off
	v_mov_b32_e32 v2, s15
	s_cmp_eq_u32 s1, 1
	s_waitcnt vmcnt(1)
	v_subrev_u32_e32 v0, s20, v31
	v_add_u32_e32 v18, v0, v17
	v_ashrrev_i32_e32 v19, 31, v18
	s_waitcnt vmcnt(0)
	v_subrev_u32_e32 v30, s20, v1
	v_lshlrev_b64 v[0:1], 4, v[18:19]
	v_add_co_u32_e32 v20, vcc, s14, v0
	v_addc_co_u32_e32 v21, vcc, v2, v1, vcc
	v_cmp_lt_i32_e64 s[0:1], v18, v30
	s_cbranch_scc1 .LBB76_25
; %bb.14:
	s_mov_b32 s2, 0
	v_mov_b32_e32 v23, 0
	v_mov_b32_e32 v22, 0
	;; [unrolled: 1-line block ×4, first 2 shown]
	s_and_saveexec_b64 s[8:9], s[0:1]
	s_cbranch_execz .LBB76_24
; %bb.15:
	v_add_u32_e32 v0, v31, v17
	v_subrev_u32_e32 v0, s20, v0
	v_add_u32_e32 v0, 8, v0
	v_max_i32_e32 v0, v0, v30
	v_not_b32_e32 v1, v31
	v_add3_u32 v0, v0, s20, v1
	v_sub_u32_e32 v0, v0, v17
	v_lshrrev_b32_e32 v1, 3, v0
	v_add_u32_e32 v1, 1, v1
	v_and_b32_e32 v1, 3, v1
	s_mov_b32 s3, s2
	v_cmp_ne_u32_e32 vcc, 0, v1
	v_pk_mov_b32 v[22:23], s[2:3], s[2:3] op_sel:[0,1]
	v_pk_mov_b32 v[24:25], s[2:3], s[2:3] op_sel:[0,1]
	v_mov_b32_e32 v26, v18
	v_pk_mov_b32 v[28:29], v[20:21], v[20:21] op_sel:[0,1]
	s_and_saveexec_b64 s[2:3], vcc
	s_cbranch_execz .LBB76_19
; %bb.16:
	v_mov_b32_e32 v24, 0
	v_lshlrev_b32_e32 v1, 4, v1
	s_mov_b64 s[10:11], 0
	v_mov_b32_e32 v2, s13
	v_mov_b32_e32 v3, s7
	v_pk_mov_b32 v[28:29], v[20:21], v[20:21] op_sel:[0,1]
	v_mov_b32_e32 v26, v18
	v_mov_b32_e32 v25, v24
	;; [unrolled: 1-line block ×4, first 2 shown]
.LBB76_17:                              ; =>This Inner Loop Header: Depth=1
	v_ashrrev_i32_e32 v27, 31, v26
	v_lshlrev_b64 v[4:5], 2, v[26:27]
	v_add_co_u32_e32 v8, vcc, s12, v4
	v_addc_co_u32_e32 v9, vcc, v2, v5, vcc
	global_load_dword v10, v[8:9], off
	global_load_dwordx4 v[4:7], v[28:29], off
	v_add_u32_e32 v1, -16, v1
	v_add_u32_e32 v26, 8, v26
	s_waitcnt vmcnt(1)
	v_subrev_u32_e32 v8, s20, v10
	v_lshlrev_b32_e32 v8, 2, v8
	v_ashrrev_i32_e32 v9, 31, v8
	v_add_co_u32_e32 v8, vcc, s6, v8
	v_addc_co_u32_e32 v9, vcc, v3, v9, vcc
	global_load_dword v19, v[8:9], off
	s_waitcnt vmcnt(1)
	v_bfe_i32 v8, v4, 0, 8
	v_lshrrev_b32_e32 v9, 8, v4
	v_lshrrev_b32_e32 v10, 16, v4
	;; [unrolled: 1-line block ×6, first 2 shown]
	v_bfe_i32 v11, v5, 0, 8
	v_lshrrev_b32_e32 v5, 24, v5
	v_bfe_i32 v14, v6, 0, 8
	v_lshrrev_b32_e32 v27, 16, v6
	v_lshrrev_b32_e32 v6, 24, v6
	v_bfe_i32 v35, v9, 0, 8
	v_bfe_i32 v36, v4, 0, 8
	v_bfe_i32 v9, v12, 0, 8
	v_bfe_i32 v12, v13, 0, 8
	v_bfe_i32 v37, v15, 0, 8
	v_bfe_i32 v32, v7, 0, 8
	v_lshrrev_b32_e32 v33, 8, v7
	v_lshrrev_b32_e32 v34, 16, v7
	;; [unrolled: 1-line block ×3, first 2 shown]
	v_bfe_i32 v13, v5, 0, 8
	v_bfe_i32 v27, v27, 0, 8
	;; [unrolled: 1-line block ×3, first 2 shown]
	v_cvt_f32_i32_sdwa v5, sext(v11) dst_sel:DWORD dst_unused:UNUSED_PAD src0_sel:WORD_0
	v_cvt_f32_i32_sdwa v6, sext(v14) dst_sel:DWORD dst_unused:UNUSED_PAD src0_sel:WORD_0
	;; [unrolled: 1-line block ×5, first 2 shown]
	v_bfe_i32 v15, v33, 0, 8
	v_bfe_i32 v33, v34, 0, 8
	;; [unrolled: 1-line block ×3, first 2 shown]
	v_cvt_f32_i32_sdwa v4, sext(v8) dst_sel:DWORD dst_unused:UNUSED_PAD src0_sel:WORD_0
	v_cvt_f32_i32_sdwa v7, sext(v32) dst_sel:DWORD dst_unused:UNUSED_PAD src0_sel:WORD_0
	;; [unrolled: 1-line block ×3, first 2 shown]
	v_bfe_i32 v10, v10, 0, 8
	v_cvt_f32_i32_sdwa v9, sext(v9) dst_sel:DWORD dst_unused:UNUSED_PAD src0_sel:WORD_0
	v_cvt_f32_i32_sdwa v8, sext(v35) dst_sel:DWORD dst_unused:UNUSED_PAD src0_sel:WORD_0
	;; [unrolled: 1-line block ×8, first 2 shown]
	v_add_co_u32_e32 v28, vcc, 0x80, v28
	v_addc_co_u32_e32 v29, vcc, 0, v29, vcc
	v_cmp_eq_u32_e32 vcc, 0, v1
	s_or_b64 s[10:11], vcc, s[10:11]
	s_waitcnt vmcnt(0)
	v_bfe_i32 v36, v19, 0, 8
	v_lshrrev_b32_e32 v37, 8, v19
	v_lshrrev_b32_e32 v27, 16, v19
	v_bfe_i32 v37, v37, 0, 8
	v_cvt_f32_i32_sdwa v36, sext(v36) dst_sel:DWORD dst_unused:UNUSED_PAD src0_sel:WORD_0
	v_lshrrev_b32_e32 v19, 24, v19
	v_bfe_i32 v27, v27, 0, 8
	v_cvt_f32_i32_sdwa v38, sext(v37) dst_sel:DWORD dst_unused:UNUSED_PAD src0_sel:WORD_0
	v_bfe_i32 v19, v19, 0, 8
	v_cvt_f32_i32_sdwa v40, sext(v27) dst_sel:DWORD dst_unused:UNUSED_PAD src0_sel:WORD_0
	v_cvt_f32_i32_sdwa v42, sext(v19) dst_sel:DWORD dst_unused:UNUSED_PAD src0_sel:WORD_0
	v_pk_fma_f32 v[4:5], v[4:5], v[36:37], v[24:25] op_sel_hi:[1,0,1]
	v_pk_fma_f32 v[6:7], v[6:7], v[36:37], v[22:23] op_sel_hi:[1,0,1]
	;; [unrolled: 1-line block ×8, first 2 shown]
	s_andn2_b64 exec, exec, s[10:11]
	s_cbranch_execnz .LBB76_17
; %bb.18:
	s_or_b64 exec, exec, s[10:11]
.LBB76_19:
	s_or_b64 exec, exec, s[2:3]
	v_cmp_lt_u32_e32 vcc, 23, v0
	s_and_saveexec_b64 s[10:11], vcc
	s_cbranch_execz .LBB76_23
; %bb.20:
	s_mov_b64 s[14:15], 0
	v_mov_b32_e32 v19, s13
	v_mov_b32_e32 v32, s7
.LBB76_21:                              ; =>This Inner Loop Header: Depth=1
	v_ashrrev_i32_e32 v27, 31, v26
	v_lshlrev_b64 v[34:35], 2, v[26:27]
	v_add_co_u32_e64 v34, s[2:3], s12, v34
	v_addc_co_u32_e64 v35, s[2:3], v19, v35, s[2:3]
	global_load_dwordx4 v[0:3], v[28:29], off
	global_load_dwordx4 v[8:11], v[28:29], off offset:128
	global_load_dwordx4 v[12:15], v[28:29], off offset:256
	global_load_dwordx4 v[4:7], v[28:29], off offset:384
	global_load_dword v27, v[34:35], off
	v_add_co_u32_e32 v28, vcc, 0x200, v28
	v_add_u32_e32 v26, 32, v26
	v_addc_co_u32_e32 v29, vcc, 0, v29, vcc
	v_cmp_ge_i32_e32 vcc, v26, v30
	s_or_b64 s[14:15], vcc, s[14:15]
	s_waitcnt vmcnt(4)
	v_bfe_i32 v42, v2, 0, 8
	v_lshrrev_b32_e32 v43, 8, v2
	v_lshrrev_b32_e32 v44, 16, v2
	;; [unrolled: 1-line block ×3, first 2 shown]
	s_waitcnt vmcnt(0)
	v_subrev_u32_e32 v2, s20, v27
	v_lshlrev_b32_e32 v2, 2, v2
	v_bfe_i32 v46, v3, 0, 8
	v_lshrrev_b32_e32 v47, 8, v3
	v_lshrrev_b32_e32 v48, 16, v3
	;; [unrolled: 1-line block ×3, first 2 shown]
	v_ashrrev_i32_e32 v3, 31, v2
	v_add_co_u32_e32 v2, vcc, s6, v2
	v_addc_co_u32_e32 v3, vcc, v32, v3, vcc
	global_load_dword v27, v[2:3], off
	v_bfe_i32 v33, v0, 0, 8
	v_lshrrev_b32_e32 v36, 8, v0
	v_lshrrev_b32_e32 v37, 16, v0
	v_lshrrev_b32_e32 v38, 24, v0
	v_bfe_i32 v0, v1, 0, 8
	v_lshrrev_b32_e32 v39, 8, v1
	v_lshrrev_b32_e32 v40, 16, v1
	v_lshrrev_b32_e32 v41, 24, v1
	;; [unrolled: 4-line block ×4, first 2 shown]
	v_cvt_f32_i32_sdwa v1, sext(v0) dst_sel:DWORD dst_unused:UNUSED_PAD src0_sel:WORD_0
	v_cvt_f32_i32_sdwa v0, sext(v33) dst_sel:DWORD dst_unused:UNUSED_PAD src0_sel:WORD_0
	v_cvt_f32_i32_sdwa v9, sext(v46) dst_sel:DWORD dst_unused:UNUSED_PAD src0_sel:WORD_0
	v_cvt_f32_i32_sdwa v8, sext(v42) dst_sel:DWORD dst_unused:UNUSED_PAD src0_sel:WORD_0
	v_lshrrev_b32_e32 v33, 8, v11
	v_lshrrev_b32_e32 v42, 16, v11
	;; [unrolled: 1-line block ×3, first 2 shown]
	v_bfe_i32 v58, v10, 0, 8
	v_bfe_i32 v53, v53, 0, 8
	;; [unrolled: 1-line block ×4, first 2 shown]
	v_lshrrev_b32_e32 v61, 24, v7
	v_bfe_i32 v61, v61, 0, 8
	s_waitcnt vmcnt(0)
	v_bfe_i32 v2, v27, 0, 8
	v_cvt_f32_i32_sdwa v2, sext(v2) dst_sel:DWORD dst_unused:UNUSED_PAD src0_sel:WORD_0
	v_pk_fma_f32 v[0:1], v[0:1], v[2:3], v[24:25] op_sel_hi:[1,0,1]
	v_pk_fma_f32 v[2:3], v[8:9], v[2:3], v[22:23] op_sel_hi:[1,0,1]
	v_bfe_i32 v23, v11, 0, 8
	global_load_dword v11, v[34:35], off offset:32
	global_load_dword v59, v[34:35], off offset:64
	;; [unrolled: 1-line block ×3, first 2 shown]
	v_lshrrev_b32_e32 v24, 8, v10
	v_lshrrev_b32_e32 v25, 16, v10
	;; [unrolled: 1-line block ×4, first 2 shown]
	v_bfe_i32 v8, v36, 0, 8
	v_bfe_i32 v9, v39, 0, 8
	;; [unrolled: 1-line block ×3, first 2 shown]
	v_cvt_f32_i32_sdwa v9, sext(v9) dst_sel:DWORD dst_unused:UNUSED_PAD src0_sel:WORD_0
	v_cvt_f32_i32_sdwa v8, sext(v8) dst_sel:DWORD dst_unused:UNUSED_PAD src0_sel:WORD_0
	;; [unrolled: 1-line block ×3, first 2 shown]
	v_lshrrev_b32_e32 v36, 16, v12
	v_bfe_i32 v36, v36, 0, 8
	v_bfe_i32 v34, v12, 0, 8
	v_lshrrev_b32_e32 v35, 8, v12
	v_lshrrev_b32_e32 v12, 24, v12
	;; [unrolled: 1-line block ×3, first 2 shown]
	v_bfe_i32 v62, v12, 0, 8
	v_cvt_f32_i32_sdwa v12, sext(v53) dst_sel:DWORD dst_unused:UNUSED_PAD src0_sel:WORD_0
	v_bfe_i32 v22, v22, 0, 8
	v_bfe_i32 v35, v35, 0, 8
	;; [unrolled: 1-line block ×3, first 2 shown]
	v_cvt_f32_i32_sdwa v53, sext(v61) dst_sel:DWORD dst_unused:UNUSED_PAD src0_sel:WORD_0
	s_waitcnt vmcnt(2)
	v_pk_fma_f32 v[0:1], v[8:9], v[10:11], v[0:1] op_sel_hi:[1,0,1]
	v_bfe_i32 v8, v43, 0, 8
	v_bfe_i32 v9, v47, 0, 8
	v_cvt_f32_i32_sdwa v9, sext(v9) dst_sel:DWORD dst_unused:UNUSED_PAD src0_sel:WORD_0
	v_cvt_f32_i32_sdwa v8, sext(v8) dst_sel:DWORD dst_unused:UNUSED_PAD src0_sel:WORD_0
	v_bfe_i32 v47, v4, 0, 8
	v_bfe_i32 v43, v14, 0, 8
	v_pk_fma_f32 v[2:3], v[8:9], v[10:11], v[2:3] op_sel_hi:[1,0,1]
	v_lshrrev_b32_e32 v10, 16, v27
	v_bfe_i32 v8, v37, 0, 8
	v_bfe_i32 v9, v40, 0, 8
	;; [unrolled: 1-line block ×3, first 2 shown]
	v_cvt_f32_i32_sdwa v9, sext(v9) dst_sel:DWORD dst_unused:UNUSED_PAD src0_sel:WORD_0
	v_cvt_f32_i32_sdwa v8, sext(v8) dst_sel:DWORD dst_unused:UNUSED_PAD src0_sel:WORD_0
	;; [unrolled: 1-line block ×3, first 2 shown]
	v_bfe_i32 v37, v13, 0, 8
	v_lshrrev_b32_e32 v40, 16, v13
	v_lshrrev_b32_e32 v13, 24, v13
	v_pk_fma_f32 v[0:1], v[8:9], v[10:11], v[0:1] op_sel_hi:[1,0,1]
	v_bfe_i32 v8, v44, 0, 8
	v_bfe_i32 v9, v48, 0, 8
	v_cvt_f32_i32_sdwa v9, sext(v9) dst_sel:DWORD dst_unused:UNUSED_PAD src0_sel:WORD_0
	v_cvt_f32_i32_sdwa v8, sext(v8) dst_sel:DWORD dst_unused:UNUSED_PAD src0_sel:WORD_0
	v_lshrrev_b32_e32 v48, 24, v4
	v_bfe_i32 v63, v13, 0, 8
	v_cvt_f32_i32_sdwa v13, sext(v57) dst_sel:DWORD dst_unused:UNUSED_PAD src0_sel:WORD_0
	v_pk_fma_f32 v[2:3], v[8:9], v[10:11], v[2:3] op_sel_hi:[1,0,1]
	v_lshrrev_b32_e32 v10, 24, v27
	v_bfe_i32 v8, v38, 0, 8
	v_bfe_i32 v9, v41, 0, 8
	;; [unrolled: 1-line block ×3, first 2 shown]
	v_cvt_f32_i32_sdwa v9, sext(v9) dst_sel:DWORD dst_unused:UNUSED_PAD src0_sel:WORD_0
	v_cvt_f32_i32_sdwa v8, sext(v8) dst_sel:DWORD dst_unused:UNUSED_PAD src0_sel:WORD_0
	;; [unrolled: 1-line block ×3, first 2 shown]
	v_lshrrev_b32_e32 v27, 8, v14
	v_bfe_i32 v27, v27, 0, 8
	v_lshrrev_b32_e32 v38, 16, v14
	v_pk_fma_f32 v[0:1], v[8:9], v[10:11], v[0:1] op_sel_hi:[1,0,1]
	v_bfe_i32 v8, v45, 0, 8
	v_bfe_i32 v9, v49, 0, 8
	v_cvt_f32_i32_sdwa v9, sext(v9) dst_sel:DWORD dst_unused:UNUSED_PAD src0_sel:WORD_0
	v_cvt_f32_i32_sdwa v8, sext(v8) dst_sel:DWORD dst_unused:UNUSED_PAD src0_sel:WORD_0
	v_bfe_i32 v49, v5, 0, 8
	v_lshrrev_b32_e32 v14, 24, v14
	v_bfe_i32 v41, v15, 0, 8
	v_pk_fma_f32 v[2:3], v[8:9], v[10:11], v[2:3] op_sel_hi:[1,0,1]
	v_subrev_u32_e32 v10, s20, v11
	v_lshlrev_b32_e32 v10, 2, v10
	v_ashrrev_i32_e32 v11, 31, v10
	v_add_co_u32_e32 v10, vcc, s6, v10
	v_addc_co_u32_e32 v11, vcc, v32, v11, vcc
	v_cvt_f32_i32_sdwa v9, sext(v54) dst_sel:DWORD dst_unused:UNUSED_PAD src0_sel:WORD_0
	global_load_dword v54, v[10:11], off
	v_cvt_f32_i32_sdwa v8, sext(v50) dst_sel:DWORD dst_unused:UNUSED_PAD src0_sel:WORD_0
	v_lshrrev_b32_e32 v50, 8, v5
	v_lshrrev_b32_e32 v44, 8, v15
	;; [unrolled: 1-line block ×4, first 2 shown]
	v_bfe_i32 v64, v14, 0, 8
	v_bfe_i32 v65, v15, 0, 8
	v_cvt_f32_i32_sdwa v15, sext(v46) dst_sel:DWORD dst_unused:UNUSED_PAD src0_sel:WORD_0
	v_cvt_f32_i32_sdwa v14, sext(v22) dst_sel:DWORD dst_unused:UNUSED_PAD src0_sel:WORD_0
	v_bfe_i32 v44, v44, 0, 8
	v_bfe_i32 v40, v40, 0, 8
	;; [unrolled: 1-line block ×4, first 2 shown]
	v_cvt_f32_i32_sdwa v22, sext(v35) dst_sel:DWORD dst_unused:UNUSED_PAD src0_sel:WORD_0
	v_cvt_f32_i32_sdwa v38, sext(v38) dst_sel:DWORD dst_unused:UNUSED_PAD src0_sel:WORD_0
	;; [unrolled: 1-line block ×3, first 2 shown]
	v_bfe_i32 v48, v48, 0, 8
	v_cvt_f32_i32_sdwa v46, sext(v48) dst_sel:DWORD dst_unused:UNUSED_PAD src0_sel:WORD_0
	s_waitcnt vmcnt(0)
	v_bfe_i32 v10, v54, 0, 8
	v_cvt_f32_i32_sdwa v10, sext(v10) dst_sel:DWORD dst_unused:UNUSED_PAD src0_sel:WORD_0
	v_pk_fma_f32 v[0:1], v[8:9], v[10:11], v[0:1] op_sel_hi:[1,0,1]
	v_cvt_f32_i32_sdwa v9, sext(v23) dst_sel:DWORD dst_unused:UNUSED_PAD src0_sel:WORD_0
	v_cvt_f32_i32_sdwa v8, sext(v58) dst_sel:DWORD dst_unused:UNUSED_PAD src0_sel:WORD_0
	v_lshrrev_b32_e32 v11, 8, v4
	v_lshrrev_b32_e32 v23, 16, v4
	v_bfe_i32 v4, v51, 0, 8
	v_pk_fma_f32 v[2:3], v[8:9], v[10:11], v[2:3] op_sel_hi:[1,0,1]
	v_bfe_i32 v8, v55, 0, 8
	v_cvt_f32_i32_sdwa v9, sext(v8) dst_sel:DWORD dst_unused:UNUSED_PAD src0_sel:WORD_0
	v_cvt_f32_i32_sdwa v8, sext(v4) dst_sel:DWORD dst_unused:UNUSED_PAD src0_sel:WORD_0
	v_lshrrev_b32_e32 v4, 8, v54
	v_bfe_i32 v4, v4, 0, 8
	v_cvt_f32_i32_sdwa v4, sext(v4) dst_sel:DWORD dst_unused:UNUSED_PAD src0_sel:WORD_0
	v_bfe_i32 v66, v11, 0, 8
	v_bfe_i32 v51, v6, 0, 8
	;; [unrolled: 1-line block ×3, first 2 shown]
	v_pk_fma_f32 v[0:1], v[8:9], v[4:5], v[0:1] op_sel_hi:[1,0,1]
	v_bfe_i32 v8, v24, 0, 8
	v_bfe_i32 v9, v33, 0, 8
	v_cvt_f32_i32_sdwa v9, sext(v9) dst_sel:DWORD dst_unused:UNUSED_PAD src0_sel:WORD_0
	v_cvt_f32_i32_sdwa v8, sext(v8) dst_sel:DWORD dst_unused:UNUSED_PAD src0_sel:WORD_0
	v_lshrrev_b32_e32 v24, 16, v5
	v_lshrrev_b32_e32 v33, 24, v5
	;; [unrolled: 1-line block ×3, first 2 shown]
	v_pk_fma_f32 v[2:3], v[8:9], v[4:5], v[2:3] op_sel_hi:[1,0,1]
	v_lshrrev_b32_e32 v8, 16, v54
	v_bfe_i32 v4, v52, 0, 8
	v_bfe_i32 v5, v56, 0, 8
	;; [unrolled: 1-line block ×3, first 2 shown]
	v_cvt_f32_i32_sdwa v5, sext(v5) dst_sel:DWORD dst_unused:UNUSED_PAD src0_sel:WORD_0
	v_cvt_f32_i32_sdwa v4, sext(v4) dst_sel:DWORD dst_unused:UNUSED_PAD src0_sel:WORD_0
	;; [unrolled: 1-line block ×3, first 2 shown]
	v_lshrrev_b32_e32 v52, 8, v6
	v_lshrrev_b32_e32 v56, 8, v7
	v_bfe_i32 v56, v56, 0, 8
	v_pk_fma_f32 v[0:1], v[4:5], v[8:9], v[0:1] op_sel_hi:[1,0,1]
	v_bfe_i32 v4, v25, 0, 8
	v_bfe_i32 v5, v42, 0, 8
	v_cvt_f32_i32_sdwa v5, sext(v5) dst_sel:DWORD dst_unused:UNUSED_PAD src0_sel:WORD_0
	v_cvt_f32_i32_sdwa v4, sext(v4) dst_sel:DWORD dst_unused:UNUSED_PAD src0_sel:WORD_0
	v_lshrrev_b32_e32 v25, 16, v6
	v_lshrrev_b32_e32 v42, 24, v6
	v_cvt_f32_i32_sdwa v6, sext(v43) dst_sel:DWORD dst_unused:UNUSED_PAD src0_sel:WORD_0
	v_pk_fma_f32 v[2:3], v[4:5], v[8:9], v[2:3] op_sel_hi:[1,0,1]
	v_subrev_u32_e32 v8, s20, v59
	v_subrev_u32_e32 v9, s20, v60
	v_lshlrev_b32_e32 v8, 2, v8
	v_lshlrev_b32_e32 v10, 2, v9
	v_ashrrev_i32_e32 v9, 31, v8
	v_add_co_u32_e32 v8, vcc, s6, v8
	v_addc_co_u32_e32 v9, vcc, v32, v9, vcc
	v_ashrrev_i32_e32 v11, 31, v10
	v_add_co_u32_e32 v10, vcc, s6, v10
	v_addc_co_u32_e32 v11, vcc, v32, v11, vcc
	global_load_dword v59, v[8:9], off
	global_load_dword v60, v[10:11], off
	v_bfe_i32 v43, v50, 0, 8
	v_bfe_i32 v50, v24, 0, 8
	v_cvt_f32_i32_sdwa v24, sext(v36) dst_sel:DWORD dst_unused:UNUSED_PAD src0_sel:WORD_0
	v_cvt_f32_i32_sdwa v36, sext(v27) dst_sel:DWORD dst_unused:UNUSED_PAD src0_sel:WORD_0
	v_lshrrev_b32_e32 v27, 24, v54
	v_bfe_i32 v27, v27, 0, 8
	v_cvt_f32_i32_sdwa v54, sext(v27) dst_sel:DWORD dst_unused:UNUSED_PAD src0_sel:WORD_0
	v_cvt_f32_i32_sdwa v11, sext(v55) dst_sel:DWORD dst_unused:UNUSED_PAD src0_sel:WORD_0
	;; [unrolled: 1-line block ×7, first 2 shown]
	v_bfe_i32 v33, v33, 0, 8
	v_cvt_f32_i32_sdwa v8, sext(v47) dst_sel:DWORD dst_unused:UNUSED_PAD src0_sel:WORD_0
	v_cvt_f32_i32_sdwa v47, sext(v33) dst_sel:DWORD dst_unused:UNUSED_PAD src0_sel:WORD_0
	v_bfe_i32 v67, v23, 0, 8
	v_cvt_f32_i32_sdwa v23, sext(v39) dst_sel:DWORD dst_unused:UNUSED_PAD src0_sel:WORD_0
	v_cvt_f32_i32_sdwa v37, sext(v44) dst_sel:DWORD dst_unused:UNUSED_PAD src0_sel:WORD_0
	;; [unrolled: 3-line block ×3, first 2 shown]
	v_cvt_f32_i32_sdwa v34, sext(v62) dst_sel:DWORD dst_unused:UNUSED_PAD src0_sel:WORD_0
	v_cvt_f32_i32_sdwa v41, sext(v65) dst_sel:DWORD dst_unused:UNUSED_PAD src0_sel:WORD_0
	;; [unrolled: 1-line block ×3, first 2 shown]
	v_bfe_i32 v52, v52, 0, 8
	v_cvt_f32_i32_sdwa v10, sext(v51) dst_sel:DWORD dst_unused:UNUSED_PAD src0_sel:WORD_0
	v_bfe_i32 v69, v42, 0, 8
	v_bfe_i32 v58, v58, 0, 8
	v_cvt_f32_i32_sdwa v43, sext(v43) dst_sel:DWORD dst_unused:UNUSED_PAD src0_sel:WORD_0
	v_cvt_f32_i32_sdwa v42, sext(v66) dst_sel:DWORD dst_unused:UNUSED_PAD src0_sel:WORD_0
	;; [unrolled: 1-line block ×8, first 2 shown]
	s_waitcnt vmcnt(1)
	v_bfe_i32 v55, v59, 0, 8
	v_pk_fma_f32 v[0:1], v[12:13], v[54:55], v[0:1] op_sel_hi:[1,0,1]
	v_lshrrev_b32_e32 v12, 8, v59
	v_bfe_i32 v56, v12, 0, 8
	v_cvt_f32_i32_sdwa v12, sext(v55) dst_sel:DWORD dst_unused:UNUSED_PAD src0_sel:WORD_0
	v_lshrrev_b32_e32 v13, 24, v59
	v_lshrrev_b32_e32 v33, 16, v59
	v_bfe_i32 v13, v13, 0, 8
	v_pk_fma_f32 v[2:3], v[14:15], v[54:55], v[2:3] op_sel_hi:[1,0,1]
	s_waitcnt vmcnt(0)
	v_lshrrev_b32_e32 v54, 24, v60
	v_bfe_i32 v33, v33, 0, 8
	v_pk_fma_f32 v[0:1], v[4:5], v[12:13], v[0:1] op_sel_hi:[1,0,1]
	v_cvt_f32_i32_sdwa v4, sext(v56) dst_sel:DWORD dst_unused:UNUSED_PAD src0_sel:WORD_0
	v_bfe_i32 v55, v54, 0, 8
	v_cvt_f32_i32_sdwa v54, sext(v33) dst_sel:DWORD dst_unused:UNUSED_PAD src0_sel:WORD_0
	v_bfe_i32 v14, v60, 0, 8
	v_lshrrev_b32_e32 v15, 8, v60
	v_pk_fma_f32 v[2:3], v[6:7], v[12:13], v[2:3] op_sel_hi:[1,0,1]
	v_cvt_f32_i32_sdwa v6, sext(v13) dst_sel:DWORD dst_unused:UNUSED_PAD src0_sel:WORD_0
	v_lshrrev_b32_e32 v27, 16, v60
	v_bfe_i32 v15, v15, 0, 8
	v_cvt_f32_i32_sdwa v14, sext(v14) dst_sel:DWORD dst_unused:UNUSED_PAD src0_sel:WORD_0
	v_bfe_i32 v27, v27, 0, 8
	v_cvt_f32_i32_sdwa v12, sext(v15) dst_sel:DWORD dst_unused:UNUSED_PAD src0_sel:WORD_0
	v_pk_fma_f32 v[0:1], v[22:23], v[4:5], v[0:1] op_sel_hi:[1,0,1]
	v_pk_fma_f32 v[2:3], v[36:37], v[4:5], v[2:3] op_sel_hi:[1,0,1]
	v_cvt_f32_i32_sdwa v56, sext(v27) dst_sel:DWORD dst_unused:UNUSED_PAD src0_sel:WORD_0
	v_pk_fma_f32 v[0:1], v[24:25], v[54:55], v[0:1] op_sel_hi:[1,0,1]
	v_pk_fma_f32 v[2:3], v[38:39], v[54:55], v[2:3] op_sel_hi:[1,0,1]
	v_cvt_f32_i32_sdwa v58, sext(v55) dst_sel:DWORD dst_unused:UNUSED_PAD src0_sel:WORD_0
	v_pk_fma_f32 v[0:1], v[34:35], v[6:7], v[0:1] op_sel_hi:[1,0,1]
	v_pk_fma_f32 v[2:3], v[40:41], v[6:7], v[2:3] op_sel_hi:[1,0,1]
	v_pk_fma_f32 v[0:1], v[8:9], v[14:15], v[0:1] op_sel_hi:[1,0,1]
	v_pk_fma_f32 v[2:3], v[10:11], v[14:15], v[2:3] op_sel_hi:[1,0,1]
	;; [unrolled: 1-line block ×8, first 2 shown]
	s_andn2_b64 exec, exec, s[14:15]
	s_cbranch_execnz .LBB76_21
; %bb.22:
	s_or_b64 exec, exec, s[14:15]
.LBB76_23:
	s_or_b64 exec, exec, s[10:11]
.LBB76_24:
	s_or_b64 exec, exec, s[8:9]
	s_cbranch_execz .LBB76_26
	s_branch .LBB76_37
.LBB76_25:
                                        ; implicit-def: $vgpr23
                                        ; implicit-def: $vgpr25
.LBB76_26:
	s_mov_b32 s8, 0
	v_mov_b32_e32 v23, 0
	v_mov_b32_e32 v22, 0
	;; [unrolled: 1-line block ×4, first 2 shown]
	s_and_saveexec_b64 s[2:3], s[0:1]
	s_cbranch_execz .LBB76_36
; %bb.27:
	v_add_u32_e32 v0, v31, v17
	v_subrev_u32_e32 v0, s20, v0
	v_add_u32_e32 v0, 8, v0
	v_max_i32_e32 v0, v0, v30
	v_not_b32_e32 v1, v31
	v_add3_u32 v0, v0, s20, v1
	v_sub_u32_e32 v0, v0, v17
	v_lshrrev_b32_e32 v1, 3, v0
	v_add_u32_e32 v1, 1, v1
	v_and_b32_e32 v1, 3, v1
	s_mov_b32 s9, s8
	v_cmp_ne_u32_e32 vcc, 0, v1
	v_pk_mov_b32 v[22:23], s[8:9], s[8:9] op_sel:[0,1]
	v_pk_mov_b32 v[24:25], s[8:9], s[8:9] op_sel:[0,1]
	s_and_saveexec_b64 s[0:1], vcc
	s_cbranch_execz .LBB76_31
; %bb.28:
	v_mov_b32_e32 v24, 0
	v_lshlrev_b32_e32 v1, 4, v1
	s_mov_b64 s[8:9], 0
	v_mov_b32_e32 v2, s13
	v_mov_b32_e32 v3, s7
	v_mov_b32_e32 v25, v24
	v_mov_b32_e32 v22, v24
	v_mov_b32_e32 v23, v24
.LBB76_29:                              ; =>This Inner Loop Header: Depth=1
	v_ashrrev_i32_e32 v19, 31, v18
	v_lshlrev_b64 v[4:5], 2, v[18:19]
	v_add_co_u32_e32 v8, vcc, s12, v4
	v_addc_co_u32_e32 v9, vcc, v2, v5, vcc
	global_load_dword v10, v[8:9], off
	global_load_dwordx4 v[4:7], v[20:21], off
	v_add_u32_e32 v1, -16, v1
	v_add_u32_e32 v18, 8, v18
	s_waitcnt vmcnt(1)
	v_subrev_u32_e32 v8, s20, v10
	v_lshlrev_b32_e32 v8, 2, v8
	v_ashrrev_i32_e32 v9, 31, v8
	v_add_co_u32_e32 v8, vcc, s6, v8
	v_addc_co_u32_e32 v9, vcc, v3, v9, vcc
	global_load_dword v19, v[8:9], off
	s_waitcnt vmcnt(1)
	v_lshrrev_b32_e32 v8, 8, v5
	v_lshrrev_b32_e32 v10, 16, v5
	;; [unrolled: 1-line block ×6, first 2 shown]
	v_bfe_i32 v9, v5, 0, 8
	v_lshrrev_b32_e32 v5, 24, v5
	v_bfe_i32 v12, v6, 0, 8
	v_lshrrev_b32_e32 v6, 24, v6
	;; [unrolled: 2-line block ×3, first 2 shown]
	v_lshrrev_b32_e32 v7, 24, v7
	v_lshrrev_b32_e32 v27, 8, v4
	;; [unrolled: 1-line block ×3, first 2 shown]
	v_bfe_i32 v32, v8, 0, 8
	v_bfe_i32 v33, v10, 0, 8
	;; [unrolled: 1-line block ×11, first 2 shown]
	v_cvt_f32_i32_sdwa v6, sext(v9) dst_sel:DWORD dst_unused:UNUSED_PAD src0_sel:WORD_0
	v_cvt_f32_i32_sdwa v8, sext(v12) dst_sel:DWORD dst_unused:UNUSED_PAD src0_sel:WORD_0
	v_bfe_i32 v12, v29, 0, 8
	v_cvt_f32_i32_sdwa v7, sext(v32) dst_sel:DWORD dst_unused:UNUSED_PAD src0_sel:WORD_0
	v_cvt_f32_i32_sdwa v9, sext(v11) dst_sel:DWORD dst_unused:UNUSED_PAD src0_sel:WORD_0
	;; [unrolled: 1-line block ×10, first 2 shown]
	v_bfe_i32 v37, v26, 0, 8
	v_cvt_f32_i32_sdwa v27, sext(v36) dst_sel:DWORD dst_unused:UNUSED_PAD src0_sel:WORD_0
	v_cvt_f32_i32_sdwa v26, sext(v35) dst_sel:DWORD dst_unused:UNUSED_PAD src0_sel:WORD_0
	;; [unrolled: 1-line block ×4, first 2 shown]
	v_add_co_u32_e32 v20, vcc, 0x80, v20
	v_addc_co_u32_e32 v21, vcc, 0, v21, vcc
	v_cmp_eq_u32_e32 vcc, 0, v1
	s_or_b64 s[8:9], vcc, s[8:9]
	s_waitcnt vmcnt(0)
	v_bfe_i32 v32, v19, 0, 8
	v_lshrrev_b32_e32 v33, 8, v19
	v_lshrrev_b32_e32 v31, 16, v19
	v_bfe_i32 v33, v33, 0, 8
	v_cvt_f32_i32_sdwa v32, sext(v32) dst_sel:DWORD dst_unused:UNUSED_PAD src0_sel:WORD_0
	v_lshrrev_b32_e32 v19, 24, v19
	v_bfe_i32 v31, v31, 0, 8
	v_cvt_f32_i32_sdwa v34, sext(v33) dst_sel:DWORD dst_unused:UNUSED_PAD src0_sel:WORD_0
	v_bfe_i32 v19, v19, 0, 8
	v_cvt_f32_i32_sdwa v36, sext(v31) dst_sel:DWORD dst_unused:UNUSED_PAD src0_sel:WORD_0
	v_cvt_f32_i32_sdwa v38, sext(v19) dst_sel:DWORD dst_unused:UNUSED_PAD src0_sel:WORD_0
	v_pk_fma_f32 v[4:5], v[4:5], v[32:33], v[24:25] op_sel_hi:[1,0,1]
	v_pk_fma_f32 v[12:13], v[12:13], v[32:33], v[22:23] op_sel_hi:[1,0,1]
	v_pk_fma_f32 v[4:5], v[6:7], v[34:35], v[4:5] op_sel_hi:[1,0,1]
	v_pk_fma_f32 v[6:7], v[14:15], v[34:35], v[12:13] op_sel_hi:[1,0,1]
	v_pk_fma_f32 v[4:5], v[8:9], v[36:37], v[4:5] op_sel_hi:[1,0,1]
	v_pk_fma_f32 v[6:7], v[26:27], v[36:37], v[6:7] op_sel_hi:[1,0,1]
	v_pk_fma_f32 v[24:25], v[10:11], v[38:39], v[4:5] op_sel_hi:[1,0,1]
	v_pk_fma_f32 v[22:23], v[28:29], v[38:39], v[6:7] op_sel_hi:[1,0,1]
	s_andn2_b64 exec, exec, s[8:9]
	s_cbranch_execnz .LBB76_29
; %bb.30:
	s_or_b64 exec, exec, s[8:9]
.LBB76_31:
	s_or_b64 exec, exec, s[0:1]
	v_cmp_lt_u32_e32 vcc, 23, v0
	s_and_saveexec_b64 s[0:1], vcc
	s_cbranch_execz .LBB76_35
; %bb.32:
	s_mov_b64 s[8:9], 0
	v_mov_b32_e32 v4, s13
	v_mov_b32_e32 v5, s7
.LBB76_33:                              ; =>This Inner Loop Header: Depth=1
	v_ashrrev_i32_e32 v19, 31, v18
	global_load_dwordx4 v[0:3], v[20:21], off
	global_load_dwordx4 v[6:9], v[20:21], off offset:128
	v_lshlrev_b64 v[14:15], 2, v[18:19]
	v_add_co_u32_e32 v14, vcc, s12, v14
	v_addc_co_u32_e32 v15, vcc, v4, v15, vcc
	global_load_dwordx4 v[10:13], v[20:21], off offset:256
	global_load_dwordx4 v[26:29], v[20:21], off offset:384
	global_load_dword v19, v[14:15], off
	global_load_dword v31, v[14:15], off offset:32
	global_load_dword v32, v[14:15], off offset:64
	;; [unrolled: 1-line block ×3, first 2 shown]
	v_add_u32_e32 v18, 32, v18
	s_waitcnt vmcnt(7)
	v_lshrrev_b32_e32 v38, 8, v2
	v_bfe_i32 v39, v2, 0, 8
	v_lshrrev_b32_e32 v40, 16, v2
	v_lshrrev_b32_e32 v41, 24, v2
	v_bfe_i32 v2, v0, 0, 8
	v_lshrrev_b32_e32 v34, 8, v1
	v_bfe_i32 v35, v1, 0, 8
	v_lshrrev_b32_e32 v36, 16, v1
	v_lshrrev_b32_e32 v37, 24, v1
	;; [unrolled: 1-line block ×5, first 2 shown]
	v_cvt_f32_i32_sdwa v0, sext(v2) dst_sel:DWORD dst_unused:UNUSED_PAD src0_sel:WORD_0
	s_waitcnt vmcnt(3)
	v_subrev_u32_e32 v2, s20, v19
	v_lshrrev_b32_e32 v42, 8, v3
	v_bfe_i32 v43, v3, 0, 8
	v_lshrrev_b32_e32 v44, 16, v3
	v_lshrrev_b32_e32 v45, 24, v3
	s_waitcnt vmcnt(2)
	v_subrev_u32_e32 v3, s20, v31
	v_lshlrev_b32_e32 v2, 2, v2
	v_lshrrev_b32_e32 v52, 8, v8
	v_bfe_i32 v53, v8, 0, 8
	v_lshrrev_b32_e32 v54, 16, v8
	v_lshrrev_b32_e32 v55, 24, v8
	v_lshlrev_b32_e32 v8, 2, v3
	v_ashrrev_i32_e32 v3, 31, v2
	v_add_co_u32_e32 v2, vcc, s6, v2
	v_addc_co_u32_e32 v3, vcc, v5, v3, vcc
	global_load_dword v31, v[2:3], off
	v_lshrrev_b32_e32 v48, 8, v7
	v_bfe_i32 v49, v7, 0, 8
	v_lshrrev_b32_e32 v50, 16, v7
	v_lshrrev_b32_e32 v51, 24, v7
	;; [unrolled: 1-line block ×3, first 2 shown]
	v_bfe_i32 v61, v6, 0, 8
	v_lshrrev_b32_e32 v62, 16, v6
	v_lshrrev_b32_e32 v63, 24, v6
	s_waitcnt vmcnt(2)
	v_subrev_u32_e32 v6, s20, v32
	s_waitcnt vmcnt(1)
	v_subrev_u32_e32 v7, s20, v33
	v_lshrrev_b32_e32 v56, 8, v9
	v_bfe_i32 v57, v9, 0, 8
	v_lshrrev_b32_e32 v58, 16, v9
	v_lshrrev_b32_e32 v59, 24, v9
	v_lshlrev_b32_e32 v9, 2, v6
	v_lshlrev_b32_e32 v14, 2, v7
	v_ashrrev_i32_e32 v7, 31, v8
	v_add_co_u32_e32 v6, vcc, s6, v8
	v_addc_co_u32_e32 v7, vcc, v5, v7, vcc
	global_load_dword v64, v[6:7], off
	v_ashrrev_i32_e32 v15, 31, v9
	v_add_co_u32_e32 v8, vcc, s6, v9
	v_addc_co_u32_e32 v9, vcc, v5, v15, vcc
	v_ashrrev_i32_e32 v19, 31, v14
	v_add_co_u32_e32 v14, vcc, s6, v14
	v_addc_co_u32_e32 v15, vcc, v5, v19, vcc
	global_load_dword v65, v[8:9], off
	global_load_dword v66, v[14:15], off
	v_bfe_i32 v1, v1, 0, 8
	v_cvt_f32_i32_sdwa v1, sext(v1) dst_sel:DWORD dst_unused:UNUSED_PAD src0_sel:WORD_0
	v_bfe_i32 v6, v47, 0, 8
	v_cvt_f32_i32_sdwa v7, sext(v6) dst_sel:DWORD dst_unused:UNUSED_PAD src0_sel:WORD_0
	v_lshrrev_b32_e32 v9, 24, v11
	v_lshrrev_b32_e32 v19, 8, v11
	v_bfe_i32 v47, v27, 0, 8
	v_bfe_i32 v19, v19, 0, 8
	;; [unrolled: 1-line block ×3, first 2 shown]
	v_lshrrev_b32_e32 v33, 16, v11
	v_lshrrev_b32_e32 v11, 8, v12
	;; [unrolled: 1-line block ×4, first 2 shown]
	v_add_co_u32_e32 v20, vcc, 0x200, v20
	v_addc_co_u32_e32 v21, vcc, 0, v21, vcc
	v_cmp_ge_i32_e32 vcc, v18, v30
	s_or_b64 s[8:9], vcc, s[8:9]
	s_waitcnt vmcnt(3)
	v_bfe_i32 v2, v31, 0, 8
	v_cvt_f32_i32_sdwa v2, sext(v2) dst_sel:DWORD dst_unused:UNUSED_PAD src0_sel:WORD_0
	v_lshrrev_b32_e32 v8, 8, v31
	v_bfe_i32 v8, v8, 0, 8
	v_cvt_f32_i32_sdwa v8, sext(v8) dst_sel:DWORD dst_unused:UNUSED_PAD src0_sel:WORD_0
	v_pk_fma_f32 v[0:1], v[0:1], v[2:3], v[24:25] op_sel_hi:[1,0,1]
	v_bfe_i32 v3, v46, 0, 8
	v_cvt_f32_i32_sdwa v6, sext(v3) dst_sel:DWORD dst_unused:UNUSED_PAD src0_sel:WORD_0
	v_bfe_i32 v25, v50, 0, 8
	v_bfe_i32 v50, v56, 0, 8
	;; [unrolled: 1-line block ×3, first 2 shown]
	v_pk_fma_f32 v[2:3], v[6:7], v[2:3], v[22:23] op_sel_hi:[1,0,1]
	v_bfe_i32 v7, v34, 0, 8
	v_cvt_f32_i32_sdwa v6, sext(v35) dst_sel:DWORD dst_unused:UNUSED_PAD src0_sel:WORD_0
	v_cvt_f32_i32_sdwa v7, sext(v7) dst_sel:DWORD dst_unused:UNUSED_PAD src0_sel:WORD_0
	v_lshrrev_b32_e32 v35, 16, v10
	v_bfe_i32 v34, v13, 0, 8
	v_lshrrev_b32_e32 v22, 16, v13
	v_pk_fma_f32 v[0:1], v[6:7], v[8:9], v[0:1] op_sel_hi:[1,0,1]
	v_bfe_i32 v6, v36, 0, 8
	v_bfe_i32 v7, v37, 0, 8
	v_cvt_f32_i32_sdwa v7, sext(v7) dst_sel:DWORD dst_unused:UNUSED_PAD src0_sel:WORD_0
	v_cvt_f32_i32_sdwa v6, sext(v6) dst_sel:DWORD dst_unused:UNUSED_PAD src0_sel:WORD_0
	v_lshrrev_b32_e32 v37, 8, v27
	v_lshrrev_b32_e32 v36, 24, v10
	;; [unrolled: 1-line block ×3, first 2 shown]
	v_pk_fma_f32 v[2:3], v[6:7], v[8:9], v[2:3] op_sel_hi:[1,0,1]
	v_lshrrev_b32_e32 v8, 16, v31
	v_bfe_i32 v7, v38, 0, 8
	v_bfe_i32 v8, v8, 0, 8
	v_cvt_f32_i32_sdwa v6, sext(v39) dst_sel:DWORD dst_unused:UNUSED_PAD src0_sel:WORD_0
	v_cvt_f32_i32_sdwa v7, sext(v7) dst_sel:DWORD dst_unused:UNUSED_PAD src0_sel:WORD_0
	v_cvt_f32_i32_sdwa v8, sext(v8) dst_sel:DWORD dst_unused:UNUSED_PAD src0_sel:WORD_0
	v_lshrrev_b32_e32 v38, 16, v27
	v_lshrrev_b32_e32 v39, 24, v27
	v_bfe_i32 v27, v52, 0, 8
	v_pk_fma_f32 v[0:1], v[6:7], v[8:9], v[0:1] op_sel_hi:[1,0,1]
	v_bfe_i32 v6, v40, 0, 8
	v_bfe_i32 v7, v41, 0, 8
	v_cvt_f32_i32_sdwa v7, sext(v7) dst_sel:DWORD dst_unused:UNUSED_PAD src0_sel:WORD_0
	v_cvt_f32_i32_sdwa v6, sext(v6) dst_sel:DWORD dst_unused:UNUSED_PAD src0_sel:WORD_0
	v_bfe_i32 v52, v59, 0, 8
	v_lshrrev_b32_e32 v40, 16, v28
	v_lshrrev_b32_e32 v41, 24, v28
	v_pk_fma_f32 v[2:3], v[6:7], v[8:9], v[2:3] op_sel_hi:[1,0,1]
	v_lshrrev_b32_e32 v8, 24, v31
	v_bfe_i32 v7, v42, 0, 8
	v_bfe_i32 v8, v8, 0, 8
	v_cvt_f32_i32_sdwa v6, sext(v43) dst_sel:DWORD dst_unused:UNUSED_PAD src0_sel:WORD_0
	v_cvt_f32_i32_sdwa v7, sext(v7) dst_sel:DWORD dst_unused:UNUSED_PAD src0_sel:WORD_0
	;; [unrolled: 1-line block ×3, first 2 shown]
	v_lshrrev_b32_e32 v42, 8, v29
	v_lshrrev_b32_e32 v31, 8, v28
	;; [unrolled: 1-line block ×3, first 2 shown]
	v_pk_fma_f32 v[0:1], v[6:7], v[8:9], v[0:1] op_sel_hi:[1,0,1]
	v_bfe_i32 v6, v44, 0, 8
	v_bfe_i32 v7, v45, 0, 8
	v_cvt_f32_i32_sdwa v7, sext(v7) dst_sel:DWORD dst_unused:UNUSED_PAD src0_sel:WORD_0
	v_cvt_f32_i32_sdwa v6, sext(v6) dst_sel:DWORD dst_unused:UNUSED_PAD src0_sel:WORD_0
	v_bfe_i32 v45, v28, 0, 8
	v_bfe_i32 v28, v54, 0, 8
	;; [unrolled: 1-line block ×3, first 2 shown]
	v_pk_fma_f32 v[2:3], v[6:7], v[8:9], v[2:3] op_sel_hi:[1,0,1]
	v_bfe_i32 v7, v60, 0, 8
	s_waitcnt vmcnt(2)
	v_bfe_i32 v8, v64, 0, 8
	v_cvt_f32_i32_sdwa v6, sext(v61) dst_sel:DWORD dst_unused:UNUSED_PAD src0_sel:WORD_0
	v_cvt_f32_i32_sdwa v7, sext(v7) dst_sel:DWORD dst_unused:UNUSED_PAD src0_sel:WORD_0
	;; [unrolled: 1-line block ×5, first 2 shown]
	v_bfe_i32 v52, v38, 0, 8
	v_pk_fma_f32 v[0:1], v[6:7], v[8:9], v[0:1] op_sel_hi:[1,0,1]
	v_bfe_i32 v6, v62, 0, 8
	v_bfe_i32 v7, v63, 0, 8
	v_cvt_f32_i32_sdwa v7, sext(v7) dst_sel:DWORD dst_unused:UNUSED_PAD src0_sel:WORD_0
	v_cvt_f32_i32_sdwa v6, sext(v6) dst_sel:DWORD dst_unused:UNUSED_PAD src0_sel:WORD_0
	v_lshrrev_b32_e32 v62, 16, v26
	v_lshrrev_b32_e32 v44, 8, v26
	v_bfe_i32 v61, v26, 0, 8
	v_pk_fma_f32 v[2:3], v[6:7], v[8:9], v[2:3] op_sel_hi:[1,0,1]
	v_cvt_f32_i32_sdwa v8, sext(v53) dst_sel:DWORD dst_unused:UNUSED_PAD src0_sel:WORD_0
	v_bfe_i32 v53, v9, 0, 8
	v_cvt_f32_i32_sdwa v9, sext(v27) dst_sel:DWORD dst_unused:UNUSED_PAD src0_sel:WORD_0
	v_cvt_f32_i32_sdwa v27, sext(v19) dst_sel:DWORD dst_unused:UNUSED_PAD src0_sel:WORD_0
	v_bfe_i32 v19, v35, 0, 8
	v_cvt_f32_i32_sdwa v6, sext(v49) dst_sel:DWORD dst_unused:UNUSED_PAD src0_sel:WORD_0
	v_bfe_i32 v49, v33, 0, 8
	v_bfe_i32 v33, v11, 0, 8
	v_cvt_f32_i32_sdwa v11, sext(v50) dst_sel:DWORD dst_unused:UNUSED_PAD src0_sel:WORD_0
	v_bfe_i32 v35, v36, 0, 8
	;; [unrolled: 3-line block ×3, first 2 shown]
	v_cvt_f32_i32_sdwa v38, sext(v49) dst_sel:DWORD dst_unused:UNUSED_PAD src0_sel:WORD_0
	v_cvt_f32_i32_sdwa v49, sext(v50) dst_sel:DWORD dst_unused:UNUSED_PAD src0_sel:WORD_0
	v_cvt_f32_i32_sdwa v50, sext(v19) dst_sel:DWORD dst_unused:UNUSED_PAD src0_sel:WORD_0
	v_lshrrev_b32_e32 v19, 8, v64
	v_lshrrev_b32_e32 v63, 24, v26
	v_bfe_i32 v7, v48, 0, 8
	v_bfe_i32 v26, v51, 0, 8
	;; [unrolled: 1-line block ×5, first 2 shown]
	v_cvt_f32_i32_sdwa v7, sext(v7) dst_sel:DWORD dst_unused:UNUSED_PAD src0_sel:WORD_0
	v_bfe_i32 v69, v43, 0, 8
	v_cvt_f32_i32_sdwa v43, sext(v58) dst_sel:DWORD dst_unused:UNUSED_PAD src0_sel:WORD_0
	v_cvt_f32_i32_sdwa v58, sext(v19) dst_sel:DWORD dst_unused:UNUSED_PAD src0_sel:WORD_0
	v_bfe_i32 v59, v39, 0, 8
	v_lshrrev_b32_e32 v23, 8, v10
	v_bfe_i32 v48, v55, 0, 8
	v_pk_fma_f32 v[0:1], v[6:7], v[58:59], v[0:1] op_sel_hi:[1,0,1]
	v_lshrrev_b32_e32 v6, 16, v64
	v_bfe_i32 v6, v6, 0, 8
	v_cvt_f32_i32_sdwa v15, sext(v26) dst_sel:DWORD dst_unused:UNUSED_PAD src0_sel:WORD_0
	v_cvt_f32_i32_sdwa v6, sext(v6) dst_sel:DWORD dst_unused:UNUSED_PAD src0_sel:WORD_0
	v_bfe_i32 v24, v10, 0, 8
	v_cvt_f32_i32_sdwa v10, sext(v57) dst_sel:DWORD dst_unused:UNUSED_PAD src0_sel:WORD_0
	v_bfe_i32 v57, v22, 0, 8
	v_bfe_i32 v13, v23, 0, 8
	v_cvt_f32_i32_sdwa v23, sext(v48) dst_sel:DWORD dst_unused:UNUSED_PAD src0_sel:WORD_0
	v_cvt_f32_i32_sdwa v22, sext(v28) dst_sel:DWORD dst_unused:UNUSED_PAD src0_sel:WORD_0
	v_lshrrev_b32_e32 v7, 24, v64
	v_pk_fma_f32 v[2:3], v[14:15], v[58:59], v[2:3] op_sel_hi:[1,0,1]
	s_waitcnt vmcnt(1)
	v_bfe_i32 v14, v65, 0, 8
	v_pk_fma_f32 v[0:1], v[8:9], v[6:7], v[0:1] op_sel_hi:[1,0,1]
	v_bfe_i32 v7, v7, 0, 8
	v_bfe_i32 v46, v12, 0, 8
	v_lshrrev_b32_e32 v12, 24, v12
	v_pk_fma_f32 v[2:3], v[22:23], v[6:7], v[2:3] op_sel_hi:[1,0,1]
	v_cvt_f32_i32_sdwa v6, sext(v14) dst_sel:DWORD dst_unused:UNUSED_PAD src0_sel:WORD_0
	v_cvt_f32_i32_sdwa v14, sext(v7) dst_sel:DWORD dst_unused:UNUSED_PAD src0_sel:WORD_0
	v_bfe_i32 v55, v12, 0, 8
	v_cvt_f32_i32_sdwa v12, sext(v24) dst_sel:DWORD dst_unused:UNUSED_PAD src0_sel:WORD_0
	v_cvt_f32_i32_sdwa v24, sext(v51) dst_sel:DWORD dst_unused:UNUSED_PAD src0_sel:WORD_0
	v_lshrrev_b32_e32 v15, 8, v65
	v_cvt_f32_i32_sdwa v13, sext(v13) dst_sel:DWORD dst_unused:UNUSED_PAD src0_sel:WORD_0
	v_bfe_i32 v48, v37, 0, 8
	v_bfe_i32 v31, v31, 0, 8
	v_cvt_f32_i32_sdwa v37, sext(v35) dst_sel:DWORD dst_unused:UNUSED_PAD src0_sel:WORD_0
	v_lshrrev_b32_e32 v19, 16, v65
	v_bfe_i32 v15, v15, 0, 8
	v_bfe_i32 v60, v29, 0, 8
	v_lshrrev_b32_e32 v29, 24, v29
	v_cvt_f32_i32_sdwa v26, sext(v32) dst_sel:DWORD dst_unused:UNUSED_PAD src0_sel:WORD_0
	v_cvt_f32_i32_sdwa v28, sext(v46) dst_sel:DWORD dst_unused:UNUSED_PAD src0_sel:WORD_0
	v_bfe_i32 v46, v44, 0, 8
	v_cvt_f32_i32_sdwa v39, sext(v53) dst_sel:DWORD dst_unused:UNUSED_PAD src0_sel:WORD_0
	v_cvt_f32_i32_sdwa v44, sext(v47) dst_sel:DWORD dst_unused:UNUSED_PAD src0_sel:WORD_0
	;; [unrolled: 1-line block ×3, first 2 shown]
	v_lshrrev_b32_e32 v31, 24, v65
	v_bfe_i32 v19, v19, 0, 8
	v_cvt_f32_i32_sdwa v22, sext(v15) dst_sel:DWORD dst_unused:UNUSED_PAD src0_sel:WORD_0
	v_bfe_i32 v67, v40, 0, 8
	v_bfe_i32 v68, v41, 0, 8
	;; [unrolled: 1-line block ×3, first 2 shown]
	v_cvt_f32_i32_sdwa v29, sext(v33) dst_sel:DWORD dst_unused:UNUSED_PAD src0_sel:WORD_0
	v_cvt_f32_i32_sdwa v41, sext(v55) dst_sel:DWORD dst_unused:UNUSED_PAD src0_sel:WORD_0
	;; [unrolled: 1-line block ×3, first 2 shown]
	s_waitcnt vmcnt(0)
	v_lshrrev_b32_e32 v58, 16, v66
	v_bfe_i32 v31, v31, 0, 8
	v_pk_fma_f32 v[0:1], v[10:11], v[14:15], v[0:1] op_sel_hi:[1,0,1]
	v_cvt_f32_i32_sdwa v10, sext(v19) dst_sel:DWORD dst_unused:UNUSED_PAD src0_sel:WORD_0
	v_cvt_f32_i32_sdwa v32, sext(v34) dst_sel:DWORD dst_unused:UNUSED_PAD src0_sel:WORD_0
	;; [unrolled: 1-line block ×4, first 2 shown]
	v_bfe_i32 v51, v63, 0, 8
	v_bfe_i32 v8, v66, 0, 8
	v_lshrrev_b32_e32 v9, 8, v66
	v_bfe_i32 v23, v58, 0, 8
	v_cvt_f32_i32_sdwa v58, sext(v31) dst_sel:DWORD dst_unused:UNUSED_PAD src0_sel:WORD_0
	v_pk_fma_f32 v[2:3], v[24:25], v[14:15], v[2:3] op_sel_hi:[1,0,1]
	v_cvt_f32_i32_sdwa v34, sext(v61) dst_sel:DWORD dst_unused:UNUSED_PAD src0_sel:WORD_0
	v_cvt_f32_i32_sdwa v35, sext(v46) dst_sel:DWORD dst_unused:UNUSED_PAD src0_sel:WORD_0
	;; [unrolled: 1-line block ×3, first 2 shown]
	v_bfe_i32 v9, v9, 0, 8
	v_cvt_f32_i32_sdwa v8, sext(v8) dst_sel:DWORD dst_unused:UNUSED_PAD src0_sel:WORD_0
	v_pk_fma_f32 v[0:1], v[12:13], v[6:7], v[0:1] op_sel_hi:[1,0,1]
	v_pk_fma_f32 v[2:3], v[36:37], v[6:7], v[2:3] op_sel_hi:[1,0,1]
	v_cvt_f32_i32_sdwa v46, sext(v45) dst_sel:DWORD dst_unused:UNUSED_PAD src0_sel:WORD_0
	v_cvt_f32_i32_sdwa v45, sext(v48) dst_sel:DWORD dst_unused:UNUSED_PAD src0_sel:WORD_0
	;; [unrolled: 1-line block ×4, first 2 shown]
	v_lshrrev_b32_e32 v59, 24, v66
	v_cvt_f32_i32_sdwa v14, sext(v9) dst_sel:DWORD dst_unused:UNUSED_PAD src0_sel:WORD_0
	v_pk_fma_f32 v[0:1], v[26:27], v[22:23], v[0:1] op_sel_hi:[1,0,1]
	v_pk_fma_f32 v[2:3], v[38:39], v[22:23], v[2:3] op_sel_hi:[1,0,1]
	v_cvt_f32_i32_sdwa v55, sext(v68) dst_sel:DWORD dst_unused:UNUSED_PAD src0_sel:WORD_0
	v_cvt_f32_i32_sdwa v54, sext(v67) dst_sel:DWORD dst_unused:UNUSED_PAD src0_sel:WORD_0
	v_bfe_i32 v59, v59, 0, 8
	v_cvt_f32_i32_sdwa v24, sext(v23) dst_sel:DWORD dst_unused:UNUSED_PAD src0_sel:WORD_0
	v_pk_fma_f32 v[0:1], v[28:29], v[10:11], v[0:1] op_sel_hi:[1,0,1]
	v_pk_fma_f32 v[2:3], v[40:41], v[10:11], v[2:3] op_sel_hi:[1,0,1]
	v_cvt_f32_i32_sdwa v48, sext(v60) dst_sel:DWORD dst_unused:UNUSED_PAD src0_sel:WORD_0
	v_cvt_f32_i32_sdwa v57, sext(v70) dst_sel:DWORD dst_unused:UNUSED_PAD src0_sel:WORD_0
	;; [unrolled: 1-line block ×4, first 2 shown]
	v_pk_fma_f32 v[0:1], v[32:33], v[58:59], v[0:1] op_sel_hi:[1,0,1]
	v_pk_fma_f32 v[2:3], v[42:43], v[58:59], v[2:3] op_sel_hi:[1,0,1]
	;; [unrolled: 1-line block ×10, first 2 shown]
	s_andn2_b64 exec, exec, s[8:9]
	s_cbranch_execnz .LBB76_33
; %bb.34:
	s_or_b64 exec, exec, s[8:9]
.LBB76_35:
	s_or_b64 exec, exec, s[0:1]
.LBB76_36:
	s_or_b64 exec, exec, s[2:3]
.LBB76_37:
	v_mov_b32_dpp v0, v24 row_shr:1 row_mask:0xf bank_mask:0xf
	v_mov_b32_dpp v1, v25 row_shr:1 row_mask:0xf bank_mask:0xf
	;; [unrolled: 1-line block ×4, first 2 shown]
	v_pk_add_f32 v[0:1], v[24:25], v[0:1]
	v_pk_add_f32 v[4:5], v[22:23], v[4:5]
	v_cmp_eq_u32_e32 vcc, 7, v17
	v_mov_b32_dpp v2, v0 row_shr:2 row_mask:0xf bank_mask:0xf
	v_mov_b32_dpp v3, v1 row_shr:2 row_mask:0xf bank_mask:0xf
	;; [unrolled: 1-line block ×4, first 2 shown]
	v_pk_add_f32 v[0:1], v[0:1], v[2:3]
	v_pk_add_f32 v[4:5], v[4:5], v[6:7]
	s_nop 0
	v_mov_b32_dpp v2, v0 row_shr:4 row_mask:0xf bank_mask:0xe
	v_mov_b32_dpp v3, v1 row_shr:4 row_mask:0xf bank_mask:0xe
	;; [unrolled: 1-line block ×4, first 2 shown]
	s_and_b64 exec, exec, vcc
	s_cbranch_execz .LBB76_10
; %bb.38:
	s_load_dwordx2 s[0:1], s[4:5], 0x50
	v_cmp_eq_f32_e64 s[2:3], s18, 0
	v_pk_add_f32 v[2:3], v[0:1], v[2:3]
	v_pk_add_f32 v[0:1], v[4:5], v[6:7]
	s_and_b64 vcc, exec, s[2:3]
	v_lshlrev_b32_e32 v4, 2, v16
	s_cbranch_vccz .LBB76_40
; %bb.39:
	v_ashrrev_i32_e32 v5, 31, v4
	v_lshlrev_b64 v[6:7], 2, v[4:5]
	s_waitcnt lgkmcnt(0)
	v_mov_b32_e32 v5, s1
	v_add_co_u32_e32 v10, vcc, s0, v6
	v_addc_co_u32_e32 v11, vcc, v5, v7, vcc
	v_pk_mul_f32 v[6:7], s[16:17], v[2:3] op_sel_hi:[0,1]
	v_pk_mul_f32 v[8:9], s[16:17], v[0:1] op_sel_hi:[0,1]
	global_store_dwordx4 v[10:11], v[6:9], off
	s_cbranch_execnz .LBB76_10
	s_branch .LBB76_41
.LBB76_40:
.LBB76_41:
	v_ashrrev_i32_e32 v5, 31, v4
	v_lshlrev_b64 v[4:5], 2, v[4:5]
	s_waitcnt lgkmcnt(0)
	v_mov_b32_e32 v6, s1
	v_add_co_u32_e32 v8, vcc, s0, v4
	v_addc_co_u32_e32 v9, vcc, v6, v5, vcc
	global_load_dwordx4 v[4:7], v[8:9], off
	v_pk_mul_f32 v[2:3], s[16:17], v[2:3] op_sel_hi:[0,1]
	v_pk_mul_f32 v[10:11], s[16:17], v[0:1] op_sel_hi:[0,1]
	s_waitcnt vmcnt(0)
	v_pk_fma_f32 v[0:1], s[18:19], v[4:5], v[2:3] op_sel_hi:[0,1,1]
	v_pk_fma_f32 v[2:3], s[18:19], v[6:7], v[10:11] op_sel_hi:[0,1,1]
	global_store_dwordx4 v[8:9], v[0:3], off
	s_endpgm
	.section	.rodata,"a",@progbits
	.p2align	6, 0x0
	.amdhsa_kernel _ZN9rocsparseL18bsrxmvn_4x4_kernelILj128ELj8EfiiaafEEvT3_20rocsparse_direction_NS_24const_host_device_scalarIT1_EES1_PKS1_PKT2_SA_S7_PKT4_PKT5_S5_PT6_21rocsparse_index_base_b
		.amdhsa_group_segment_fixed_size 0
		.amdhsa_private_segment_fixed_size 0
		.amdhsa_kernarg_size 96
		.amdhsa_user_sgpr_count 6
		.amdhsa_user_sgpr_private_segment_buffer 1
		.amdhsa_user_sgpr_dispatch_ptr 0
		.amdhsa_user_sgpr_queue_ptr 0
		.amdhsa_user_sgpr_kernarg_segment_ptr 1
		.amdhsa_user_sgpr_dispatch_id 0
		.amdhsa_user_sgpr_flat_scratch_init 0
		.amdhsa_user_sgpr_kernarg_preload_length 0
		.amdhsa_user_sgpr_kernarg_preload_offset 0
		.amdhsa_user_sgpr_private_segment_size 0
		.amdhsa_uses_dynamic_stack 0
		.amdhsa_system_sgpr_private_segment_wavefront_offset 0
		.amdhsa_system_sgpr_workgroup_id_x 1
		.amdhsa_system_sgpr_workgroup_id_y 0
		.amdhsa_system_sgpr_workgroup_id_z 0
		.amdhsa_system_sgpr_workgroup_info 0
		.amdhsa_system_vgpr_workitem_id 0
		.amdhsa_next_free_vgpr 71
		.amdhsa_next_free_sgpr 22
		.amdhsa_accum_offset 72
		.amdhsa_reserve_vcc 1
		.amdhsa_reserve_flat_scratch 0
		.amdhsa_float_round_mode_32 0
		.amdhsa_float_round_mode_16_64 0
		.amdhsa_float_denorm_mode_32 3
		.amdhsa_float_denorm_mode_16_64 3
		.amdhsa_dx10_clamp 1
		.amdhsa_ieee_mode 1
		.amdhsa_fp16_overflow 0
		.amdhsa_tg_split 0
		.amdhsa_exception_fp_ieee_invalid_op 0
		.amdhsa_exception_fp_denorm_src 0
		.amdhsa_exception_fp_ieee_div_zero 0
		.amdhsa_exception_fp_ieee_overflow 0
		.amdhsa_exception_fp_ieee_underflow 0
		.amdhsa_exception_fp_ieee_inexact 0
		.amdhsa_exception_int_div_zero 0
	.end_amdhsa_kernel
	.section	.text._ZN9rocsparseL18bsrxmvn_4x4_kernelILj128ELj8EfiiaafEEvT3_20rocsparse_direction_NS_24const_host_device_scalarIT1_EES1_PKS1_PKT2_SA_S7_PKT4_PKT5_S5_PT6_21rocsparse_index_base_b,"axG",@progbits,_ZN9rocsparseL18bsrxmvn_4x4_kernelILj128ELj8EfiiaafEEvT3_20rocsparse_direction_NS_24const_host_device_scalarIT1_EES1_PKS1_PKT2_SA_S7_PKT4_PKT5_S5_PT6_21rocsparse_index_base_b,comdat
.Lfunc_end76:
	.size	_ZN9rocsparseL18bsrxmvn_4x4_kernelILj128ELj8EfiiaafEEvT3_20rocsparse_direction_NS_24const_host_device_scalarIT1_EES1_PKS1_PKT2_SA_S7_PKT4_PKT5_S5_PT6_21rocsparse_index_base_b, .Lfunc_end76-_ZN9rocsparseL18bsrxmvn_4x4_kernelILj128ELj8EfiiaafEEvT3_20rocsparse_direction_NS_24const_host_device_scalarIT1_EES1_PKS1_PKT2_SA_S7_PKT4_PKT5_S5_PT6_21rocsparse_index_base_b
                                        ; -- End function
	.section	.AMDGPU.csdata,"",@progbits
; Kernel info:
; codeLenInByte = 6348
; NumSgprs: 26
; NumVgprs: 71
; NumAgprs: 0
; TotalNumVgprs: 71
; ScratchSize: 0
; MemoryBound: 0
; FloatMode: 240
; IeeeMode: 1
; LDSByteSize: 0 bytes/workgroup (compile time only)
; SGPRBlocks: 3
; VGPRBlocks: 8
; NumSGPRsForWavesPerEU: 26
; NumVGPRsForWavesPerEU: 71
; AccumOffset: 72
; Occupancy: 7
; WaveLimiterHint : 1
; COMPUTE_PGM_RSRC2:SCRATCH_EN: 0
; COMPUTE_PGM_RSRC2:USER_SGPR: 6
; COMPUTE_PGM_RSRC2:TRAP_HANDLER: 0
; COMPUTE_PGM_RSRC2:TGID_X_EN: 1
; COMPUTE_PGM_RSRC2:TGID_Y_EN: 0
; COMPUTE_PGM_RSRC2:TGID_Z_EN: 0
; COMPUTE_PGM_RSRC2:TIDIG_COMP_CNT: 0
; COMPUTE_PGM_RSRC3_GFX90A:ACCUM_OFFSET: 17
; COMPUTE_PGM_RSRC3_GFX90A:TG_SPLIT: 0
	.section	.text._ZN9rocsparseL18bsrxmvn_4x4_kernelILj128ELj16EfiiaafEEvT3_20rocsparse_direction_NS_24const_host_device_scalarIT1_EES1_PKS1_PKT2_SA_S7_PKT4_PKT5_S5_PT6_21rocsparse_index_base_b,"axG",@progbits,_ZN9rocsparseL18bsrxmvn_4x4_kernelILj128ELj16EfiiaafEEvT3_20rocsparse_direction_NS_24const_host_device_scalarIT1_EES1_PKS1_PKT2_SA_S7_PKT4_PKT5_S5_PT6_21rocsparse_index_base_b,comdat
	.globl	_ZN9rocsparseL18bsrxmvn_4x4_kernelILj128ELj16EfiiaafEEvT3_20rocsparse_direction_NS_24const_host_device_scalarIT1_EES1_PKS1_PKT2_SA_S7_PKT4_PKT5_S5_PT6_21rocsparse_index_base_b ; -- Begin function _ZN9rocsparseL18bsrxmvn_4x4_kernelILj128ELj16EfiiaafEEvT3_20rocsparse_direction_NS_24const_host_device_scalarIT1_EES1_PKS1_PKT2_SA_S7_PKT4_PKT5_S5_PT6_21rocsparse_index_base_b
	.p2align	8
	.type	_ZN9rocsparseL18bsrxmvn_4x4_kernelILj128ELj16EfiiaafEEvT3_20rocsparse_direction_NS_24const_host_device_scalarIT1_EES1_PKS1_PKT2_SA_S7_PKT4_PKT5_S5_PT6_21rocsparse_index_base_b,@function
_ZN9rocsparseL18bsrxmvn_4x4_kernelILj128ELj16EfiiaafEEvT3_20rocsparse_direction_NS_24const_host_device_scalarIT1_EES1_PKS1_PKT2_SA_S7_PKT4_PKT5_S5_PT6_21rocsparse_index_base_b: ; @_ZN9rocsparseL18bsrxmvn_4x4_kernelILj128ELj16EfiiaafEEvT3_20rocsparse_direction_NS_24const_host_device_scalarIT1_EES1_PKS1_PKT2_SA_S7_PKT4_PKT5_S5_PT6_21rocsparse_index_base_b
; %bb.0:
	s_load_dwordx2 s[20:21], s[4:5], 0x58
	s_load_dwordx2 s[16:17], s[4:5], 0x8
	;; [unrolled: 1-line block ×3, first 2 shown]
	s_waitcnt lgkmcnt(0)
	s_bitcmp1_b32 s21, 0
	s_cselect_b64 s[2:3], -1, 0
	s_xor_b64 s[0:1], s[2:3], -1
	s_and_b64 vcc, exec, s[2:3]
	s_cbranch_vccnz .LBB77_2
; %bb.1:
	s_load_dword s16, s[16:17], 0x0
.LBB77_2:
	s_andn2_b64 vcc, exec, s[0:1]
	s_cbranch_vccnz .LBB77_4
; %bb.3:
	s_load_dword s18, s[18:19], 0x0
.LBB77_4:
	s_waitcnt lgkmcnt(0)
	v_cmp_neq_f32_e64 s[0:1], s16, 0
	v_cmp_neq_f32_e64 s[2:3], s18, 1.0
	s_or_b64 s[0:1], s[0:1], s[2:3]
	s_andn2_b64 vcc, exec, s[0:1]
	s_cbranch_vccnz .LBB77_10
; %bb.5:
	s_load_dwordx2 s[8:9], s[4:5], 0x18
	s_load_dwordx2 s[0:1], s[4:5], 0x0
	v_lshrrev_b32_e32 v1, 4, v0
	v_lshl_or_b32 v16, s6, 3, v1
	s_mov_b64 s[2:3], 0
	s_waitcnt lgkmcnt(0)
	s_cmp_lg_u64 s[8:9], 0
	s_cbranch_scc0 .LBB77_11
; %bb.6:
	s_load_dword s6, s[4:5], 0x10
                                        ; implicit-def: $vgpr1
	s_waitcnt lgkmcnt(0)
	v_cmp_gt_i32_e32 vcc, s6, v16
	s_and_saveexec_b64 s[6:7], vcc
	s_xor_b64 s[6:7], exec, s[6:7]
	s_cbranch_execz .LBB77_8
; %bb.7:
	v_ashrrev_i32_e32 v17, 31, v16
	v_lshlrev_b64 v[2:3], 2, v[16:17]
	v_mov_b32_e32 v1, s9
	v_add_co_u32_e32 v2, vcc, s8, v2
	v_addc_co_u32_e32 v3, vcc, v1, v3, vcc
	global_load_dword v1, v[2:3], off
	s_mov_b64 s[2:3], exec
	s_waitcnt vmcnt(0)
	v_subrev_u32_e32 v1, s20, v1
.LBB77_8:
	s_or_b64 exec, exec, s[6:7]
	s_branch .LBB77_12
.LBB77_9:
	v_cmp_gt_i32_e32 vcc, s0, v16
	s_andn2_b64 s[2:3], s[2:3], exec
	s_and_b64 s[6:7], vcc, exec
	s_or_b64 s[2:3], s[2:3], s[6:7]
	s_and_saveexec_b64 s[6:7], s[2:3]
	s_cbranch_execnz .LBB77_13
.LBB77_10:
	s_endpgm
.LBB77_11:
                                        ; implicit-def: $vgpr1
	s_cbranch_execnz .LBB77_9
.LBB77_12:
	v_mov_b32_e32 v16, v1
	s_and_saveexec_b64 s[6:7], s[2:3]
	s_cbranch_execz .LBB77_10
.LBB77_13:
	s_load_dwordx8 s[8:15], s[4:5], 0x20
	v_ashrrev_i32_e32 v17, 31, v16
	v_lshlrev_b64 v[2:3], 2, v[16:17]
	v_and_b32_e32 v17, 15, v0
	s_load_dwordx2 s[6:7], s[4:5], 0x40
	s_waitcnt lgkmcnt(0)
	v_mov_b32_e32 v1, s9
	v_add_co_u32_e32 v4, vcc, s8, v2
	v_addc_co_u32_e32 v5, vcc, v1, v3, vcc
	v_add_co_u32_e32 v1, vcc, 4, v4
	global_load_dword v31, v[4:5], off
	v_addc_co_u32_e32 v4, vcc, 0, v5, vcc
	v_mov_b32_e32 v5, s11
	v_add_co_u32_e32 v2, vcc, s10, v2
	s_cmp_eq_u64 s[10:11], 0
	v_addc_co_u32_e32 v3, vcc, v5, v3, vcc
	s_cselect_b64 vcc, -1, 0
	v_cndmask_b32_e32 v3, v3, v4, vcc
	v_cndmask_b32_e32 v2, v2, v1, vcc
	global_load_dword v1, v[2:3], off
	v_mov_b32_e32 v2, s15
	s_cmp_eq_u32 s1, 1
	s_waitcnt vmcnt(1)
	v_subrev_u32_e32 v0, s20, v31
	v_add_u32_e32 v18, v0, v17
	v_ashrrev_i32_e32 v19, 31, v18
	s_waitcnt vmcnt(0)
	v_subrev_u32_e32 v30, s20, v1
	v_lshlrev_b64 v[0:1], 4, v[18:19]
	v_add_co_u32_e32 v20, vcc, s14, v0
	v_addc_co_u32_e32 v21, vcc, v2, v1, vcc
	v_cmp_lt_i32_e64 s[0:1], v18, v30
	s_cbranch_scc1 .LBB77_25
; %bb.14:
	v_mov_b32_e32 v23, 0
	v_mov_b32_e32 v22, 0
	v_mov_b32_e32 v25, 0
	v_mov_b32_e32 v24, 0
	s_and_saveexec_b64 s[8:9], s[0:1]
	s_cbranch_execz .LBB77_24
; %bb.15:
	v_add_u32_e32 v0, v31, v17
	v_subrev_u32_e32 v0, s20, v0
	v_add_u32_e32 v0, 16, v0
	v_max_i32_e32 v0, v0, v30
	v_not_b32_e32 v1, v31
	v_add3_u32 v0, v0, s20, v1
	v_sub_u32_e32 v0, v0, v17
	v_lshrrev_b32_e32 v1, 4, v0
	v_add_u32_e32 v1, 1, v1
	v_and_b32_e32 v1, 3, v1
	v_mov_b32_e32 v24, 0
	v_cmp_ne_u32_e32 vcc, 0, v1
	v_mov_b32_e32 v25, v24
	v_mov_b32_e32 v22, v24
	v_mov_b32_e32 v23, v24
	v_mov_b32_e32 v26, v18
	v_pk_mov_b32 v[28:29], v[20:21], v[20:21] op_sel:[0,1]
	s_and_saveexec_b64 s[2:3], vcc
	s_cbranch_execz .LBB77_19
; %bb.16:
	v_mov_b32_e32 v23, 0
	v_lshlrev_b32_e32 v1, 4, v1
	s_mov_b64 s[10:11], 0
	v_mov_b32_e32 v2, s13
	v_mov_b32_e32 v3, s7
	v_pk_mov_b32 v[28:29], v[20:21], v[20:21] op_sel:[0,1]
	v_mov_b32_e32 v26, v18
	v_mov_b32_e32 v22, v23
	;; [unrolled: 1-line block ×4, first 2 shown]
.LBB77_17:                              ; =>This Inner Loop Header: Depth=1
	v_ashrrev_i32_e32 v27, 31, v26
	v_lshlrev_b64 v[4:5], 2, v[26:27]
	v_add_co_u32_e32 v8, vcc, s12, v4
	v_addc_co_u32_e32 v9, vcc, v2, v5, vcc
	global_load_dword v10, v[8:9], off
	global_load_dwordx4 v[4:7], v[28:29], off
	v_add_u32_e32 v1, -16, v1
	v_add_u32_e32 v26, 16, v26
	s_waitcnt vmcnt(1)
	v_subrev_u32_e32 v8, s20, v10
	v_lshlrev_b32_e32 v8, 2, v8
	v_ashrrev_i32_e32 v9, 31, v8
	v_add_co_u32_e32 v8, vcc, s6, v8
	v_addc_co_u32_e32 v9, vcc, v3, v9, vcc
	global_load_dword v19, v[8:9], off
	s_waitcnt vmcnt(1)
	v_bfe_i32 v8, v4, 0, 8
	v_lshrrev_b32_e32 v9, 8, v4
	v_lshrrev_b32_e32 v10, 16, v4
	;; [unrolled: 1-line block ×6, first 2 shown]
	v_bfe_i32 v11, v5, 0, 8
	v_lshrrev_b32_e32 v5, 24, v5
	v_bfe_i32 v14, v6, 0, 8
	v_lshrrev_b32_e32 v27, 16, v6
	v_lshrrev_b32_e32 v6, 24, v6
	v_bfe_i32 v35, v9, 0, 8
	v_bfe_i32 v36, v4, 0, 8
	;; [unrolled: 1-line block ×6, first 2 shown]
	v_lshrrev_b32_e32 v33, 8, v7
	v_lshrrev_b32_e32 v34, 16, v7
	;; [unrolled: 1-line block ×3, first 2 shown]
	v_bfe_i32 v13, v5, 0, 8
	v_bfe_i32 v27, v27, 0, 8
	;; [unrolled: 1-line block ×3, first 2 shown]
	v_cvt_f32_i32_sdwa v5, sext(v11) dst_sel:DWORD dst_unused:UNUSED_PAD src0_sel:WORD_0
	v_cvt_f32_i32_sdwa v6, sext(v14) dst_sel:DWORD dst_unused:UNUSED_PAD src0_sel:WORD_0
	;; [unrolled: 1-line block ×5, first 2 shown]
	v_bfe_i32 v15, v33, 0, 8
	v_bfe_i32 v33, v34, 0, 8
	;; [unrolled: 1-line block ×3, first 2 shown]
	v_cvt_f32_i32_sdwa v4, sext(v8) dst_sel:DWORD dst_unused:UNUSED_PAD src0_sel:WORD_0
	v_cvt_f32_i32_sdwa v7, sext(v32) dst_sel:DWORD dst_unused:UNUSED_PAD src0_sel:WORD_0
	;; [unrolled: 1-line block ×3, first 2 shown]
	v_bfe_i32 v10, v10, 0, 8
	v_cvt_f32_i32_sdwa v9, sext(v9) dst_sel:DWORD dst_unused:UNUSED_PAD src0_sel:WORD_0
	v_cvt_f32_i32_sdwa v8, sext(v35) dst_sel:DWORD dst_unused:UNUSED_PAD src0_sel:WORD_0
	;; [unrolled: 1-line block ×8, first 2 shown]
	v_add_co_u32_e32 v28, vcc, 0x100, v28
	v_addc_co_u32_e32 v29, vcc, 0, v29, vcc
	v_cmp_eq_u32_e32 vcc, 0, v1
	s_or_b64 s[10:11], vcc, s[10:11]
	s_waitcnt vmcnt(0)
	v_bfe_i32 v36, v19, 0, 8
	v_lshrrev_b32_e32 v37, 8, v19
	v_lshrrev_b32_e32 v27, 16, v19
	v_bfe_i32 v37, v37, 0, 8
	v_cvt_f32_i32_sdwa v36, sext(v36) dst_sel:DWORD dst_unused:UNUSED_PAD src0_sel:WORD_0
	v_lshrrev_b32_e32 v19, 24, v19
	v_bfe_i32 v27, v27, 0, 8
	v_cvt_f32_i32_sdwa v38, sext(v37) dst_sel:DWORD dst_unused:UNUSED_PAD src0_sel:WORD_0
	v_bfe_i32 v19, v19, 0, 8
	v_cvt_f32_i32_sdwa v40, sext(v27) dst_sel:DWORD dst_unused:UNUSED_PAD src0_sel:WORD_0
	v_cvt_f32_i32_sdwa v42, sext(v19) dst_sel:DWORD dst_unused:UNUSED_PAD src0_sel:WORD_0
	v_pk_fma_f32 v[4:5], v[4:5], v[36:37], v[24:25] op_sel_hi:[1,0,1]
	v_pk_fma_f32 v[6:7], v[6:7], v[36:37], v[22:23] op_sel_hi:[1,0,1]
	;; [unrolled: 1-line block ×8, first 2 shown]
	s_andn2_b64 exec, exec, s[10:11]
	s_cbranch_execnz .LBB77_17
; %bb.18:
	s_or_b64 exec, exec, s[10:11]
.LBB77_19:
	s_or_b64 exec, exec, s[2:3]
	v_cmp_lt_u32_e32 vcc, 47, v0
	s_and_saveexec_b64 s[10:11], vcc
	s_cbranch_execz .LBB77_23
; %bb.20:
	s_mov_b64 s[14:15], 0
	v_mov_b32_e32 v19, s13
	v_mov_b32_e32 v32, s7
.LBB77_21:                              ; =>This Inner Loop Header: Depth=1
	v_ashrrev_i32_e32 v27, 31, v26
	v_lshlrev_b64 v[34:35], 2, v[26:27]
	v_add_co_u32_e64 v34, s[2:3], s12, v34
	v_addc_co_u32_e64 v35, s[2:3], v19, v35, s[2:3]
	global_load_dwordx4 v[0:3], v[28:29], off
	global_load_dwordx4 v[8:11], v[28:29], off offset:256
	global_load_dwordx4 v[12:15], v[28:29], off offset:512
	;; [unrolled: 1-line block ×3, first 2 shown]
	global_load_dword v27, v[34:35], off
	v_add_co_u32_e32 v28, vcc, 0x400, v28
	v_add_u32_e32 v26, 64, v26
	v_addc_co_u32_e32 v29, vcc, 0, v29, vcc
	v_cmp_ge_i32_e32 vcc, v26, v30
	s_or_b64 s[14:15], vcc, s[14:15]
	s_waitcnt vmcnt(4)
	v_bfe_i32 v43, v2, 0, 8
	v_lshrrev_b32_e32 v44, 8, v2
	v_lshrrev_b32_e32 v45, 16, v2
	;; [unrolled: 1-line block ×3, first 2 shown]
	s_waitcnt vmcnt(0)
	v_subrev_u32_e32 v2, s20, v27
	v_lshlrev_b32_e32 v2, 2, v2
	v_bfe_i32 v47, v3, 0, 8
	v_lshrrev_b32_e32 v48, 8, v3
	v_lshrrev_b32_e32 v49, 16, v3
	;; [unrolled: 1-line block ×3, first 2 shown]
	v_ashrrev_i32_e32 v3, 31, v2
	v_add_co_u32_e32 v2, vcc, s6, v2
	v_addc_co_u32_e32 v3, vcc, v32, v3, vcc
	global_load_dword v27, v[2:3], off
	v_bfe_i32 v33, v0, 0, 8
	v_bfe_i32 v39, v1, 0, 8
	v_lshrrev_b32_e32 v36, 8, v0
	v_lshrrev_b32_e32 v37, 16, v0
	;; [unrolled: 1-line block ×6, first 2 shown]
	v_bfe_i32 v51, v8, 0, 8
	v_lshrrev_b32_e32 v52, 8, v8
	v_lshrrev_b32_e32 v53, 16, v8
	;; [unrolled: 1-line block ×3, first 2 shown]
	v_bfe_i32 v55, v9, 0, 8
	v_lshrrev_b32_e32 v56, 8, v9
	v_lshrrev_b32_e32 v57, 16, v9
	;; [unrolled: 1-line block ×3, first 2 shown]
	v_cvt_f32_i32_sdwa v0, sext(v33) dst_sel:DWORD dst_unused:UNUSED_PAD src0_sel:WORD_0
	v_cvt_f32_i32_sdwa v1, sext(v39) dst_sel:DWORD dst_unused:UNUSED_PAD src0_sel:WORD_0
	;; [unrolled: 1-line block ×4, first 2 shown]
	v_lshrrev_b32_e32 v33, 8, v11
	v_lshrrev_b32_e32 v39, 16, v11
	;; [unrolled: 1-line block ×3, first 2 shown]
	v_bfe_i32 v59, v10, 0, 8
	v_lshrrev_b32_e32 v61, 24, v7
	v_bfe_i32 v54, v54, 0, 8
	v_bfe_i32 v58, v58, 0, 8
	;; [unrolled: 1-line block ×4, first 2 shown]
	s_waitcnt vmcnt(0)
	v_bfe_i32 v2, v27, 0, 8
	v_cvt_f32_i32_sdwa v2, sext(v2) dst_sel:DWORD dst_unused:UNUSED_PAD src0_sel:WORD_0
	v_pk_fma_f32 v[0:1], v[0:1], v[2:3], v[24:25] op_sel_hi:[1,0,1]
	v_pk_fma_f32 v[2:3], v[8:9], v[2:3], v[22:23] op_sel_hi:[1,0,1]
	v_bfe_i32 v23, v11, 0, 8
	global_load_dword v11, v[34:35], off offset:64
	global_load_dword v47, v[34:35], off offset:128
	;; [unrolled: 1-line block ×3, first 2 shown]
	v_lshrrev_b32_e32 v24, 8, v10
	v_lshrrev_b32_e32 v25, 16, v10
	;; [unrolled: 1-line block ×4, first 2 shown]
	v_bfe_i32 v8, v36, 0, 8
	v_bfe_i32 v9, v40, 0, 8
	v_bfe_i32 v10, v10, 0, 8
	v_cvt_f32_i32_sdwa v9, sext(v9) dst_sel:DWORD dst_unused:UNUSED_PAD src0_sel:WORD_0
	v_cvt_f32_i32_sdwa v8, sext(v8) dst_sel:DWORD dst_unused:UNUSED_PAD src0_sel:WORD_0
	;; [unrolled: 1-line block ×3, first 2 shown]
	v_lshrrev_b32_e32 v36, 16, v12
	v_bfe_i32 v36, v36, 0, 8
	v_bfe_i32 v34, v12, 0, 8
	v_lshrrev_b32_e32 v35, 8, v12
	v_lshrrev_b32_e32 v12, 24, v12
	v_lshrrev_b32_e32 v40, 8, v13
	v_bfe_i32 v62, v12, 0, 8
	v_cvt_f32_i32_sdwa v12, sext(v54) dst_sel:DWORD dst_unused:UNUSED_PAD src0_sel:WORD_0
	v_bfe_i32 v22, v22, 0, 8
	v_bfe_i32 v35, v35, 0, 8
	v_bfe_i32 v40, v40, 0, 8
	s_waitcnt vmcnt(2)
	v_pk_fma_f32 v[0:1], v[8:9], v[10:11], v[0:1] op_sel_hi:[1,0,1]
	v_bfe_i32 v8, v44, 0, 8
	v_bfe_i32 v9, v48, 0, 8
	v_cvt_f32_i32_sdwa v9, sext(v9) dst_sel:DWORD dst_unused:UNUSED_PAD src0_sel:WORD_0
	v_cvt_f32_i32_sdwa v8, sext(v8) dst_sel:DWORD dst_unused:UNUSED_PAD src0_sel:WORD_0
	v_bfe_i32 v48, v4, 0, 8
	v_bfe_i32 v44, v14, 0, 8
	v_pk_fma_f32 v[2:3], v[8:9], v[10:11], v[2:3] op_sel_hi:[1,0,1]
	v_lshrrev_b32_e32 v10, 16, v27
	v_bfe_i32 v8, v37, 0, 8
	v_bfe_i32 v9, v41, 0, 8
	;; [unrolled: 1-line block ×3, first 2 shown]
	v_cvt_f32_i32_sdwa v9, sext(v9) dst_sel:DWORD dst_unused:UNUSED_PAD src0_sel:WORD_0
	v_cvt_f32_i32_sdwa v8, sext(v8) dst_sel:DWORD dst_unused:UNUSED_PAD src0_sel:WORD_0
	;; [unrolled: 1-line block ×3, first 2 shown]
	v_bfe_i32 v37, v13, 0, 8
	v_lshrrev_b32_e32 v41, 16, v13
	v_lshrrev_b32_e32 v13, 24, v13
	v_pk_fma_f32 v[0:1], v[8:9], v[10:11], v[0:1] op_sel_hi:[1,0,1]
	v_bfe_i32 v8, v45, 0, 8
	v_bfe_i32 v9, v49, 0, 8
	v_cvt_f32_i32_sdwa v9, sext(v9) dst_sel:DWORD dst_unused:UNUSED_PAD src0_sel:WORD_0
	v_cvt_f32_i32_sdwa v8, sext(v8) dst_sel:DWORD dst_unused:UNUSED_PAD src0_sel:WORD_0
	v_lshrrev_b32_e32 v49, 24, v4
	v_bfe_i32 v63, v13, 0, 8
	v_cvt_f32_i32_sdwa v13, sext(v58) dst_sel:DWORD dst_unused:UNUSED_PAD src0_sel:WORD_0
	v_pk_fma_f32 v[2:3], v[8:9], v[10:11], v[2:3] op_sel_hi:[1,0,1]
	v_lshrrev_b32_e32 v10, 24, v27
	v_bfe_i32 v8, v38, 0, 8
	v_bfe_i32 v9, v42, 0, 8
	;; [unrolled: 1-line block ×3, first 2 shown]
	v_cvt_f32_i32_sdwa v9, sext(v9) dst_sel:DWORD dst_unused:UNUSED_PAD src0_sel:WORD_0
	v_cvt_f32_i32_sdwa v8, sext(v8) dst_sel:DWORD dst_unused:UNUSED_PAD src0_sel:WORD_0
	;; [unrolled: 1-line block ×3, first 2 shown]
	v_bfe_i32 v42, v15, 0, 8
	v_lshrrev_b32_e32 v27, 8, v14
	v_bfe_i32 v27, v27, 0, 8
	v_pk_fma_f32 v[0:1], v[8:9], v[10:11], v[0:1] op_sel_hi:[1,0,1]
	v_bfe_i32 v8, v46, 0, 8
	v_bfe_i32 v9, v50, 0, 8
	v_cvt_f32_i32_sdwa v9, sext(v9) dst_sel:DWORD dst_unused:UNUSED_PAD src0_sel:WORD_0
	v_cvt_f32_i32_sdwa v8, sext(v8) dst_sel:DWORD dst_unused:UNUSED_PAD src0_sel:WORD_0
	v_bfe_i32 v50, v5, 0, 8
	v_lshrrev_b32_e32 v38, 16, v14
	v_lshrrev_b32_e32 v14, 24, v14
	v_pk_fma_f32 v[2:3], v[8:9], v[10:11], v[2:3] op_sel_hi:[1,0,1]
	v_subrev_u32_e32 v10, s20, v11
	v_lshlrev_b32_e32 v10, 2, v10
	v_ashrrev_i32_e32 v11, 31, v10
	v_add_co_u32_e32 v10, vcc, s6, v10
	v_addc_co_u32_e32 v11, vcc, v32, v11, vcc
	v_cvt_f32_i32_sdwa v9, sext(v55) dst_sel:DWORD dst_unused:UNUSED_PAD src0_sel:WORD_0
	global_load_dword v55, v[10:11], off
	v_cvt_f32_i32_sdwa v8, sext(v51) dst_sel:DWORD dst_unused:UNUSED_PAD src0_sel:WORD_0
	v_lshrrev_b32_e32 v51, 8, v5
	v_lshrrev_b32_e32 v45, 8, v15
	;; [unrolled: 1-line block ×4, first 2 shown]
	v_bfe_i32 v64, v14, 0, 8
	v_bfe_i32 v65, v15, 0, 8
	v_cvt_f32_i32_sdwa v15, sext(v43) dst_sel:DWORD dst_unused:UNUSED_PAD src0_sel:WORD_0
	v_cvt_f32_i32_sdwa v14, sext(v22) dst_sel:DWORD dst_unused:UNUSED_PAD src0_sel:WORD_0
	v_bfe_i32 v45, v45, 0, 8
	v_bfe_i32 v41, v41, 0, 8
	;; [unrolled: 1-line block ×4, first 2 shown]
	v_cvt_f32_i32_sdwa v22, sext(v35) dst_sel:DWORD dst_unused:UNUSED_PAD src0_sel:WORD_0
	v_cvt_f32_i32_sdwa v38, sext(v38) dst_sel:DWORD dst_unused:UNUSED_PAD src0_sel:WORD_0
	v_cvt_f32_i32_sdwa v35, sext(v63) dst_sel:DWORD dst_unused:UNUSED_PAD src0_sel:WORD_0
	v_bfe_i32 v49, v49, 0, 8
	s_waitcnt vmcnt(0)
	v_bfe_i32 v10, v55, 0, 8
	v_cvt_f32_i32_sdwa v10, sext(v10) dst_sel:DWORD dst_unused:UNUSED_PAD src0_sel:WORD_0
	v_pk_fma_f32 v[0:1], v[8:9], v[10:11], v[0:1] op_sel_hi:[1,0,1]
	v_cvt_f32_i32_sdwa v8, sext(v59) dst_sel:DWORD dst_unused:UNUSED_PAD src0_sel:WORD_0
	v_cvt_f32_i32_sdwa v9, sext(v23) dst_sel:DWORD dst_unused:UNUSED_PAD src0_sel:WORD_0
	v_lshrrev_b32_e32 v11, 8, v4
	v_lshrrev_b32_e32 v23, 16, v4
	v_bfe_i32 v4, v52, 0, 8
	v_pk_fma_f32 v[2:3], v[8:9], v[10:11], v[2:3] op_sel_hi:[1,0,1]
	v_bfe_i32 v8, v56, 0, 8
	v_cvt_f32_i32_sdwa v9, sext(v8) dst_sel:DWORD dst_unused:UNUSED_PAD src0_sel:WORD_0
	v_cvt_f32_i32_sdwa v8, sext(v4) dst_sel:DWORD dst_unused:UNUSED_PAD src0_sel:WORD_0
	v_lshrrev_b32_e32 v4, 8, v55
	v_bfe_i32 v4, v4, 0, 8
	v_cvt_f32_i32_sdwa v4, sext(v4) dst_sel:DWORD dst_unused:UNUSED_PAD src0_sel:WORD_0
	v_bfe_i32 v56, v7, 0, 8
	v_lshrrev_b32_e32 v59, 16, v7
	v_bfe_i32 v52, v6, 0, 8
	v_pk_fma_f32 v[0:1], v[8:9], v[4:5], v[0:1] op_sel_hi:[1,0,1]
	v_bfe_i32 v8, v24, 0, 8
	v_bfe_i32 v9, v33, 0, 8
	v_cvt_f32_i32_sdwa v9, sext(v9) dst_sel:DWORD dst_unused:UNUSED_PAD src0_sel:WORD_0
	v_cvt_f32_i32_sdwa v8, sext(v8) dst_sel:DWORD dst_unused:UNUSED_PAD src0_sel:WORD_0
	v_lshrrev_b32_e32 v24, 16, v5
	v_lshrrev_b32_e32 v33, 24, v5
	v_bfe_i32 v33, v33, 0, 8
	v_pk_fma_f32 v[2:3], v[8:9], v[4:5], v[2:3] op_sel_hi:[1,0,1]
	v_lshrrev_b32_e32 v8, 16, v55
	v_bfe_i32 v4, v53, 0, 8
	v_bfe_i32 v5, v57, 0, 8
	;; [unrolled: 1-line block ×3, first 2 shown]
	v_cvt_f32_i32_sdwa v5, sext(v5) dst_sel:DWORD dst_unused:UNUSED_PAD src0_sel:WORD_0
	v_cvt_f32_i32_sdwa v4, sext(v4) dst_sel:DWORD dst_unused:UNUSED_PAD src0_sel:WORD_0
	;; [unrolled: 1-line block ×3, first 2 shown]
	v_lshrrev_b32_e32 v57, 8, v7
	v_cvt_f32_i32_sdwa v7, sext(v42) dst_sel:DWORD dst_unused:UNUSED_PAD src0_sel:WORD_0
	v_bfe_i32 v42, v11, 0, 8
	v_pk_fma_f32 v[0:1], v[4:5], v[8:9], v[0:1] op_sel_hi:[1,0,1]
	v_bfe_i32 v4, v25, 0, 8
	v_bfe_i32 v5, v39, 0, 8
	v_cvt_f32_i32_sdwa v5, sext(v5) dst_sel:DWORD dst_unused:UNUSED_PAD src0_sel:WORD_0
	v_cvt_f32_i32_sdwa v4, sext(v4) dst_sel:DWORD dst_unused:UNUSED_PAD src0_sel:WORD_0
	v_lshrrev_b32_e32 v53, 8, v6
	v_lshrrev_b32_e32 v25, 16, v6
	;; [unrolled: 1-line block ×3, first 2 shown]
	v_pk_fma_f32 v[2:3], v[4:5], v[8:9], v[2:3] op_sel_hi:[1,0,1]
	v_subrev_u32_e32 v8, s20, v47
	v_subrev_u32_e32 v9, s20, v60
	v_lshlrev_b32_e32 v8, 2, v8
	v_lshlrev_b32_e32 v10, 2, v9
	v_ashrrev_i32_e32 v9, 31, v8
	v_add_co_u32_e32 v8, vcc, s6, v8
	v_addc_co_u32_e32 v9, vcc, v32, v9, vcc
	v_ashrrev_i32_e32 v11, 31, v10
	v_add_co_u32_e32 v10, vcc, s6, v10
	v_addc_co_u32_e32 v11, vcc, v32, v11, vcc
	global_load_dword v60, v[8:9], off
	global_load_dword v66, v[10:11], off
	v_bfe_i32 v47, v51, 0, 8
	v_bfe_i32 v51, v24, 0, 8
	v_cvt_f32_i32_sdwa v24, sext(v36) dst_sel:DWORD dst_unused:UNUSED_PAD src0_sel:WORD_0
	v_cvt_f32_i32_sdwa v36, sext(v27) dst_sel:DWORD dst_unused:UNUSED_PAD src0_sel:WORD_0
	v_lshrrev_b32_e32 v27, 24, v55
	v_bfe_i32 v27, v27, 0, 8
	v_cvt_f32_i32_sdwa v54, sext(v27) dst_sel:DWORD dst_unused:UNUSED_PAD src0_sel:WORD_0
	v_cvt_f32_i32_sdwa v4, sext(v34) dst_sel:DWORD dst_unused:UNUSED_PAD src0_sel:WORD_0
	;; [unrolled: 1-line block ×7, first 2 shown]
	v_bfe_i32 v44, v23, 0, 8
	v_cvt_f32_i32_sdwa v23, sext(v40) dst_sel:DWORD dst_unused:UNUSED_PAD src0_sel:WORD_0
	v_cvt_f32_i32_sdwa v37, sext(v45) dst_sel:DWORD dst_unused:UNUSED_PAD src0_sel:WORD_0
	v_bfe_i32 v67, v25, 0, 8
	v_bfe_i32 v68, v39, 0, 8
	v_cvt_f32_i32_sdwa v25, sext(v41) dst_sel:DWORD dst_unused:UNUSED_PAD src0_sel:WORD_0
	v_cvt_f32_i32_sdwa v39, sext(v46) dst_sel:DWORD dst_unused:UNUSED_PAD src0_sel:WORD_0
	;; [unrolled: 1-line block ×5, first 2 shown]
	v_bfe_i32 v53, v53, 0, 8
	v_bfe_i32 v57, v57, 0, 8
	v_cvt_f32_i32_sdwa v8, sext(v48) dst_sel:DWORD dst_unused:UNUSED_PAD src0_sel:WORD_0
	v_cvt_f32_i32_sdwa v9, sext(v50) dst_sel:DWORD dst_unused:UNUSED_PAD src0_sel:WORD_0
	;; [unrolled: 1-line block ×3, first 2 shown]
	v_bfe_i32 v59, v59, 0, 8
	v_cvt_f32_i32_sdwa v42, sext(v42) dst_sel:DWORD dst_unused:UNUSED_PAD src0_sel:WORD_0
	v_cvt_f32_i32_sdwa v46, sext(v49) dst_sel:DWORD dst_unused:UNUSED_PAD src0_sel:WORD_0
	;; [unrolled: 1-line block ×10, first 2 shown]
	s_waitcnt vmcnt(1)
	v_bfe_i32 v55, v60, 0, 8
	v_pk_fma_f32 v[0:1], v[12:13], v[54:55], v[0:1] op_sel_hi:[1,0,1]
	v_lshrrev_b32_e32 v12, 8, v60
	v_bfe_i32 v56, v12, 0, 8
	v_cvt_f32_i32_sdwa v12, sext(v55) dst_sel:DWORD dst_unused:UNUSED_PAD src0_sel:WORD_0
	v_lshrrev_b32_e32 v13, 24, v60
	v_lshrrev_b32_e32 v33, 16, v60
	v_bfe_i32 v13, v13, 0, 8
	v_pk_fma_f32 v[2:3], v[14:15], v[54:55], v[2:3] op_sel_hi:[1,0,1]
	s_waitcnt vmcnt(0)
	v_lshrrev_b32_e32 v54, 24, v66
	v_bfe_i32 v33, v33, 0, 8
	v_pk_fma_f32 v[0:1], v[4:5], v[12:13], v[0:1] op_sel_hi:[1,0,1]
	v_cvt_f32_i32_sdwa v4, sext(v56) dst_sel:DWORD dst_unused:UNUSED_PAD src0_sel:WORD_0
	v_bfe_i32 v55, v54, 0, 8
	v_cvt_f32_i32_sdwa v54, sext(v33) dst_sel:DWORD dst_unused:UNUSED_PAD src0_sel:WORD_0
	v_bfe_i32 v14, v66, 0, 8
	v_lshrrev_b32_e32 v15, 8, v66
	v_pk_fma_f32 v[2:3], v[6:7], v[12:13], v[2:3] op_sel_hi:[1,0,1]
	v_cvt_f32_i32_sdwa v6, sext(v13) dst_sel:DWORD dst_unused:UNUSED_PAD src0_sel:WORD_0
	v_lshrrev_b32_e32 v27, 16, v66
	v_bfe_i32 v15, v15, 0, 8
	v_cvt_f32_i32_sdwa v14, sext(v14) dst_sel:DWORD dst_unused:UNUSED_PAD src0_sel:WORD_0
	v_bfe_i32 v27, v27, 0, 8
	v_cvt_f32_i32_sdwa v12, sext(v15) dst_sel:DWORD dst_unused:UNUSED_PAD src0_sel:WORD_0
	v_pk_fma_f32 v[0:1], v[22:23], v[4:5], v[0:1] op_sel_hi:[1,0,1]
	v_pk_fma_f32 v[2:3], v[36:37], v[4:5], v[2:3] op_sel_hi:[1,0,1]
	v_cvt_f32_i32_sdwa v56, sext(v27) dst_sel:DWORD dst_unused:UNUSED_PAD src0_sel:WORD_0
	v_pk_fma_f32 v[0:1], v[24:25], v[54:55], v[0:1] op_sel_hi:[1,0,1]
	v_pk_fma_f32 v[2:3], v[38:39], v[54:55], v[2:3] op_sel_hi:[1,0,1]
	;; [unrolled: 3-line block ×3, first 2 shown]
	v_pk_fma_f32 v[0:1], v[8:9], v[14:15], v[0:1] op_sel_hi:[1,0,1]
	v_pk_fma_f32 v[2:3], v[10:11], v[14:15], v[2:3] op_sel_hi:[1,0,1]
	;; [unrolled: 1-line block ×8, first 2 shown]
	s_andn2_b64 exec, exec, s[14:15]
	s_cbranch_execnz .LBB77_21
; %bb.22:
	s_or_b64 exec, exec, s[14:15]
.LBB77_23:
	s_or_b64 exec, exec, s[10:11]
.LBB77_24:
	s_or_b64 exec, exec, s[8:9]
	s_cbranch_execz .LBB77_26
	s_branch .LBB77_37
.LBB77_25:
                                        ; implicit-def: $vgpr23
                                        ; implicit-def: $vgpr25
.LBB77_26:
	v_mov_b32_e32 v23, 0
	v_mov_b32_e32 v22, 0
	;; [unrolled: 1-line block ×4, first 2 shown]
	s_and_saveexec_b64 s[2:3], s[0:1]
	s_cbranch_execz .LBB77_36
; %bb.27:
	v_add_u32_e32 v0, v31, v17
	v_subrev_u32_e32 v0, s20, v0
	v_add_u32_e32 v0, 16, v0
	v_max_i32_e32 v0, v0, v30
	v_not_b32_e32 v1, v31
	v_add3_u32 v0, v0, s20, v1
	v_sub_u32_e32 v0, v0, v17
	v_lshrrev_b32_e32 v1, 4, v0
	v_add_u32_e32 v1, 1, v1
	v_and_b32_e32 v1, 3, v1
	v_mov_b32_e32 v24, 0
	v_cmp_ne_u32_e32 vcc, 0, v1
	v_mov_b32_e32 v25, v24
	v_mov_b32_e32 v22, v24
	v_mov_b32_e32 v23, v24
	s_and_saveexec_b64 s[0:1], vcc
	s_cbranch_execz .LBB77_31
; %bb.28:
	v_mov_b32_e32 v23, 0
	v_lshlrev_b32_e32 v1, 4, v1
	s_mov_b64 s[8:9], 0
	v_mov_b32_e32 v2, s13
	v_mov_b32_e32 v3, s7
	;; [unrolled: 1-line block ×5, first 2 shown]
.LBB77_29:                              ; =>This Inner Loop Header: Depth=1
	v_ashrrev_i32_e32 v19, 31, v18
	v_lshlrev_b64 v[4:5], 2, v[18:19]
	v_add_co_u32_e32 v8, vcc, s12, v4
	v_addc_co_u32_e32 v9, vcc, v2, v5, vcc
	global_load_dword v10, v[8:9], off
	global_load_dwordx4 v[4:7], v[20:21], off
	v_add_u32_e32 v1, -16, v1
	v_add_u32_e32 v18, 16, v18
	s_waitcnt vmcnt(1)
	v_subrev_u32_e32 v8, s20, v10
	v_lshlrev_b32_e32 v8, 2, v8
	v_ashrrev_i32_e32 v9, 31, v8
	v_add_co_u32_e32 v8, vcc, s6, v8
	v_addc_co_u32_e32 v9, vcc, v3, v9, vcc
	global_load_dword v19, v[8:9], off
	s_waitcnt vmcnt(1)
	v_bfe_i32 v8, v4, 0, 8
	v_lshrrev_b32_e32 v9, 8, v4
	v_lshrrev_b32_e32 v10, 16, v4
	;; [unrolled: 1-line block ×8, first 2 shown]
	v_bfe_i32 v15, v7, 0, 8
	v_lshrrev_b32_e32 v27, 8, v5
	v_bfe_i32 v28, v5, 0, 8
	v_lshrrev_b32_e32 v5, 24, v5
	v_bfe_i32 v9, v9, 0, 8
	v_bfe_i32 v32, v4, 0, 8
	;; [unrolled: 1-line block ×8, first 2 shown]
	v_lshrrev_b32_e32 v6, 24, v6
	v_lshrrev_b32_e32 v7, 24, v7
	v_bfe_i32 v31, v10, 0, 8
	v_cvt_f32_i32_sdwa v10, sext(v15) dst_sel:DWORD dst_unused:UNUSED_PAD src0_sel:WORD_0
	v_bfe_i32 v15, v5, 0, 8
	v_cvt_f32_i32_sdwa v5, sext(v9) dst_sel:DWORD dst_unused:UNUSED_PAD src0_sel:WORD_0
	v_cvt_f32_i32_sdwa v13, sext(v32) dst_sel:DWORD dst_unused:UNUSED_PAD src0_sel:WORD_0
	;; [unrolled: 1-line block ×6, first 2 shown]
	v_bfe_i32 v34, v6, 0, 8
	v_bfe_i32 v36, v7, 0, 8
	v_cvt_f32_i32_sdwa v4, sext(v8) dst_sel:DWORD dst_unused:UNUSED_PAD src0_sel:WORD_0
	v_bfe_i32 v7, v27, 0, 8
	v_cvt_f32_i32_sdwa v8, sext(v12) dst_sel:DWORD dst_unused:UNUSED_PAD src0_sel:WORD_0
	v_cvt_f32_i32_sdwa v12, sext(v31) dst_sel:DWORD dst_unused:UNUSED_PAD src0_sel:WORD_0
	;; [unrolled: 1-line block ×8, first 2 shown]
	v_add_co_u32_e32 v20, vcc, 0x100, v20
	v_addc_co_u32_e32 v21, vcc, 0, v21, vcc
	v_cmp_eq_u32_e32 vcc, 0, v1
	s_or_b64 s[8:9], vcc, s[8:9]
	s_waitcnt vmcnt(0)
	v_bfe_i32 v32, v19, 0, 8
	v_lshrrev_b32_e32 v33, 8, v19
	v_lshrrev_b32_e32 v31, 16, v19
	v_bfe_i32 v33, v33, 0, 8
	v_cvt_f32_i32_sdwa v32, sext(v32) dst_sel:DWORD dst_unused:UNUSED_PAD src0_sel:WORD_0
	v_lshrrev_b32_e32 v19, 24, v19
	v_bfe_i32 v31, v31, 0, 8
	v_cvt_f32_i32_sdwa v34, sext(v33) dst_sel:DWORD dst_unused:UNUSED_PAD src0_sel:WORD_0
	v_bfe_i32 v19, v19, 0, 8
	v_cvt_f32_i32_sdwa v36, sext(v31) dst_sel:DWORD dst_unused:UNUSED_PAD src0_sel:WORD_0
	v_cvt_f32_i32_sdwa v38, sext(v19) dst_sel:DWORD dst_unused:UNUSED_PAD src0_sel:WORD_0
	v_pk_fma_f32 v[4:5], v[4:5], v[32:33], v[24:25] op_sel_hi:[1,0,1]
	v_pk_fma_f32 v[12:13], v[12:13], v[32:33], v[22:23] op_sel_hi:[1,0,1]
	;; [unrolled: 1-line block ×8, first 2 shown]
	s_andn2_b64 exec, exec, s[8:9]
	s_cbranch_execnz .LBB77_29
; %bb.30:
	s_or_b64 exec, exec, s[8:9]
.LBB77_31:
	s_or_b64 exec, exec, s[0:1]
	v_cmp_lt_u32_e32 vcc, 47, v0
	s_and_saveexec_b64 s[0:1], vcc
	s_cbranch_execz .LBB77_35
; %bb.32:
	s_mov_b64 s[8:9], 0
	v_mov_b32_e32 v4, s13
	v_mov_b32_e32 v5, s7
.LBB77_33:                              ; =>This Inner Loop Header: Depth=1
	v_ashrrev_i32_e32 v19, 31, v18
	v_lshlrev_b64 v[14:15], 2, v[18:19]
	global_load_dwordx4 v[0:3], v[20:21], off
	global_load_dwordx4 v[6:9], v[20:21], off offset:256
	v_add_co_u32_e32 v14, vcc, s12, v14
	v_addc_co_u32_e32 v15, vcc, v4, v15, vcc
	global_load_dwordx4 v[10:13], v[20:21], off offset:512
	global_load_dwordx4 v[26:29], v[20:21], off offset:768
	global_load_dword v19, v[14:15], off
	global_load_dword v31, v[14:15], off offset:64
	global_load_dword v32, v[14:15], off offset:128
	;; [unrolled: 1-line block ×3, first 2 shown]
	v_add_u32_e32 v18, 64, v18
	s_waitcnt vmcnt(7)
	v_lshrrev_b32_e32 v36, 8, v2
	v_bfe_i32 v37, v2, 0, 8
	v_lshrrev_b32_e32 v38, 16, v2
	v_lshrrev_b32_e32 v39, 24, v2
	s_waitcnt vmcnt(3)
	v_subrev_u32_e32 v2, s20, v19
	v_lshrrev_b32_e32 v40, 8, v3
	v_bfe_i32 v41, v3, 0, 8
	v_lshrrev_b32_e32 v42, 16, v3
	v_lshrrev_b32_e32 v43, 24, v3
	s_waitcnt vmcnt(2)
	v_subrev_u32_e32 v3, s20, v31
	v_lshlrev_b32_e32 v2, 2, v2
	v_lshrrev_b32_e32 v52, 8, v8
	v_bfe_i32 v53, v8, 0, 8
	v_lshrrev_b32_e32 v54, 16, v8
	v_lshrrev_b32_e32 v55, 24, v8
	v_lshlrev_b32_e32 v8, 2, v3
	v_ashrrev_i32_e32 v3, 31, v2
	v_add_co_u32_e32 v2, vcc, s6, v2
	v_addc_co_u32_e32 v3, vcc, v5, v3, vcc
	global_load_dword v31, v[2:3], off
	v_bfe_i32 v14, v0, 0, 8
	v_bfe_i32 v48, v6, 0, 8
	v_lshrrev_b32_e32 v49, 8, v6
	v_lshrrev_b32_e32 v50, 16, v6
	;; [unrolled: 1-line block ×4, first 2 shown]
	v_bfe_i32 v61, v7, 0, 8
	v_lshrrev_b32_e32 v62, 16, v7
	v_lshrrev_b32_e32 v63, 24, v7
	s_waitcnt vmcnt(2)
	v_subrev_u32_e32 v6, s20, v32
	s_waitcnt vmcnt(1)
	v_subrev_u32_e32 v7, s20, v33
	v_lshrrev_b32_e32 v15, 8, v0
	v_lshrrev_b32_e32 v34, 16, v0
	;; [unrolled: 1-line block ×4, first 2 shown]
	v_bfe_i32 v57, v9, 0, 8
	v_lshrrev_b32_e32 v58, 16, v9
	v_lshrrev_b32_e32 v59, 24, v9
	v_cvt_f32_i32_sdwa v0, sext(v14) dst_sel:DWORD dst_unused:UNUSED_PAD src0_sel:WORD_0
	v_lshlrev_b32_e32 v9, 2, v6
	v_lshlrev_b32_e32 v14, 2, v7
	v_ashrrev_i32_e32 v7, 31, v8
	v_add_co_u32_e32 v6, vcc, s6, v8
	v_addc_co_u32_e32 v7, vcc, v5, v7, vcc
	global_load_dword v64, v[6:7], off
	v_lshrrev_b32_e32 v44, 8, v1
	v_bfe_i32 v45, v1, 0, 8
	v_lshrrev_b32_e32 v46, 16, v1
	v_lshrrev_b32_e32 v47, 24, v1
	v_bfe_i32 v1, v15, 0, 8
	v_ashrrev_i32_e32 v15, 31, v9
	v_add_co_u32_e32 v8, vcc, s6, v9
	v_addc_co_u32_e32 v9, vcc, v5, v15, vcc
	v_ashrrev_i32_e32 v19, 31, v14
	v_add_co_u32_e32 v14, vcc, s6, v14
	v_addc_co_u32_e32 v15, vcc, v5, v19, vcc
	global_load_dword v65, v[8:9], off
	global_load_dword v66, v[14:15], off
	v_cvt_f32_i32_sdwa v1, sext(v1) dst_sel:DWORD dst_unused:UNUSED_PAD src0_sel:WORD_0
	v_bfe_i32 v7, v35, 0, 8
	v_cvt_f32_i32_sdwa v7, sext(v7) dst_sel:DWORD dst_unused:UNUSED_PAD src0_sel:WORD_0
	v_lshrrev_b32_e32 v9, 24, v10
	v_bfe_i32 v19, v10, 0, 8
	v_lshrrev_b32_e32 v14, 8, v12
	v_lshrrev_b32_e32 v15, 16, v12
	;; [unrolled: 1-line block ×5, first 2 shown]
	v_cvt_f32_i32_sdwa v10, sext(v57) dst_sel:DWORD dst_unused:UNUSED_PAD src0_sel:WORD_0
	v_bfe_i32 v35, v13, 0, 8
	v_bfe_i32 v67, v28, 0, 8
	;; [unrolled: 1-line block ×4, first 2 shown]
	v_add_co_u32_e32 v20, vcc, 0x400, v20
	v_addc_co_u32_e32 v21, vcc, 0, v21, vcc
	v_cmp_ge_i32_e32 vcc, v18, v30
	s_or_b64 s[8:9], vcc, s[8:9]
	s_waitcnt vmcnt(3)
	v_bfe_i32 v2, v31, 0, 8
	v_cvt_f32_i32_sdwa v2, sext(v2) dst_sel:DWORD dst_unused:UNUSED_PAD src0_sel:WORD_0
	v_lshrrev_b32_e32 v8, 8, v31
	v_bfe_i32 v8, v8, 0, 8
	v_cvt_f32_i32_sdwa v8, sext(v8) dst_sel:DWORD dst_unused:UNUSED_PAD src0_sel:WORD_0
	v_pk_fma_f32 v[0:1], v[0:1], v[2:3], v[24:25] op_sel_hi:[1,0,1]
	v_bfe_i32 v3, v34, 0, 8
	v_cvt_f32_i32_sdwa v6, sext(v3) dst_sel:DWORD dst_unused:UNUSED_PAD src0_sel:WORD_0
	v_bfe_i32 v34, v12, 0, 8
	v_lshrrev_b32_e32 v12, 24, v12
	v_lshrrev_b32_e32 v24, 8, v11
	v_pk_fma_f32 v[2:3], v[6:7], v[2:3], v[22:23] op_sel_hi:[1,0,1]
	v_bfe_i32 v7, v44, 0, 8
	v_cvt_f32_i32_sdwa v6, sext(v45) dst_sel:DWORD dst_unused:UNUSED_PAD src0_sel:WORD_0
	v_cvt_f32_i32_sdwa v7, sext(v7) dst_sel:DWORD dst_unused:UNUSED_PAD src0_sel:WORD_0
	v_bfe_i32 v44, v11, 0, 8
	v_lshrrev_b32_e32 v45, 16, v11
	v_bfe_i32 v57, v12, 0, 8
	v_pk_fma_f32 v[0:1], v[6:7], v[8:9], v[0:1] op_sel_hi:[1,0,1]
	v_bfe_i32 v6, v46, 0, 8
	v_bfe_i32 v7, v47, 0, 8
	v_cvt_f32_i32_sdwa v7, sext(v7) dst_sel:DWORD dst_unused:UNUSED_PAD src0_sel:WORD_0
	v_cvt_f32_i32_sdwa v6, sext(v6) dst_sel:DWORD dst_unused:UNUSED_PAD src0_sel:WORD_0
	v_lshrrev_b32_e32 v46, 24, v11
	v_bfe_i32 v11, v52, 0, 8
	v_bfe_i32 v52, v62, 0, 8
	v_pk_fma_f32 v[2:3], v[6:7], v[8:9], v[2:3] op_sel_hi:[1,0,1]
	v_lshrrev_b32_e32 v8, 16, v31
	v_bfe_i32 v7, v36, 0, 8
	v_bfe_i32 v8, v8, 0, 8
	v_cvt_f32_i32_sdwa v6, sext(v37) dst_sel:DWORD dst_unused:UNUSED_PAD src0_sel:WORD_0
	v_cvt_f32_i32_sdwa v7, sext(v7) dst_sel:DWORD dst_unused:UNUSED_PAD src0_sel:WORD_0
	;; [unrolled: 1-line block ×4, first 2 shown]
	v_bfe_i32 v19, v24, 0, 8
	v_bfe_i32 v36, v26, 0, 8
	v_pk_fma_f32 v[0:1], v[6:7], v[8:9], v[0:1] op_sel_hi:[1,0,1]
	v_bfe_i32 v6, v38, 0, 8
	v_bfe_i32 v7, v39, 0, 8
	v_cvt_f32_i32_sdwa v7, sext(v7) dst_sel:DWORD dst_unused:UNUSED_PAD src0_sel:WORD_0
	v_cvt_f32_i32_sdwa v6, sext(v6) dst_sel:DWORD dst_unused:UNUSED_PAD src0_sel:WORD_0
	v_lshrrev_b32_e32 v39, 24, v26
	v_lshrrev_b32_e32 v37, 8, v26
	;; [unrolled: 1-line block ×3, first 2 shown]
	v_pk_fma_f32 v[2:3], v[6:7], v[8:9], v[2:3] op_sel_hi:[1,0,1]
	v_lshrrev_b32_e32 v8, 24, v31
	v_bfe_i32 v7, v40, 0, 8
	v_bfe_i32 v8, v8, 0, 8
	v_cvt_f32_i32_sdwa v6, sext(v41) dst_sel:DWORD dst_unused:UNUSED_PAD src0_sel:WORD_0
	v_cvt_f32_i32_sdwa v7, sext(v7) dst_sel:DWORD dst_unused:UNUSED_PAD src0_sel:WORD_0
	;; [unrolled: 1-line block ×3, first 2 shown]
	v_lshrrev_b32_e32 v47, 24, v29
	v_bfe_i32 v25, v54, 0, 8
	v_bfe_i32 v26, v55, 0, 8
	v_pk_fma_f32 v[0:1], v[6:7], v[8:9], v[0:1] op_sel_hi:[1,0,1]
	v_bfe_i32 v6, v42, 0, 8
	v_bfe_i32 v7, v43, 0, 8
	v_cvt_f32_i32_sdwa v7, sext(v7) dst_sel:DWORD dst_unused:UNUSED_PAD src0_sel:WORD_0
	v_cvt_f32_i32_sdwa v6, sext(v6) dst_sel:DWORD dst_unused:UNUSED_PAD src0_sel:WORD_0
	v_lshrrev_b32_e32 v42, 8, v29
	v_bfe_i32 v54, v9, 0, 8
	v_bfe_i32 v55, v14, 0, 8
	v_pk_fma_f32 v[2:3], v[6:7], v[8:9], v[2:3] op_sel_hi:[1,0,1]
	v_bfe_i32 v7, v49, 0, 8
	s_waitcnt vmcnt(2)
	v_bfe_i32 v8, v64, 0, 8
	v_cvt_f32_i32_sdwa v6, sext(v48) dst_sel:DWORD dst_unused:UNUSED_PAD src0_sel:WORD_0
	v_cvt_f32_i32_sdwa v7, sext(v7) dst_sel:DWORD dst_unused:UNUSED_PAD src0_sel:WORD_0
	;; [unrolled: 1-line block ×3, first 2 shown]
	v_lshrrev_b32_e32 v48, 8, v27
	v_cvt_f32_i32_sdwa v14, sext(v52) dst_sel:DWORD dst_unused:UNUSED_PAD src0_sel:WORD_0
	v_bfe_i32 v52, v39, 0, 8
	v_pk_fma_f32 v[0:1], v[6:7], v[8:9], v[0:1] op_sel_hi:[1,0,1]
	v_bfe_i32 v6, v50, 0, 8
	v_bfe_i32 v7, v51, 0, 8
	v_cvt_f32_i32_sdwa v6, sext(v6) dst_sel:DWORD dst_unused:UNUSED_PAD src0_sel:WORD_0
	v_cvt_f32_i32_sdwa v7, sext(v7) dst_sel:DWORD dst_unused:UNUSED_PAD src0_sel:WORD_0
	v_bfe_i32 v50, v27, 0, 8
	v_lshrrev_b32_e32 v51, 16, v27
	v_bfe_i32 v27, v56, 0, 8
	v_pk_fma_f32 v[2:3], v[6:7], v[8:9], v[2:3] op_sel_hi:[1,0,1]
	v_cvt_f32_i32_sdwa v8, sext(v53) dst_sel:DWORD dst_unused:UNUSED_PAD src0_sel:WORD_0
	v_bfe_i32 v53, v63, 0, 8
	v_cvt_f32_i32_sdwa v9, sext(v11) dst_sel:DWORD dst_unused:UNUSED_PAD src0_sel:WORD_0
	v_cvt_f32_i32_sdwa v11, sext(v27) dst_sel:DWORD dst_unused:UNUSED_PAD src0_sel:WORD_0
	;; [unrolled: 1-line block ×3, first 2 shown]
	v_bfe_i32 v19, v45, 0, 8
	v_bfe_i32 v56, v15, 0, 8
	v_cvt_f32_i32_sdwa v15, sext(v53) dst_sel:DWORD dst_unused:UNUSED_PAD src0_sel:WORD_0
	v_bfe_i32 v45, v38, 0, 8
	v_bfe_i32 v53, v42, 0, 8
	;; [unrolled: 1-line block ×3, first 2 shown]
	v_cvt_f32_i32_sdwa v38, sext(v19) dst_sel:DWORD dst_unused:UNUSED_PAD src0_sel:WORD_0
	v_cvt_f32_i32_sdwa v47, sext(v52) dst_sel:DWORD dst_unused:UNUSED_PAD src0_sel:WORD_0
	v_bfe_i32 v19, v51, 0, 8
	v_bfe_i32 v52, v68, 0, 8
	v_lshrrev_b32_e32 v22, 8, v13
	v_cvt_f32_i32_sdwa v51, sext(v53) dst_sel:DWORD dst_unused:UNUSED_PAD src0_sel:WORD_0
	v_cvt_f32_i32_sdwa v53, sext(v52) dst_sel:DWORD dst_unused:UNUSED_PAD src0_sel:WORD_0
	;; [unrolled: 1-line block ×3, first 2 shown]
	v_lshrrev_b32_e32 v19, 8, v64
	v_lshrrev_b32_e32 v23, 16, v13
	;; [unrolled: 1-line block ×6, first 2 shown]
	v_bfe_i32 v28, v58, 0, 8
	v_bfe_i32 v7, v60, 0, 8
	;; [unrolled: 1-line block ×4, first 2 shown]
	v_cvt_f32_i32_sdwa v6, sext(v61) dst_sel:DWORD dst_unused:UNUSED_PAD src0_sel:WORD_0
	v_cvt_f32_i32_sdwa v7, sext(v7) dst_sel:DWORD dst_unused:UNUSED_PAD src0_sel:WORD_0
	v_bfe_i32 v60, v13, 0, 8
	v_cvt_f32_i32_sdwa v13, sext(v32) dst_sel:DWORD dst_unused:UNUSED_PAD src0_sel:WORD_0
	v_cvt_f32_i32_sdwa v32, sext(v34) dst_sel:DWORD dst_unused:UNUSED_PAD src0_sel:WORD_0
	;; [unrolled: 1-line block ×5, first 2 shown]
	v_bfe_i32 v49, v29, 0, 8
	v_lshrrev_b32_e32 v43, 16, v29
	v_bfe_i32 v29, v59, 0, 8
	v_bfe_i32 v59, v23, 0, 8
	v_pk_fma_f32 v[0:1], v[6:7], v[58:59], v[0:1] op_sel_hi:[1,0,1]
	v_lshrrev_b32_e32 v6, 16, v64
	v_bfe_i32 v6, v6, 0, 8
	v_cvt_f32_i32_sdwa v6, sext(v6) dst_sel:DWORD dst_unused:UNUSED_PAD src0_sel:WORD_0
	v_cvt_f32_i32_sdwa v23, sext(v26) dst_sel:DWORD dst_unused:UNUSED_PAD src0_sel:WORD_0
	;; [unrolled: 1-line block ×3, first 2 shown]
	v_lshrrev_b32_e32 v7, 24, v64
	v_pk_fma_f32 v[2:3], v[14:15], v[58:59], v[2:3] op_sel_hi:[1,0,1]
	s_waitcnt vmcnt(1)
	v_bfe_i32 v14, v65, 0, 8
	v_pk_fma_f32 v[0:1], v[8:9], v[6:7], v[0:1] op_sel_hi:[1,0,1]
	v_bfe_i32 v7, v7, 0, 8
	v_pk_fma_f32 v[2:3], v[22:23], v[6:7], v[2:3] op_sel_hi:[1,0,1]
	v_cvt_f32_i32_sdwa v6, sext(v14) dst_sel:DWORD dst_unused:UNUSED_PAD src0_sel:WORD_0
	v_cvt_f32_i32_sdwa v14, sext(v7) dst_sel:DWORD dst_unused:UNUSED_PAD src0_sel:WORD_0
	;; [unrolled: 1-line block ×4, first 2 shown]
	v_lshrrev_b32_e32 v15, 8, v65
	v_cvt_f32_i32_sdwa v26, sext(v44) dst_sel:DWORD dst_unused:UNUSED_PAD src0_sel:WORD_0
	v_cvt_f32_i32_sdwa v28, sext(v33) dst_sel:DWORD dst_unused:UNUSED_PAD src0_sel:WORD_0
	;; [unrolled: 1-line block ×3, first 2 shown]
	v_bfe_i32 v44, v46, 0, 8
	v_bfe_i32 v31, v31, 0, 8
	v_lshrrev_b32_e32 v19, 16, v65
	v_bfe_i32 v15, v15, 0, 8
	v_cvt_f32_i32_sdwa v39, sext(v44) dst_sel:DWORD dst_unused:UNUSED_PAD src0_sel:WORD_0
	v_cvt_f32_i32_sdwa v44, sext(v50) dst_sel:DWORD dst_unused:UNUSED_PAD src0_sel:WORD_0
	v_cvt_f32_i32_sdwa v50, sext(v49) dst_sel:DWORD dst_unused:UNUSED_PAD src0_sel:WORD_0
	v_cvt_f32_i32_sdwa v49, sext(v31) dst_sel:DWORD dst_unused:UNUSED_PAD src0_sel:WORD_0
	v_lshrrev_b32_e32 v31, 24, v65
	v_bfe_i32 v19, v19, 0, 8
	v_cvt_f32_i32_sdwa v22, sext(v15) dst_sel:DWORD dst_unused:UNUSED_PAD src0_sel:WORD_0
	v_bfe_i32 v54, v40, 0, 8
	v_bfe_i32 v61, v41, 0, 8
	v_cvt_f32_i32_sdwa v33, sext(v55) dst_sel:DWORD dst_unused:UNUSED_PAD src0_sel:WORD_0
	v_cvt_f32_i32_sdwa v41, sext(v57) dst_sel:DWORD dst_unused:UNUSED_PAD src0_sel:WORD_0
	;; [unrolled: 1-line block ×3, first 2 shown]
	s_waitcnt vmcnt(0)
	v_lshrrev_b32_e32 v58, 16, v66
	v_bfe_i32 v31, v31, 0, 8
	v_pk_fma_f32 v[0:1], v[10:11], v[14:15], v[0:1] op_sel_hi:[1,0,1]
	v_cvt_f32_i32_sdwa v10, sext(v19) dst_sel:DWORD dst_unused:UNUSED_PAD src0_sel:WORD_0
	v_bfe_i32 v37, v37, 0, 8
	v_bfe_i32 v62, v43, 0, 8
	v_cvt_f32_i32_sdwa v43, sext(v60) dst_sel:DWORD dst_unused:UNUSED_PAD src0_sel:WORD_0
	v_cvt_f32_i32_sdwa v42, sext(v59) dst_sel:DWORD dst_unused:UNUSED_PAD src0_sel:WORD_0
	v_bfe_i32 v8, v66, 0, 8
	v_lshrrev_b32_e32 v9, 8, v66
	v_bfe_i32 v23, v58, 0, 8
	v_cvt_f32_i32_sdwa v58, sext(v31) dst_sel:DWORD dst_unused:UNUSED_PAD src0_sel:WORD_0
	v_pk_fma_f32 v[2:3], v[24:25], v[14:15], v[2:3] op_sel_hi:[1,0,1]
	v_cvt_f32_i32_sdwa v36, sext(v36) dst_sel:DWORD dst_unused:UNUSED_PAD src0_sel:WORD_0
	v_bfe_i32 v55, v48, 0, 8
	v_cvt_f32_i32_sdwa v37, sext(v37) dst_sel:DWORD dst_unused:UNUSED_PAD src0_sel:WORD_0
	v_cvt_f32_i32_sdwa v46, sext(v45) dst_sel:DWORD dst_unused:UNUSED_PAD src0_sel:WORD_0
	v_bfe_i32 v9, v9, 0, 8
	v_cvt_f32_i32_sdwa v8, sext(v8) dst_sel:DWORD dst_unused:UNUSED_PAD src0_sel:WORD_0
	v_pk_fma_f32 v[0:1], v[12:13], v[6:7], v[0:1] op_sel_hi:[1,0,1]
	v_pk_fma_f32 v[2:3], v[28:29], v[6:7], v[2:3] op_sel_hi:[1,0,1]
	v_cvt_f32_i32_sdwa v45, sext(v55) dst_sel:DWORD dst_unused:UNUSED_PAD src0_sel:WORD_0
	v_lshrrev_b32_e32 v59, 24, v66
	v_cvt_f32_i32_sdwa v14, sext(v9) dst_sel:DWORD dst_unused:UNUSED_PAD src0_sel:WORD_0
	v_pk_fma_f32 v[0:1], v[26:27], v[22:23], v[0:1] op_sel_hi:[1,0,1]
	v_pk_fma_f32 v[2:3], v[38:39], v[22:23], v[2:3] op_sel_hi:[1,0,1]
	v_cvt_f32_i32_sdwa v48, sext(v67) dst_sel:DWORD dst_unused:UNUSED_PAD src0_sel:WORD_0
	v_cvt_f32_i32_sdwa v55, sext(v61) dst_sel:DWORD dst_unused:UNUSED_PAD src0_sel:WORD_0
	;; [unrolled: 1-line block ×3, first 2 shown]
	v_bfe_i32 v59, v59, 0, 8
	v_cvt_f32_i32_sdwa v24, sext(v23) dst_sel:DWORD dst_unused:UNUSED_PAD src0_sel:WORD_0
	v_pk_fma_f32 v[0:1], v[32:33], v[10:11], v[0:1] op_sel_hi:[1,0,1]
	v_pk_fma_f32 v[2:3], v[40:41], v[10:11], v[2:3] op_sel_hi:[1,0,1]
	v_cvt_f32_i32_sdwa v57, sext(v63) dst_sel:DWORD dst_unused:UNUSED_PAD src0_sel:WORD_0
	v_cvt_f32_i32_sdwa v56, sext(v62) dst_sel:DWORD dst_unused:UNUSED_PAD src0_sel:WORD_0
	;; [unrolled: 1-line block ×3, first 2 shown]
	v_pk_fma_f32 v[0:1], v[34:35], v[58:59], v[0:1] op_sel_hi:[1,0,1]
	v_pk_fma_f32 v[2:3], v[42:43], v[58:59], v[2:3] op_sel_hi:[1,0,1]
	;; [unrolled: 1-line block ×10, first 2 shown]
	s_andn2_b64 exec, exec, s[8:9]
	s_cbranch_execnz .LBB77_33
; %bb.34:
	s_or_b64 exec, exec, s[8:9]
.LBB77_35:
	s_or_b64 exec, exec, s[0:1]
.LBB77_36:
	s_or_b64 exec, exec, s[2:3]
.LBB77_37:
	v_mov_b32_dpp v0, v24 row_shr:1 row_mask:0xf bank_mask:0xf
	v_mov_b32_dpp v1, v25 row_shr:1 row_mask:0xf bank_mask:0xf
	;; [unrolled: 1-line block ×4, first 2 shown]
	v_pk_add_f32 v[0:1], v[24:25], v[0:1]
	v_pk_add_f32 v[4:5], v[22:23], v[4:5]
	v_cmp_eq_u32_e32 vcc, 15, v17
	v_mov_b32_dpp v2, v0 row_shr:2 row_mask:0xf bank_mask:0xf
	v_mov_b32_dpp v3, v1 row_shr:2 row_mask:0xf bank_mask:0xf
	;; [unrolled: 1-line block ×4, first 2 shown]
	v_pk_add_f32 v[0:1], v[0:1], v[2:3]
	v_pk_add_f32 v[4:5], v[4:5], v[6:7]
	s_nop 0
	v_mov_b32_dpp v2, v0 row_shr:4 row_mask:0xf bank_mask:0xe
	v_mov_b32_dpp v3, v1 row_shr:4 row_mask:0xf bank_mask:0xe
	;; [unrolled: 1-line block ×4, first 2 shown]
	v_pk_add_f32 v[0:1], v[0:1], v[2:3]
	v_pk_add_f32 v[4:5], v[4:5], v[6:7]
	s_nop 0
	v_mov_b32_dpp v2, v0 row_shr:8 row_mask:0xf bank_mask:0xc
	v_mov_b32_dpp v3, v1 row_shr:8 row_mask:0xf bank_mask:0xc
	;; [unrolled: 1-line block ×4, first 2 shown]
	s_and_b64 exec, exec, vcc
	s_cbranch_execz .LBB77_10
; %bb.38:
	s_load_dwordx2 s[0:1], s[4:5], 0x50
	v_cmp_eq_f32_e64 s[2:3], s18, 0
	v_pk_add_f32 v[2:3], v[0:1], v[2:3]
	v_pk_add_f32 v[0:1], v[4:5], v[6:7]
	s_and_b64 vcc, exec, s[2:3]
	v_lshlrev_b32_e32 v4, 2, v16
	s_cbranch_vccz .LBB77_40
; %bb.39:
	v_ashrrev_i32_e32 v5, 31, v4
	v_lshlrev_b64 v[6:7], 2, v[4:5]
	s_waitcnt lgkmcnt(0)
	v_mov_b32_e32 v5, s1
	v_add_co_u32_e32 v10, vcc, s0, v6
	v_addc_co_u32_e32 v11, vcc, v5, v7, vcc
	v_pk_mul_f32 v[6:7], s[16:17], v[2:3] op_sel_hi:[0,1]
	v_pk_mul_f32 v[8:9], s[16:17], v[0:1] op_sel_hi:[0,1]
	global_store_dwordx4 v[10:11], v[6:9], off
	s_cbranch_execnz .LBB77_10
	s_branch .LBB77_41
.LBB77_40:
.LBB77_41:
	v_ashrrev_i32_e32 v5, 31, v4
	v_lshlrev_b64 v[4:5], 2, v[4:5]
	s_waitcnt lgkmcnt(0)
	v_mov_b32_e32 v6, s1
	v_add_co_u32_e32 v8, vcc, s0, v4
	v_addc_co_u32_e32 v9, vcc, v6, v5, vcc
	global_load_dwordx4 v[4:7], v[8:9], off
	v_pk_mul_f32 v[2:3], s[16:17], v[2:3] op_sel_hi:[0,1]
	v_pk_mul_f32 v[10:11], s[16:17], v[0:1] op_sel_hi:[0,1]
	s_waitcnt vmcnt(0)
	v_pk_fma_f32 v[0:1], s[18:19], v[4:5], v[2:3] op_sel_hi:[0,1,1]
	v_pk_fma_f32 v[2:3], s[18:19], v[6:7], v[10:11] op_sel_hi:[0,1,1]
	global_store_dwordx4 v[8:9], v[0:3], off
	s_endpgm
	.section	.rodata,"a",@progbits
	.p2align	6, 0x0
	.amdhsa_kernel _ZN9rocsparseL18bsrxmvn_4x4_kernelILj128ELj16EfiiaafEEvT3_20rocsparse_direction_NS_24const_host_device_scalarIT1_EES1_PKS1_PKT2_SA_S7_PKT4_PKT5_S5_PT6_21rocsparse_index_base_b
		.amdhsa_group_segment_fixed_size 0
		.amdhsa_private_segment_fixed_size 0
		.amdhsa_kernarg_size 96
		.amdhsa_user_sgpr_count 6
		.amdhsa_user_sgpr_private_segment_buffer 1
		.amdhsa_user_sgpr_dispatch_ptr 0
		.amdhsa_user_sgpr_queue_ptr 0
		.amdhsa_user_sgpr_kernarg_segment_ptr 1
		.amdhsa_user_sgpr_dispatch_id 0
		.amdhsa_user_sgpr_flat_scratch_init 0
		.amdhsa_user_sgpr_kernarg_preload_length 0
		.amdhsa_user_sgpr_kernarg_preload_offset 0
		.amdhsa_user_sgpr_private_segment_size 0
		.amdhsa_uses_dynamic_stack 0
		.amdhsa_system_sgpr_private_segment_wavefront_offset 0
		.amdhsa_system_sgpr_workgroup_id_x 1
		.amdhsa_system_sgpr_workgroup_id_y 0
		.amdhsa_system_sgpr_workgroup_id_z 0
		.amdhsa_system_sgpr_workgroup_info 0
		.amdhsa_system_vgpr_workitem_id 0
		.amdhsa_next_free_vgpr 69
		.amdhsa_next_free_sgpr 22
		.amdhsa_accum_offset 72
		.amdhsa_reserve_vcc 1
		.amdhsa_reserve_flat_scratch 0
		.amdhsa_float_round_mode_32 0
		.amdhsa_float_round_mode_16_64 0
		.amdhsa_float_denorm_mode_32 3
		.amdhsa_float_denorm_mode_16_64 3
		.amdhsa_dx10_clamp 1
		.amdhsa_ieee_mode 1
		.amdhsa_fp16_overflow 0
		.amdhsa_tg_split 0
		.amdhsa_exception_fp_ieee_invalid_op 0
		.amdhsa_exception_fp_denorm_src 0
		.amdhsa_exception_fp_ieee_div_zero 0
		.amdhsa_exception_fp_ieee_overflow 0
		.amdhsa_exception_fp_ieee_underflow 0
		.amdhsa_exception_fp_ieee_inexact 0
		.amdhsa_exception_int_div_zero 0
	.end_amdhsa_kernel
	.section	.text._ZN9rocsparseL18bsrxmvn_4x4_kernelILj128ELj16EfiiaafEEvT3_20rocsparse_direction_NS_24const_host_device_scalarIT1_EES1_PKS1_PKT2_SA_S7_PKT4_PKT5_S5_PT6_21rocsparse_index_base_b,"axG",@progbits,_ZN9rocsparseL18bsrxmvn_4x4_kernelILj128ELj16EfiiaafEEvT3_20rocsparse_direction_NS_24const_host_device_scalarIT1_EES1_PKS1_PKT2_SA_S7_PKT4_PKT5_S5_PT6_21rocsparse_index_base_b,comdat
.Lfunc_end77:
	.size	_ZN9rocsparseL18bsrxmvn_4x4_kernelILj128ELj16EfiiaafEEvT3_20rocsparse_direction_NS_24const_host_device_scalarIT1_EES1_PKS1_PKT2_SA_S7_PKT4_PKT5_S5_PT6_21rocsparse_index_base_b, .Lfunc_end77-_ZN9rocsparseL18bsrxmvn_4x4_kernelILj128ELj16EfiiaafEEvT3_20rocsparse_direction_NS_24const_host_device_scalarIT1_EES1_PKS1_PKT2_SA_S7_PKT4_PKT5_S5_PT6_21rocsparse_index_base_b
                                        ; -- End function
	.section	.AMDGPU.csdata,"",@progbits
; Kernel info:
; codeLenInByte = 6384
; NumSgprs: 26
; NumVgprs: 69
; NumAgprs: 0
; TotalNumVgprs: 69
; ScratchSize: 0
; MemoryBound: 0
; FloatMode: 240
; IeeeMode: 1
; LDSByteSize: 0 bytes/workgroup (compile time only)
; SGPRBlocks: 3
; VGPRBlocks: 8
; NumSGPRsForWavesPerEU: 26
; NumVGPRsForWavesPerEU: 69
; AccumOffset: 72
; Occupancy: 7
; WaveLimiterHint : 1
; COMPUTE_PGM_RSRC2:SCRATCH_EN: 0
; COMPUTE_PGM_RSRC2:USER_SGPR: 6
; COMPUTE_PGM_RSRC2:TRAP_HANDLER: 0
; COMPUTE_PGM_RSRC2:TGID_X_EN: 1
; COMPUTE_PGM_RSRC2:TGID_Y_EN: 0
; COMPUTE_PGM_RSRC2:TGID_Z_EN: 0
; COMPUTE_PGM_RSRC2:TIDIG_COMP_CNT: 0
; COMPUTE_PGM_RSRC3_GFX90A:ACCUM_OFFSET: 17
; COMPUTE_PGM_RSRC3_GFX90A:TG_SPLIT: 0
	.section	.text._ZN9rocsparseL18bsrxmvn_4x4_kernelILj128ELj32EfiiaafEEvT3_20rocsparse_direction_NS_24const_host_device_scalarIT1_EES1_PKS1_PKT2_SA_S7_PKT4_PKT5_S5_PT6_21rocsparse_index_base_b,"axG",@progbits,_ZN9rocsparseL18bsrxmvn_4x4_kernelILj128ELj32EfiiaafEEvT3_20rocsparse_direction_NS_24const_host_device_scalarIT1_EES1_PKS1_PKT2_SA_S7_PKT4_PKT5_S5_PT6_21rocsparse_index_base_b,comdat
	.globl	_ZN9rocsparseL18bsrxmvn_4x4_kernelILj128ELj32EfiiaafEEvT3_20rocsparse_direction_NS_24const_host_device_scalarIT1_EES1_PKS1_PKT2_SA_S7_PKT4_PKT5_S5_PT6_21rocsparse_index_base_b ; -- Begin function _ZN9rocsparseL18bsrxmvn_4x4_kernelILj128ELj32EfiiaafEEvT3_20rocsparse_direction_NS_24const_host_device_scalarIT1_EES1_PKS1_PKT2_SA_S7_PKT4_PKT5_S5_PT6_21rocsparse_index_base_b
	.p2align	8
	.type	_ZN9rocsparseL18bsrxmvn_4x4_kernelILj128ELj32EfiiaafEEvT3_20rocsparse_direction_NS_24const_host_device_scalarIT1_EES1_PKS1_PKT2_SA_S7_PKT4_PKT5_S5_PT6_21rocsparse_index_base_b,@function
_ZN9rocsparseL18bsrxmvn_4x4_kernelILj128ELj32EfiiaafEEvT3_20rocsparse_direction_NS_24const_host_device_scalarIT1_EES1_PKS1_PKT2_SA_S7_PKT4_PKT5_S5_PT6_21rocsparse_index_base_b: ; @_ZN9rocsparseL18bsrxmvn_4x4_kernelILj128ELj32EfiiaafEEvT3_20rocsparse_direction_NS_24const_host_device_scalarIT1_EES1_PKS1_PKT2_SA_S7_PKT4_PKT5_S5_PT6_21rocsparse_index_base_b
; %bb.0:
	s_load_dwordx2 s[18:19], s[4:5], 0x58
	s_load_dwordx2 s[2:3], s[4:5], 0x8
	;; [unrolled: 1-line block ×3, first 2 shown]
	s_waitcnt lgkmcnt(0)
	s_bitcmp1_b32 s19, 0
	s_cselect_b64 s[8:9], -1, 0
	s_xor_b64 s[0:1], s[8:9], -1
	s_and_b64 vcc, exec, s[8:9]
	s_cbranch_vccnz .LBB78_2
; %bb.1:
	s_load_dword s2, s[2:3], 0x0
.LBB78_2:
	s_andn2_b64 vcc, exec, s[0:1]
	s_cbranch_vccnz .LBB78_4
; %bb.3:
	s_load_dword s16, s[16:17], 0x0
.LBB78_4:
	s_waitcnt lgkmcnt(0)
	v_cmp_neq_f32_e64 s[0:1], s2, 0
	v_cmp_neq_f32_e64 s[8:9], s16, 1.0
	s_or_b64 s[0:1], s[0:1], s[8:9]
	s_andn2_b64 vcc, exec, s[0:1]
	s_cbranch_vccnz .LBB78_10
; %bb.5:
	s_load_dwordx2 s[8:9], s[4:5], 0x18
	s_load_dwordx2 s[0:1], s[4:5], 0x0
	v_lshrrev_b32_e32 v1, 5, v0
	v_lshl_or_b32 v8, s6, 2, v1
	s_mov_b64 s[6:7], 0
	s_waitcnt lgkmcnt(0)
	s_cmp_lg_u64 s[8:9], 0
	s_cbranch_scc0 .LBB78_11
; %bb.6:
	s_load_dword s3, s[4:5], 0x10
                                        ; implicit-def: $vgpr1
	s_waitcnt lgkmcnt(0)
	v_cmp_gt_i32_e32 vcc, s3, v8
	s_and_saveexec_b64 s[10:11], vcc
	s_xor_b64 s[10:11], exec, s[10:11]
	s_cbranch_execz .LBB78_8
; %bb.7:
	v_ashrrev_i32_e32 v9, 31, v8
	v_lshlrev_b64 v[2:3], 2, v[8:9]
	v_mov_b32_e32 v1, s9
	v_add_co_u32_e32 v2, vcc, s8, v2
	v_addc_co_u32_e32 v3, vcc, v1, v3, vcc
	global_load_dword v1, v[2:3], off
	s_mov_b64 s[6:7], exec
	s_waitcnt vmcnt(0)
	v_subrev_u32_e32 v1, s18, v1
.LBB78_8:
	s_or_b64 exec, exec, s[10:11]
	s_branch .LBB78_12
.LBB78_9:
	v_cmp_gt_i32_e32 vcc, s0, v8
	s_andn2_b64 s[6:7], s[6:7], exec
	s_and_b64 s[8:9], vcc, exec
	s_or_b64 s[6:7], s[6:7], s[8:9]
	s_and_saveexec_b64 s[8:9], s[6:7]
	s_cbranch_execnz .LBB78_13
.LBB78_10:
	s_endpgm
.LBB78_11:
                                        ; implicit-def: $vgpr1
	s_cbranch_execnz .LBB78_9
.LBB78_12:
	v_mov_b32_e32 v8, v1
	s_and_saveexec_b64 s[8:9], s[6:7]
	s_cbranch_execz .LBB78_10
.LBB78_13:
	s_load_dwordx8 s[8:15], s[4:5], 0x20
	v_ashrrev_i32_e32 v9, 31, v8
	v_lshlrev_b64 v[2:3], 2, v[8:9]
	v_and_b32_e32 v9, 31, v0
	s_load_dwordx2 s[6:7], s[4:5], 0x40
	s_waitcnt lgkmcnt(0)
	v_mov_b32_e32 v1, s9
	v_add_co_u32_e32 v4, vcc, s8, v2
	v_addc_co_u32_e32 v5, vcc, v1, v3, vcc
	v_add_co_u32_e32 v1, vcc, 4, v4
	global_load_dword v23, v[4:5], off
	v_addc_co_u32_e32 v4, vcc, 0, v5, vcc
	v_mov_b32_e32 v5, s11
	v_add_co_u32_e32 v2, vcc, s10, v2
	s_cmp_eq_u64 s[10:11], 0
	v_addc_co_u32_e32 v3, vcc, v5, v3, vcc
	s_cselect_b64 vcc, -1, 0
	v_cndmask_b32_e32 v3, v3, v4, vcc
	v_cndmask_b32_e32 v2, v2, v1, vcc
	global_load_dword v1, v[2:3], off
	v_mov_b32_e32 v2, s15
	s_cmp_eq_u32 s1, 1
	s_waitcnt vmcnt(1)
	v_subrev_u32_e32 v0, s18, v23
	v_add_u32_e32 v10, v0, v9
	v_ashrrev_i32_e32 v11, 31, v10
	s_waitcnt vmcnt(0)
	v_subrev_u32_e32 v22, s18, v1
	v_lshlrev_b64 v[0:1], 4, v[10:11]
	v_add_co_u32_e32 v12, vcc, s14, v0
	v_addc_co_u32_e32 v13, vcc, v2, v1, vcc
	v_cmp_lt_i32_e64 s[0:1], v10, v22
	s_cbranch_scc1 .LBB78_25
; %bb.14:
	v_mov_b32_e32 v15, 0
	v_mov_b32_e32 v14, 0
	;; [unrolled: 1-line block ×4, first 2 shown]
	s_and_saveexec_b64 s[8:9], s[0:1]
	s_cbranch_execz .LBB78_24
; %bb.15:
	v_add_u32_e32 v0, v23, v9
	v_subrev_u32_e32 v0, s18, v0
	v_add_u32_e32 v0, 32, v0
	v_max_i32_e32 v0, v0, v22
	v_not_b32_e32 v1, v23
	v_add3_u32 v0, v0, s18, v1
	v_sub_u32_e32 v0, v0, v9
	v_lshrrev_b32_e32 v1, 5, v0
	v_add_u32_e32 v1, 1, v1
	v_and_b32_e32 v1, 3, v1
	v_mov_b32_e32 v16, 0
	v_cmp_ne_u32_e32 vcc, 0, v1
	v_mov_b32_e32 v17, v16
	v_mov_b32_e32 v14, v16
	v_mov_b32_e32 v15, v16
	v_mov_b32_e32 v18, v10
	v_pk_mov_b32 v[20:21], v[12:13], v[12:13] op_sel:[0,1]
	s_and_saveexec_b64 s[10:11], vcc
	s_cbranch_execz .LBB78_19
; %bb.16:
	v_mov_b32_e32 v15, 0
	v_lshlrev_b32_e32 v1, 4, v1
	s_mov_b64 s[14:15], 0
	v_mov_b32_e32 v2, s13
	v_mov_b32_e32 v3, s7
	v_pk_mov_b32 v[20:21], v[12:13], v[12:13] op_sel:[0,1]
	v_mov_b32_e32 v18, v10
	v_mov_b32_e32 v14, v15
	v_mov_b32_e32 v17, v15
	v_mov_b32_e32 v16, v15
.LBB78_17:                              ; =>This Inner Loop Header: Depth=1
	v_ashrrev_i32_e32 v19, 31, v18
	v_lshlrev_b64 v[4:5], 2, v[18:19]
	v_add_co_u32_e32 v24, vcc, s12, v4
	v_addc_co_u32_e32 v25, vcc, v2, v5, vcc
	global_load_dword v11, v[24:25], off
	global_load_dwordx4 v[4:7], v[20:21], off
	v_add_u32_e32 v1, -16, v1
	v_add_u32_e32 v18, 32, v18
	s_waitcnt vmcnt(1)
	v_subrev_u32_e32 v11, s18, v11
	v_lshlrev_b32_e32 v11, 2, v11
	v_ashrrev_i32_e32 v19, 31, v11
	v_add_co_u32_e32 v24, vcc, s6, v11
	v_addc_co_u32_e32 v25, vcc, v3, v19, vcc
	global_load_dword v11, v[24:25], off
	s_waitcnt vmcnt(1)
	v_lshrrev_b32_e32 v27, 8, v5
	v_lshrrev_b32_e32 v33, 8, v7
	;; [unrolled: 1-line block ×3, first 2 shown]
	v_bfe_i32 v26, v5, 0, 8
	v_lshrrev_b32_e32 v28, 16, v5
	v_lshrrev_b32_e32 v5, 24, v5
	v_bfe_i32 v29, v6, 0, 8
	v_bfe_i32 v27, v27, 0, 8
	;; [unrolled: 1-line block ×5, first 2 shown]
	v_lshrrev_b32_e32 v24, 8, v4
	v_lshrrev_b32_e32 v25, 16, v4
	;; [unrolled: 1-line block ×4, first 2 shown]
	v_bfe_i32 v32, v7, 0, 8
	v_bfe_i32 v36, v5, 0, 8
	v_cvt_f32_i32_sdwa v40, sext(v29) dst_sel:DWORD dst_unused:UNUSED_PAD src0_sel:WORD_0
	v_cvt_f32_i32_sdwa v5, sext(v27) dst_sel:DWORD dst_unused:UNUSED_PAD src0_sel:WORD_0
	;; [unrolled: 1-line block ×4, first 2 shown]
	v_lshrrev_b32_e32 v31, 16, v6
	v_bfe_i32 v24, v24, 0, 8
	v_bfe_i32 v35, v4, 0, 8
	;; [unrolled: 1-line block ×3, first 2 shown]
	v_cvt_f32_i32_sdwa v19, sext(v19) dst_sel:DWORD dst_unused:UNUSED_PAD src0_sel:WORD_0
	v_cvt_f32_i32_sdwa v39, sext(v26) dst_sel:DWORD dst_unused:UNUSED_PAD src0_sel:WORD_0
	;; [unrolled: 1-line block ×3, first 2 shown]
	v_lshrrev_b32_e32 v6, 24, v6
	v_lshrrev_b32_e32 v7, 24, v7
	v_bfe_i32 v25, v25, 0, 8
	v_bfe_i32 v28, v28, 0, 8
	;; [unrolled: 1-line block ×3, first 2 shown]
	v_cvt_f32_i32_sdwa v4, sext(v24) dst_sel:DWORD dst_unused:UNUSED_PAD src0_sel:WORD_0
	v_cvt_f32_i32_sdwa v24, sext(v35) dst_sel:DWORD dst_unused:UNUSED_PAD src0_sel:WORD_0
	;; [unrolled: 1-line block ×3, first 2 shown]
	v_bfe_i32 v37, v6, 0, 8
	v_bfe_i32 v38, v7, 0, 8
	v_cvt_f32_i32_sdwa v7, sext(v28) dst_sel:DWORD dst_unused:UNUSED_PAD src0_sel:WORD_0
	v_cvt_f32_i32_sdwa v6, sext(v25) dst_sel:DWORD dst_unused:UNUSED_PAD src0_sel:WORD_0
	;; [unrolled: 1-line block ×6, first 2 shown]
	v_add_co_u32_e32 v20, vcc, 0x200, v20
	v_addc_co_u32_e32 v21, vcc, 0, v21, vcc
	v_cmp_eq_u32_e32 vcc, 0, v1
	s_or_b64 s[14:15], vcc, s[14:15]
	s_waitcnt vmcnt(0)
	v_bfe_i32 v33, v11, 0, 8
	v_lshrrev_b32_e32 v34, 8, v11
	v_lshrrev_b32_e32 v32, 16, v11
	v_bfe_i32 v34, v34, 0, 8
	v_cvt_f32_i32_sdwa v33, sext(v33) dst_sel:DWORD dst_unused:UNUSED_PAD src0_sel:WORD_0
	v_lshrrev_b32_e32 v11, 24, v11
	v_bfe_i32 v35, v32, 0, 8
	v_cvt_f32_i32_sdwa v32, sext(v34) dst_sel:DWORD dst_unused:UNUSED_PAD src0_sel:WORD_0
	v_bfe_i32 v11, v11, 0, 8
	v_cvt_f32_i32_sdwa v34, sext(v35) dst_sel:DWORD dst_unused:UNUSED_PAD src0_sel:WORD_0
	v_cvt_f32_i32_sdwa v36, sext(v11) dst_sel:DWORD dst_unused:UNUSED_PAD src0_sel:WORD_0
	v_fmac_f32_e32 v16, v19, v33
	v_fmac_f32_e32 v17, v39, v33
	;; [unrolled: 1-line block ×4, first 2 shown]
	v_pk_fma_f32 v[4:5], v[4:5], v[32:33], v[16:17] op_sel_hi:[1,0,1]
	v_pk_fma_f32 v[14:15], v[26:27], v[32:33], v[14:15] op_sel_hi:[1,0,1]
	;; [unrolled: 1-line block ×6, first 2 shown]
	s_andn2_b64 exec, exec, s[14:15]
	s_cbranch_execnz .LBB78_17
; %bb.18:
	s_or_b64 exec, exec, s[14:15]
.LBB78_19:
	s_or_b64 exec, exec, s[10:11]
	s_movk_i32 s3, 0x5f
	v_cmp_lt_u32_e32 vcc, s3, v0
	s_and_saveexec_b64 s[10:11], vcc
	s_cbranch_execz .LBB78_23
; %bb.20:
	s_mov_b64 s[14:15], 0
	v_mov_b32_e32 v11, s13
	v_mov_b32_e32 v24, s7
.LBB78_21:                              ; =>This Inner Loop Header: Depth=1
	v_ashrrev_i32_e32 v19, 31, v18
	v_lshlrev_b64 v[30:31], 2, v[18:19]
	v_add_co_u32_e32 v30, vcc, s12, v30
	v_addc_co_u32_e32 v31, vcc, v11, v31, vcc
	global_load_dwordx4 v[4:7], v[20:21], off
	global_load_dwordx4 v[26:29], v[20:21], off offset:512
	global_load_dword v19, v[30:31], off
	global_load_dwordx4 v[0:3], v[20:21], off offset:1024
	global_load_dword v60, v[30:31], off offset:128
	global_load_dword v61, v[30:31], off offset:256
	;; [unrolled: 1-line block ×3, first 2 shown]
	v_add_u32_e32 v18, 0x80, v18
	s_waitcnt vmcnt(6)
	v_bfe_i32 v25, v4, 0, 8
	v_lshrrev_b32_e32 v32, 8, v4
	v_lshrrev_b32_e32 v33, 16, v4
	;; [unrolled: 1-line block ×3, first 2 shown]
	v_bfe_i32 v4, v5, 0, 8
	s_waitcnt vmcnt(5)
	v_bfe_i32 v53, v28, 0, 8
	v_lshrrev_b32_e32 v54, 8, v28
	v_lshrrev_b32_e32 v55, 16, v28
	;; [unrolled: 1-line block ×3, first 2 shown]
	v_cvt_f32_i32_sdwa v28, sext(v4) dst_sel:DWORD dst_unused:UNUSED_PAD src0_sel:WORD_0
	s_waitcnt vmcnt(4)
	v_subrev_u32_e32 v4, s18, v19
	v_lshrrev_b32_e32 v35, 8, v5
	v_lshrrev_b32_e32 v36, 16, v5
	;; [unrolled: 1-line block ×3, first 2 shown]
	v_bfe_i32 v5, v6, 0, 8
	v_lshlrev_b32_e32 v4, 2, v4
	v_cvt_f32_i32_sdwa v30, sext(v5) dst_sel:DWORD dst_unused:UNUSED_PAD src0_sel:WORD_0
	v_ashrrev_i32_e32 v5, 31, v4
	v_add_co_u32_e32 v4, vcc, s6, v4
	v_addc_co_u32_e32 v5, vcc, v24, v5, vcc
	global_load_dword v19, v[4:5], off
	v_cvt_f32_i32_sdwa v25, sext(v25) dst_sel:DWORD dst_unused:UNUSED_PAD src0_sel:WORD_0
	v_bfe_i32 v41, v7, 0, 8
	v_lshrrev_b32_e32 v38, 8, v6
	v_lshrrev_b32_e32 v39, 16, v6
	v_lshrrev_b32_e32 v40, 24, v6
	v_lshrrev_b32_e32 v42, 8, v7
	v_lshrrev_b32_e32 v43, 16, v7
	v_lshrrev_b32_e32 v44, 24, v7
	v_bfe_i32 v6, v32, 0, 8
	v_bfe_i32 v7, v35, 0, 8
	;; [unrolled: 1-line block ×3, first 2 shown]
	v_lshrrev_b32_e32 v46, 8, v26
	v_lshrrev_b32_e32 v47, 16, v26
	;; [unrolled: 1-line block ×3, first 2 shown]
	v_bfe_i32 v49, v27, 0, 8
	v_lshrrev_b32_e32 v50, 8, v27
	v_lshrrev_b32_e32 v51, 16, v27
	;; [unrolled: 1-line block ×3, first 2 shown]
	v_cvt_f32_i32_sdwa v26, sext(v6) dst_sel:DWORD dst_unused:UNUSED_PAD src0_sel:WORD_0
	v_cvt_f32_i32_sdwa v27, sext(v7) dst_sel:DWORD dst_unused:UNUSED_PAD src0_sel:WORD_0
	v_bfe_i32 v57, v29, 0, 8
	v_lshrrev_b32_e32 v58, 8, v29
	v_lshrrev_b32_e32 v59, 16, v29
	;; [unrolled: 1-line block ×3, first 2 shown]
	s_waitcnt vmcnt(4)
	v_bfe_i32 v32, v1, 0, 8
	v_lshrrev_b32_e32 v35, 24, v1
	v_bfe_i32 v48, v48, 0, 8
	v_bfe_i32 v52, v52, 0, 8
	v_cvt_f32_i32_sdwa v64, sext(v32) dst_sel:DWORD dst_unused:UNUSED_PAD src0_sel:WORD_0
	v_bfe_i32 v35, v35, 0, 8
	s_waitcnt vmcnt(0)
	v_bfe_i32 v4, v19, 0, 8
	v_cvt_f32_i32_sdwa v31, sext(v4) dst_sel:DWORD dst_unused:UNUSED_PAD src0_sel:WORD_0
	global_load_dwordx4 v[4:7], v[20:21], off offset:1536
	v_add_co_u32_e32 v20, vcc, 0x800, v20
	v_fmac_f32_e32 v16, v25, v31
	v_cvt_f32_i32_sdwa v25, sext(v41) dst_sel:DWORD dst_unused:UNUSED_PAD src0_sel:WORD_0
	v_fmac_f32_e32 v17, v28, v31
	v_fmac_f32_e32 v14, v30, v31
	v_lshrrev_b32_e32 v30, 8, v0
	v_fmac_f32_e32 v15, v25, v31
	v_lshrrev_b32_e32 v25, 8, v19
	v_bfe_i32 v25, v25, 0, 8
	v_cvt_f32_i32_sdwa v28, sext(v25) dst_sel:DWORD dst_unused:UNUSED_PAD src0_sel:WORD_0
	v_bfe_i32 v25, v0, 0, 8
	v_lshrrev_b32_e32 v31, 24, v0
	v_addc_co_u32_e32 v21, vcc, 0, v21, vcc
	v_pk_fma_f32 v[16:17], v[26:27], v[28:29], v[16:17] op_sel_hi:[1,0,1]
	v_bfe_i32 v26, v38, 0, 8
	v_bfe_i32 v27, v42, 0, 8
	v_cvt_f32_i32_sdwa v26, sext(v26) dst_sel:DWORD dst_unused:UNUSED_PAD src0_sel:WORD_0
	v_cvt_f32_i32_sdwa v27, sext(v27) dst_sel:DWORD dst_unused:UNUSED_PAD src0_sel:WORD_0
	v_cmp_ge_i32_e32 vcc, v18, v22
	s_or_b64 s[14:15], vcc, s[14:15]
	v_lshrrev_b32_e32 v38, 8, v3
	v_pk_fma_f32 v[14:15], v[26:27], v[28:29], v[14:15] op_sel_hi:[1,0,1]
	v_lshrrev_b32_e32 v28, 16, v0
	v_bfe_i32 v0, v33, 0, 8
	v_bfe_i32 v26, v36, 0, 8
	v_cvt_f32_i32_sdwa v27, sext(v26) dst_sel:DWORD dst_unused:UNUSED_PAD src0_sel:WORD_0
	v_cvt_f32_i32_sdwa v26, sext(v0) dst_sel:DWORD dst_unused:UNUSED_PAD src0_sel:WORD_0
	v_lshrrev_b32_e32 v0, 16, v19
	v_bfe_i32 v0, v0, 0, 8
	v_cvt_f32_i32_sdwa v0, sext(v0) dst_sel:DWORD dst_unused:UNUSED_PAD src0_sel:WORD_0
	v_lshrrev_b32_e32 v19, 24, v19
	v_lshrrev_b32_e32 v33, 8, v1
	v_bfe_i32 v19, v19, 0, 8
	v_pk_fma_f32 v[16:17], v[26:27], v[0:1], v[16:17] op_sel_hi:[1,0,1]
	v_bfe_i32 v26, v39, 0, 8
	v_bfe_i32 v27, v43, 0, 8
	v_cvt_f32_i32_sdwa v27, sext(v27) dst_sel:DWORD dst_unused:UNUSED_PAD src0_sel:WORD_0
	v_cvt_f32_i32_sdwa v26, sext(v26) dst_sel:DWORD dst_unused:UNUSED_PAD src0_sel:WORD_0
	v_bfe_i32 v36, v2, 0, 8
	v_cvt_f32_i32_sdwa v43, sext(v45) dst_sel:DWORD dst_unused:UNUSED_PAD src0_sel:WORD_0
	v_lshrrev_b32_e32 v39, 16, v3
	v_pk_fma_f32 v[14:15], v[26:27], v[0:1], v[14:15] op_sel_hi:[1,0,1]
	v_lshrrev_b32_e32 v27, 16, v1
	v_bfe_i32 v0, v34, 0, 8
	v_bfe_i32 v1, v37, 0, 8
	v_cvt_f32_i32_sdwa v1, sext(v1) dst_sel:DWORD dst_unused:UNUSED_PAD src0_sel:WORD_0
	v_cvt_f32_i32_sdwa v0, sext(v0) dst_sel:DWORD dst_unused:UNUSED_PAD src0_sel:WORD_0
	;; [unrolled: 1-line block ×3, first 2 shown]
	v_lshrrev_b32_e32 v19, 8, v2
	v_lshrrev_b32_e32 v34, 16, v2
	v_bfe_i32 v37, v3, 0, 8
	v_pk_fma_f32 v[0:1], v[0:1], v[26:27], v[16:17] op_sel_hi:[1,0,1]
	v_bfe_i32 v16, v40, 0, 8
	v_bfe_i32 v17, v44, 0, 8
	v_cvt_f32_i32_sdwa v17, sext(v17) dst_sel:DWORD dst_unused:UNUSED_PAD src0_sel:WORD_0
	v_cvt_f32_i32_sdwa v16, sext(v16) dst_sel:DWORD dst_unused:UNUSED_PAD src0_sel:WORD_0
	v_lshrrev_b32_e32 v40, 24, v3
	v_bfe_i32 v3, v50, 0, 8
	v_cvt_f32_i32_sdwa v3, sext(v3) dst_sel:DWORD dst_unused:UNUSED_PAD src0_sel:WORD_0
	v_pk_fma_f32 v[14:15], v[16:17], v[26:27], v[14:15] op_sel_hi:[1,0,1]
	v_subrev_u32_e32 v16, s18, v60
	v_lshlrev_b32_e32 v16, 2, v16
	v_ashrrev_i32_e32 v17, 31, v16
	v_add_co_u32_e32 v16, vcc, s6, v16
	v_addc_co_u32_e32 v17, vcc, v24, v17, vcc
	v_lshrrev_b32_e32 v26, 24, v2
	v_bfe_i32 v2, v46, 0, 8
	global_load_dword v46, v[16:17], off
	v_cvt_f32_i32_sdwa v2, sext(v2) dst_sel:DWORD dst_unused:UNUSED_PAD src0_sel:WORD_0
	v_bfe_i32 v28, v28, 0, 8
	v_bfe_i32 v19, v19, 0, 8
	;; [unrolled: 1-line block ×6, first 2 shown]
	s_waitcnt vmcnt(1)
	v_bfe_i32 v41, v4, 0, 8
	v_lshrrev_b32_e32 v42, 8, v4
	v_lshrrev_b32_e32 v17, 16, v4
	v_bfe_i32 v44, v5, 0, 8
	v_lshrrev_b32_e32 v45, 16, v5
	v_lshrrev_b32_e32 v50, 16, v6
	v_bfe_i32 v38, v38, 0, 8
	v_cvt_f32_i32_sdwa v25, sext(v25) dst_sel:DWORD dst_unused:UNUSED_PAD src0_sel:WORD_0
	v_cvt_f32_i32_sdwa v65, sext(v36) dst_sel:DWORD dst_unused:UNUSED_PAD src0_sel:WORD_0
	;; [unrolled: 1-line block ×3, first 2 shown]
	v_bfe_i32 v27, v27, 0, 8
	v_bfe_i32 v31, v31, 0, 8
	;; [unrolled: 1-line block ×5, first 2 shown]
	v_cvt_f32_i32_sdwa v37, sext(v45) dst_sel:DWORD dst_unused:UNUSED_PAD src0_sel:WORD_0
	v_bfe_i32 v42, v42, 0, 8
	v_cvt_f32_i32_sdwa v67, sext(v41) dst_sel:DWORD dst_unused:UNUSED_PAD src0_sel:WORD_0
	v_cvt_f32_i32_sdwa v68, sext(v44) dst_sel:DWORD dst_unused:UNUSED_PAD src0_sel:WORD_0
	v_bfe_i32 v50, v50, 0, 8
	s_waitcnt vmcnt(0)
	v_bfe_i32 v16, v46, 0, 8
	v_cvt_f32_i32_sdwa v16, sext(v16) dst_sel:DWORD dst_unused:UNUSED_PAD src0_sel:WORD_0
	v_fma_f32 v0, v43, v16, v0
	v_cvt_f32_i32_sdwa v43, sext(v49) dst_sel:DWORD dst_unused:UNUSED_PAD src0_sel:WORD_0
	v_bfe_i32 v49, v6, 0, 8
	v_cvt_f32_i32_sdwa v49, sext(v49) dst_sel:DWORD dst_unused:UNUSED_PAD src0_sel:WORD_0
	v_fmac_f32_e32 v1, v43, v16
	v_lshrrev_b32_e32 v43, 24, v4
	v_cvt_f32_i32_sdwa v4, sext(v53) dst_sel:DWORD dst_unused:UNUSED_PAD src0_sel:WORD_0
	v_lshrrev_b32_e32 v53, 24, v7
	v_bfe_i32 v53, v53, 0, 8
	v_cvt_f32_i32_sdwa v45, sext(v53) dst_sel:DWORD dst_unused:UNUSED_PAD src0_sel:WORD_0
	v_fma_f32 v14, v4, v16, v14
	v_cvt_f32_i32_sdwa v4, sext(v57) dst_sel:DWORD dst_unused:UNUSED_PAD src0_sel:WORD_0
	v_bfe_i32 v57, v17, 0, 8
	v_cvt_f32_i32_sdwa v17, sext(v27) dst_sel:DWORD dst_unused:UNUSED_PAD src0_sel:WORD_0
	v_cvt_f32_i32_sdwa v27, sext(v35) dst_sel:DWORD dst_unused:UNUSED_PAD src0_sel:WORD_0
	v_fmac_f32_e32 v15, v4, v16
	v_lshrrev_b32_e32 v4, 8, v46
	v_bfe_i32 v4, v4, 0, 8
	v_cvt_f32_i32_sdwa v4, sext(v4) dst_sel:DWORD dst_unused:UNUSED_PAD src0_sel:WORD_0
	v_lshrrev_b32_e32 v16, 8, v5
	v_bfe_i32 v43, v43, 0, 8
	v_cvt_f32_i32_sdwa v36, sext(v57) dst_sel:DWORD dst_unused:UNUSED_PAD src0_sel:WORD_0
	v_pk_fma_f32 v[0:1], v[2:3], v[4:5], v[0:1] op_sel_hi:[1,0,1]
	v_bfe_i32 v2, v54, 0, 8
	v_bfe_i32 v3, v58, 0, 8
	v_cvt_f32_i32_sdwa v2, sext(v2) dst_sel:DWORD dst_unused:UNUSED_PAD src0_sel:WORD_0
	v_cvt_f32_i32_sdwa v3, sext(v3) dst_sel:DWORD dst_unused:UNUSED_PAD src0_sel:WORD_0
	v_bfe_i32 v54, v56, 0, 8
	v_bfe_i32 v56, v16, 0, 8
	v_cvt_f32_i32_sdwa v16, sext(v28) dst_sel:DWORD dst_unused:UNUSED_PAD src0_sel:WORD_0
	v_pk_fma_f32 v[2:3], v[2:3], v[4:5], v[14:15] op_sel_hi:[1,0,1]
	v_lshrrev_b32_e32 v14, 16, v46
	v_lshrrev_b32_e32 v15, 24, v5
	v_bfe_i32 v4, v47, 0, 8
	v_bfe_i32 v5, v51, 0, 8
	;; [unrolled: 1-line block ×3, first 2 shown]
	v_cvt_f32_i32_sdwa v5, sext(v5) dst_sel:DWORD dst_unused:UNUSED_PAD src0_sel:WORD_0
	v_cvt_f32_i32_sdwa v4, sext(v4) dst_sel:DWORD dst_unused:UNUSED_PAD src0_sel:WORD_0
	;; [unrolled: 1-line block ×3, first 2 shown]
	v_lshrrev_b32_e32 v47, 8, v6
	v_bfe_i32 v51, v7, 0, 8
	v_cvt_f32_i32_sdwa v28, sext(v19) dst_sel:DWORD dst_unused:UNUSED_PAD src0_sel:WORD_0
	v_pk_fma_f32 v[0:1], v[4:5], v[14:15], v[0:1] op_sel_hi:[1,0,1]
	v_bfe_i32 v4, v55, 0, 8
	v_bfe_i32 v5, v59, 0, 8
	v_cvt_f32_i32_sdwa v5, sext(v5) dst_sel:DWORD dst_unused:UNUSED_PAD src0_sel:WORD_0
	v_cvt_f32_i32_sdwa v4, sext(v4) dst_sel:DWORD dst_unused:UNUSED_PAD src0_sel:WORD_0
	v_lshrrev_b32_e32 v19, 24, v46
	v_bfe_i32 v19, v19, 0, 8
	v_cvt_f32_i32_sdwa v46, sext(v19) dst_sel:DWORD dst_unused:UNUSED_PAD src0_sel:WORD_0
	v_pk_fma_f32 v[2:3], v[4:5], v[14:15], v[2:3] op_sel_hi:[1,0,1]
	v_lshrrev_b32_e32 v4, 8, v7
	v_lshrrev_b32_e32 v5, 16, v7
	v_bfe_i32 v59, v4, 0, 8
	v_subrev_u32_e32 v4, s18, v61
	v_bfe_i32 v60, v5, 0, 8
	v_subrev_u32_e32 v5, s18, v62
	v_lshlrev_b32_e32 v4, 2, v4
	v_lshrrev_b32_e32 v14, 24, v6
	v_lshlrev_b32_e32 v6, 2, v5
	v_ashrrev_i32_e32 v5, 31, v4
	v_add_co_u32_e32 v4, vcc, s6, v4
	v_addc_co_u32_e32 v5, vcc, v24, v5, vcc
	v_ashrrev_i32_e32 v7, 31, v6
	v_add_co_u32_e32 v6, vcc, s6, v6
	v_addc_co_u32_e32 v7, vcc, v24, v7, vcc
	global_load_dword v61, v[4:5], off
	global_load_dword v62, v[6:7], off
	v_cvt_f32_i32_sdwa v5, sext(v52) dst_sel:DWORD dst_unused:UNUSED_PAD src0_sel:WORD_0
	v_cvt_f32_i32_sdwa v4, sext(v48) dst_sel:DWORD dst_unused:UNUSED_PAD src0_sel:WORD_0
	v_bfe_i32 v47, v47, 0, 8
	v_cvt_f32_i32_sdwa v7, sext(v29) dst_sel:DWORD dst_unused:UNUSED_PAD src0_sel:WORD_0
	v_cvt_f32_i32_sdwa v6, sext(v54) dst_sel:DWORD dst_unused:UNUSED_PAD src0_sel:WORD_0
	v_bfe_i32 v58, v15, 0, 8
	v_cvt_f32_i32_sdwa v15, sext(v33) dst_sel:DWORD dst_unused:UNUSED_PAD src0_sel:WORD_0
	v_cvt_f32_i32_sdwa v33, sext(v40) dst_sel:DWORD dst_unused:UNUSED_PAD src0_sel:WORD_0
	;; [unrolled: 1-line block ×3, first 2 shown]
	v_bfe_i32 v63, v14, 0, 8
	v_cvt_f32_i32_sdwa v14, sext(v30) dst_sel:DWORD dst_unused:UNUSED_PAD src0_sel:WORD_0
	v_cvt_f32_i32_sdwa v29, sext(v38) dst_sel:DWORD dst_unused:UNUSED_PAD src0_sel:WORD_0
	v_bfe_i32 v55, v26, 0, 8
	v_cvt_f32_i32_sdwa v26, sext(v31) dst_sel:DWORD dst_unused:UNUSED_PAD src0_sel:WORD_0
	v_cvt_f32_i32_sdwa v31, sext(v39) dst_sel:DWORD dst_unused:UNUSED_PAD src0_sel:WORD_0
	;; [unrolled: 1-line block ×13, first 2 shown]
	s_waitcnt vmcnt(1)
	v_lshrrev_b32_e32 v47, 16, v61
	v_bfe_i32 v48, v61, 0, 8
	v_pk_fma_f32 v[0:1], v[4:5], v[46:47], v[0:1] op_sel_hi:[1,0,1]
	v_lshrrev_b32_e32 v4, 8, v61
	v_bfe_i32 v4, v4, 0, 8
	v_cvt_f32_i32_sdwa v52, sext(v48) dst_sel:DWORD dst_unused:UNUSED_PAD src0_sel:WORD_0
	v_lshrrev_b32_e32 v5, 24, v61
	v_pk_fma_f32 v[2:3], v[6:7], v[46:47], v[2:3] op_sel_hi:[1,0,1]
	s_waitcnt vmcnt(0)
	v_bfe_i32 v6, v62, 0, 8
	v_bfe_i32 v47, v47, 0, 8
	v_cvt_f32_i32_sdwa v4, sext(v4) dst_sel:DWORD dst_unused:UNUSED_PAD src0_sel:WORD_0
	v_lshrrev_b32_e32 v46, 24, v62
	v_bfe_i32 v5, v5, 0, 8
	v_cvt_f32_i32_sdwa v54, sext(v6) dst_sel:DWORD dst_unused:UNUSED_PAD src0_sel:WORD_0
	v_cvt_f32_i32_sdwa v6, sext(v47) dst_sel:DWORD dst_unused:UNUSED_PAD src0_sel:WORD_0
	v_lshrrev_b32_e32 v7, 8, v62
	v_bfe_i32 v53, v46, 0, 8
	v_cvt_f32_i32_sdwa v46, sext(v5) dst_sel:DWORD dst_unused:UNUSED_PAD src0_sel:WORD_0
	v_lshrrev_b32_e32 v19, 16, v62
	v_bfe_i32 v7, v7, 0, 8
	v_fma_f32 v0, v25, v52, v0
	v_fmac_f32_e32 v1, v64, v52
	v_fma_f32 v2, v65, v52, v2
	v_fmac_f32_e32 v3, v66, v52
	v_bfe_i32 v19, v19, 0, 8
	v_cvt_f32_i32_sdwa v48, sext(v7) dst_sel:DWORD dst_unused:UNUSED_PAD src0_sel:WORD_0
	v_pk_fma_f32 v[0:1], v[14:15], v[4:5], v[0:1] op_sel_hi:[1,0,1]
	v_pk_fma_f32 v[2:3], v[28:29], v[4:5], v[2:3] op_sel_hi:[1,0,1]
	v_cvt_f32_i32_sdwa v50, sext(v19) dst_sel:DWORD dst_unused:UNUSED_PAD src0_sel:WORD_0
	v_pk_fma_f32 v[0:1], v[16:17], v[6:7], v[0:1] op_sel_hi:[1,0,1]
	v_pk_fma_f32 v[2:3], v[30:31], v[6:7], v[2:3] op_sel_hi:[1,0,1]
	;; [unrolled: 3-line block ×3, first 2 shown]
	v_fma_f32 v0, v67, v54, v0
	v_fmac_f32_e32 v1, v68, v54
	v_fma_f32 v2, v49, v54, v2
	v_fmac_f32_e32 v3, v51, v54
	v_pk_fma_f32 v[0:1], v[34:35], v[48:49], v[0:1] op_sel_hi:[1,0,1]
	v_pk_fma_f32 v[2:3], v[40:41], v[48:49], v[2:3] op_sel_hi:[1,0,1]
	;; [unrolled: 1-line block ×6, first 2 shown]
	s_andn2_b64 exec, exec, s[14:15]
	s_cbranch_execnz .LBB78_21
; %bb.22:
	s_or_b64 exec, exec, s[14:15]
.LBB78_23:
	s_or_b64 exec, exec, s[10:11]
.LBB78_24:
	s_or_b64 exec, exec, s[8:9]
	s_cbranch_execz .LBB78_26
	s_branch .LBB78_37
.LBB78_25:
                                        ; implicit-def: $vgpr15
                                        ; implicit-def: $vgpr17
.LBB78_26:
	s_mov_b32 s10, 0
	v_mov_b32_e32 v15, 0
	v_mov_b32_e32 v14, 0
	;; [unrolled: 1-line block ×4, first 2 shown]
	s_and_saveexec_b64 s[8:9], s[0:1]
	s_cbranch_execz .LBB78_36
; %bb.27:
	v_add_u32_e32 v0, v23, v9
	v_subrev_u32_e32 v0, s18, v0
	v_add_u32_e32 v0, 32, v0
	v_max_i32_e32 v0, v0, v22
	v_not_b32_e32 v1, v23
	v_add3_u32 v0, v0, s18, v1
	v_sub_u32_e32 v0, v0, v9
	v_lshrrev_b32_e32 v1, 5, v0
	v_add_u32_e32 v1, 1, v1
	v_and_b32_e32 v1, 3, v1
	s_mov_b32 s11, s10
	v_cmp_ne_u32_e32 vcc, 0, v1
	v_pk_mov_b32 v[16:17], s[10:11], s[10:11] op_sel:[0,1]
	v_pk_mov_b32 v[14:15], s[10:11], s[10:11] op_sel:[0,1]
	s_and_saveexec_b64 s[0:1], vcc
	s_cbranch_execz .LBB78_31
; %bb.28:
	v_mov_b32_e32 v14, 0
	v_lshlrev_b32_e32 v1, 4, v1
	s_mov_b64 s[10:11], 0
	v_mov_b32_e32 v2, s13
	v_mov_b32_e32 v3, s7
	;; [unrolled: 1-line block ×5, first 2 shown]
.LBB78_29:                              ; =>This Inner Loop Header: Depth=1
	v_ashrrev_i32_e32 v11, 31, v10
	v_lshlrev_b64 v[4:5], 2, v[10:11]
	v_add_co_u32_e32 v18, vcc, s12, v4
	v_addc_co_u32_e32 v19, vcc, v2, v5, vcc
	global_load_dword v11, v[18:19], off
	global_load_dwordx4 v[4:7], v[12:13], off
	v_add_u32_e32 v1, -16, v1
	v_add_u32_e32 v10, 32, v10
	s_waitcnt vmcnt(1)
	v_subrev_u32_e32 v11, s18, v11
	v_lshlrev_b32_e32 v11, 2, v11
	v_ashrrev_i32_e32 v19, 31, v11
	v_add_co_u32_e32 v18, vcc, s6, v11
	v_addc_co_u32_e32 v19, vcc, v3, v19, vcc
	global_load_dword v11, v[18:19], off
	s_waitcnt vmcnt(1)
	v_lshrrev_b32_e32 v18, 8, v4
	v_lshrrev_b32_e32 v20, 16, v4
	v_bfe_i32 v19, v4, 0, 8
	v_lshrrev_b32_e32 v4, 24, v4
	v_bfe_i32 v21, v5, 0, 8
	v_lshrrev_b32_e32 v23, 8, v5
	v_lshrrev_b32_e32 v24, 16, v5
	;; [unrolled: 1-line block ×3, first 2 shown]
	v_bfe_i32 v32, v18, 0, 8
	v_bfe_i32 v33, v20, 0, 8
	v_lshrrev_b32_e32 v25, 8, v7
	v_bfe_i32 v26, v7, 0, 8
	v_lshrrev_b32_e32 v27, 16, v7
	v_lshrrev_b32_e32 v7, 24, v7
	v_bfe_i32 v34, v4, 0, 8
	v_bfe_i32 v23, v23, 0, 8
	;; [unrolled: 1-line block ×4, first 2 shown]
	v_cvt_f32_i32_sdwa v5, sext(v32) dst_sel:DWORD dst_unused:UNUSED_PAD src0_sel:WORD_0
	v_cvt_f32_i32_sdwa v24, sext(v33) dst_sel:DWORD dst_unused:UNUSED_PAD src0_sel:WORD_0
	v_lshrrev_b32_e32 v28, 8, v6
	v_bfe_i32 v29, v6, 0, 8
	v_lshrrev_b32_e32 v30, 16, v6
	v_lshrrev_b32_e32 v31, 24, v6
	v_bfe_i32 v37, v25, 0, 8
	v_bfe_i32 v39, v7, 0, 8
	v_cvt_f32_i32_sdwa v4, sext(v19) dst_sel:DWORD dst_unused:UNUSED_PAD src0_sel:WORD_0
	v_cvt_f32_i32_sdwa v25, sext(v34) dst_sel:DWORD dst_unused:UNUSED_PAD src0_sel:WORD_0
	;; [unrolled: 1-line block ×3, first 2 shown]
	v_bfe_i32 v38, v27, 0, 8
	v_cvt_f32_i32_sdwa v6, sext(v21) dst_sel:DWORD dst_unused:UNUSED_PAD src0_sel:WORD_0
	v_bfe_i32 v19, v28, 0, 8
	v_cvt_f32_i32_sdwa v18, sext(v29) dst_sel:DWORD dst_unused:UNUSED_PAD src0_sel:WORD_0
	v_cvt_f32_i32_sdwa v20, sext(v26) dst_sel:DWORD dst_unused:UNUSED_PAD src0_sel:WORD_0
	v_bfe_i32 v28, v30, 0, 8
	v_bfe_i32 v29, v31, 0, 8
	v_cvt_f32_i32_sdwa v26, sext(v35) dst_sel:DWORD dst_unused:UNUSED_PAD src0_sel:WORD_0
	v_cvt_f32_i32_sdwa v27, sext(v36) dst_sel:DWORD dst_unused:UNUSED_PAD src0_sel:WORD_0
	;; [unrolled: 1-line block ×8, first 2 shown]
	v_add_co_u32_e32 v12, vcc, 0x200, v12
	v_addc_co_u32_e32 v13, vcc, 0, v13, vcc
	v_cmp_eq_u32_e32 vcc, 0, v1
	s_or_b64 s[10:11], vcc, s[10:11]
	s_waitcnt vmcnt(0)
	v_bfe_i32 v32, v11, 0, 8
	v_lshrrev_b32_e32 v33, 8, v11
	v_lshrrev_b32_e32 v23, 16, v11
	v_bfe_i32 v33, v33, 0, 8
	v_cvt_f32_i32_sdwa v32, sext(v32) dst_sel:DWORD dst_unused:UNUSED_PAD src0_sel:WORD_0
	v_lshrrev_b32_e32 v11, 24, v11
	v_bfe_i32 v23, v23, 0, 8
	v_cvt_f32_i32_sdwa v34, sext(v33) dst_sel:DWORD dst_unused:UNUSED_PAD src0_sel:WORD_0
	v_bfe_i32 v11, v11, 0, 8
	v_cvt_f32_i32_sdwa v36, sext(v23) dst_sel:DWORD dst_unused:UNUSED_PAD src0_sel:WORD_0
	v_cvt_f32_i32_sdwa v38, sext(v11) dst_sel:DWORD dst_unused:UNUSED_PAD src0_sel:WORD_0
	v_pk_fma_f32 v[4:5], v[4:5], v[32:33], v[16:17] op_sel_hi:[1,0,1]
	v_pk_fma_f32 v[14:15], v[24:25], v[32:33], v[14:15] op_sel_hi:[1,0,1]
	;; [unrolled: 1-line block ×8, first 2 shown]
	s_andn2_b64 exec, exec, s[10:11]
	s_cbranch_execnz .LBB78_29
; %bb.30:
	s_or_b64 exec, exec, s[10:11]
.LBB78_31:
	s_or_b64 exec, exec, s[0:1]
	s_movk_i32 s0, 0x5f
	v_cmp_lt_u32_e32 vcc, s0, v0
	s_and_saveexec_b64 s[0:1], vcc
	s_cbranch_execz .LBB78_35
; %bb.32:
	s_mov_b64 s[10:11], 0
	v_mov_b32_e32 v4, s13
	v_mov_b32_e32 v5, s7
.LBB78_33:                              ; =>This Inner Loop Header: Depth=1
	v_ashrrev_i32_e32 v11, 31, v10
	v_lshlrev_b64 v[6:7], 2, v[10:11]
	global_load_dwordx4 v[0:3], v[12:13], off
	global_load_dwordx4 v[18:21], v[12:13], off offset:512
	v_add_co_u32_e32 v6, vcc, s12, v6
	v_addc_co_u32_e32 v7, vcc, v4, v7, vcc
	global_load_dwordx4 v[24:27], v[12:13], off offset:1024
	global_load_dwordx4 v[28:31], v[12:13], off offset:1536
	global_load_dword v11, v[6:7], off
	global_load_dword v23, v[6:7], off offset:128
	global_load_dword v32, v[6:7], off offset:256
	;; [unrolled: 1-line block ×3, first 2 shown]
	v_add_u32_e32 v10, 0x80, v10
	s_waitcnt vmcnt(7)
	v_lshrrev_b32_e32 v44, 8, v2
	v_bfe_i32 v45, v2, 0, 8
	v_lshrrev_b32_e32 v46, 16, v2
	v_lshrrev_b32_e32 v47, 24, v2
	s_waitcnt vmcnt(3)
	v_subrev_u32_e32 v2, s18, v11
	v_lshrrev_b32_e32 v40, 8, v3
	v_bfe_i32 v41, v3, 0, 8
	v_lshrrev_b32_e32 v42, 16, v3
	v_lshrrev_b32_e32 v43, 24, v3
	s_waitcnt vmcnt(2)
	v_subrev_u32_e32 v3, s18, v23
	v_lshlrev_b32_e32 v2, 2, v2
	v_lshlrev_b32_e32 v11, 2, v3
	v_ashrrev_i32_e32 v3, 31, v2
	v_add_co_u32_e32 v2, vcc, s6, v2
	v_addc_co_u32_e32 v3, vcc, v5, v3, vcc
	global_load_dword v23, v[2:3], off
	v_lshrrev_b32_e32 v6, 8, v0
	v_bfe_i32 v7, v0, 0, 8
	v_lshrrev_b32_e32 v34, 16, v0
	v_lshrrev_b32_e32 v35, 24, v0
	v_bfe_i32 v36, v1, 0, 8
	v_lshrrev_b32_e32 v37, 8, v1
	v_lshrrev_b32_e32 v38, 16, v1
	;; [unrolled: 1-line block ×3, first 2 shown]
	v_bfe_i32 v1, v6, 0, 8
	v_cvt_f32_i32_sdwa v0, sext(v7) dst_sel:DWORD dst_unused:UNUSED_PAD src0_sel:WORD_0
	s_waitcnt vmcnt(2)
	v_subrev_u32_e32 v6, s18, v32
	s_waitcnt vmcnt(1)
	v_subrev_u32_e32 v7, s18, v33
	v_lshrrev_b32_e32 v48, 8, v18
	v_bfe_i32 v49, v18, 0, 8
	v_lshrrev_b32_e32 v50, 16, v18
	v_lshrrev_b32_e32 v51, 24, v18
	;; [unrolled: 1-line block ×3, first 2 shown]
	v_bfe_i32 v61, v20, 0, 8
	v_lshrrev_b32_e32 v62, 16, v20
	v_lshrrev_b32_e32 v63, 24, v20
	v_lshlrev_b32_e32 v18, 2, v6
	v_lshlrev_b32_e32 v20, 2, v7
	v_ashrrev_i32_e32 v7, 31, v11
	v_add_co_u32_e32 v6, vcc, s6, v11
	v_addc_co_u32_e32 v7, vcc, v5, v7, vcc
	global_load_dword v64, v[6:7], off
	v_bfe_i32 v52, v19, 0, 8
	v_lshrrev_b32_e32 v53, 8, v19
	v_lshrrev_b32_e32 v54, 16, v19
	;; [unrolled: 1-line block ×3, first 2 shown]
	v_ashrrev_i32_e32 v19, 31, v18
	v_add_co_u32_e32 v18, vcc, s6, v18
	v_addc_co_u32_e32 v19, vcc, v5, v19, vcc
	v_lshrrev_b32_e32 v56, 8, v21
	v_bfe_i32 v57, v21, 0, 8
	v_lshrrev_b32_e32 v58, 16, v21
	v_lshrrev_b32_e32 v59, 24, v21
	v_ashrrev_i32_e32 v21, 31, v20
	v_add_co_u32_e32 v20, vcc, s6, v20
	v_addc_co_u32_e32 v21, vcc, v5, v21, vcc
	global_load_dword v65, v[18:19], off
	global_load_dword v66, v[20:21], off
	v_cvt_f32_i32_sdwa v1, sext(v1) dst_sel:DWORD dst_unused:UNUSED_PAD src0_sel:WORD_0
	v_bfe_i32 v6, v35, 0, 8
	v_cvt_f32_i32_sdwa v7, sext(v6) dst_sel:DWORD dst_unused:UNUSED_PAD src0_sel:WORD_0
	v_lshrrev_b32_e32 v11, 8, v24
	v_lshrrev_b32_e32 v19, 24, v24
	v_bfe_i32 v21, v25, 0, 8
	v_lshrrev_b32_e32 v35, 8, v26
	v_bfe_i32 v11, v11, 0, 8
	v_bfe_i32 v32, v24, 0, 8
	v_lshrrev_b32_e32 v33, 16, v24
	v_lshrrev_b32_e32 v20, 16, v25
	;; [unrolled: 1-line block ×3, first 2 shown]
	v_bfe_i32 v67, v30, 0, 8
	v_lshrrev_b32_e32 v68, 16, v30
	v_lshrrev_b32_e32 v69, 24, v30
	v_cvt_f32_i32_sdwa v18, sext(v57) dst_sel:DWORD dst_unused:UNUSED_PAD src0_sel:WORD_0
	v_bfe_i32 v33, v33, 0, 8
	v_add_co_u32_e32 v12, vcc, 0x800, v12
	v_addc_co_u32_e32 v13, vcc, 0, v13, vcc
	v_cmp_ge_i32_e32 vcc, v10, v22
	s_or_b64 s[10:11], vcc, s[10:11]
	s_waitcnt vmcnt(3)
	v_bfe_i32 v2, v23, 0, 8
	v_cvt_f32_i32_sdwa v2, sext(v2) dst_sel:DWORD dst_unused:UNUSED_PAD src0_sel:WORD_0
	v_pk_fma_f32 v[0:1], v[0:1], v[2:3], v[16:17] op_sel_hi:[1,0,1]
	v_bfe_i32 v3, v34, 0, 8
	v_cvt_f32_i32_sdwa v6, sext(v3) dst_sel:DWORD dst_unused:UNUSED_PAD src0_sel:WORD_0
	v_lshrrev_b32_e32 v34, 16, v27
	v_bfe_i32 v16, v54, 0, 8
	v_bfe_i32 v17, v55, 0, 8
	v_pk_fma_f32 v[2:3], v[6:7], v[2:3], v[14:15] op_sel_hi:[1,0,1]
	v_lshrrev_b32_e32 v14, 8, v23
	v_bfe_i32 v7, v37, 0, 8
	v_bfe_i32 v14, v14, 0, 8
	v_cvt_f32_i32_sdwa v6, sext(v36) dst_sel:DWORD dst_unused:UNUSED_PAD src0_sel:WORD_0
	v_cvt_f32_i32_sdwa v7, sext(v7) dst_sel:DWORD dst_unused:UNUSED_PAD src0_sel:WORD_0
	;; [unrolled: 1-line block ×3, first 2 shown]
	v_lshrrev_b32_e32 v15, 8, v25
	v_bfe_i32 v37, v26, 0, 8
	v_lshrrev_b32_e32 v25, 8, v27
	v_pk_fma_f32 v[0:1], v[6:7], v[14:15], v[0:1] op_sel_hi:[1,0,1]
	v_bfe_i32 v6, v38, 0, 8
	v_bfe_i32 v7, v39, 0, 8
	v_cvt_f32_i32_sdwa v6, sext(v6) dst_sel:DWORD dst_unused:UNUSED_PAD src0_sel:WORD_0
	v_cvt_f32_i32_sdwa v7, sext(v7) dst_sel:DWORD dst_unused:UNUSED_PAD src0_sel:WORD_0
	v_lshrrev_b32_e32 v38, 16, v26
	v_lshrrev_b32_e32 v39, 24, v26
	v_bfe_i32 v26, v56, 0, 8
	v_pk_fma_f32 v[2:3], v[6:7], v[14:15], v[2:3] op_sel_hi:[1,0,1]
	v_lshrrev_b32_e32 v14, 16, v23
	v_bfe_i32 v7, v44, 0, 8
	v_bfe_i32 v14, v14, 0, 8
	v_cvt_f32_i32_sdwa v6, sext(v45) dst_sel:DWORD dst_unused:UNUSED_PAD src0_sel:WORD_0
	v_cvt_f32_i32_sdwa v7, sext(v7) dst_sel:DWORD dst_unused:UNUSED_PAD src0_sel:WORD_0
	;; [unrolled: 1-line block ×3, first 2 shown]
	v_lshrrev_b32_e32 v44, 8, v28
	v_bfe_i32 v45, v28, 0, 8
	v_bfe_i32 v36, v27, 0, 8
	v_pk_fma_f32 v[0:1], v[6:7], v[14:15], v[0:1] op_sel_hi:[1,0,1]
	v_bfe_i32 v6, v46, 0, 8
	v_bfe_i32 v7, v47, 0, 8
	v_cvt_f32_i32_sdwa v7, sext(v7) dst_sel:DWORD dst_unused:UNUSED_PAD src0_sel:WORD_0
	v_cvt_f32_i32_sdwa v6, sext(v6) dst_sel:DWORD dst_unused:UNUSED_PAD src0_sel:WORD_0
	v_lshrrev_b32_e32 v46, 16, v28
	v_lshrrev_b32_e32 v47, 24, v28
	v_bfe_i32 v28, v58, 0, 8
	v_pk_fma_f32 v[2:3], v[6:7], v[14:15], v[2:3] op_sel_hi:[1,0,1]
	v_lshrrev_b32_e32 v14, 24, v23
	v_bfe_i32 v7, v40, 0, 8
	v_bfe_i32 v14, v14, 0, 8
	v_cvt_f32_i32_sdwa v6, sext(v41) dst_sel:DWORD dst_unused:UNUSED_PAD src0_sel:WORD_0
	v_cvt_f32_i32_sdwa v7, sext(v7) dst_sel:DWORD dst_unused:UNUSED_PAD src0_sel:WORD_0
	;; [unrolled: 1-line block ×3, first 2 shown]
	v_lshrrev_b32_e32 v27, 24, v27
	v_bfe_i32 v23, v29, 0, 8
	v_lshrrev_b32_e32 v40, 8, v29
	v_pk_fma_f32 v[0:1], v[6:7], v[14:15], v[0:1] op_sel_hi:[1,0,1]
	v_bfe_i32 v6, v42, 0, 8
	v_bfe_i32 v7, v43, 0, 8
	v_cvt_f32_i32_sdwa v7, sext(v7) dst_sel:DWORD dst_unused:UNUSED_PAD src0_sel:WORD_0
	v_cvt_f32_i32_sdwa v6, sext(v6) dst_sel:DWORD dst_unused:UNUSED_PAD src0_sel:WORD_0
	v_lshrrev_b32_e32 v41, 16, v29
	v_lshrrev_b32_e32 v42, 24, v29
	v_bfe_i32 v29, v59, 0, 8
	v_pk_fma_f32 v[2:3], v[6:7], v[14:15], v[2:3] op_sel_hi:[1,0,1]
	v_bfe_i32 v7, v48, 0, 8
	s_waitcnt vmcnt(2)
	v_bfe_i32 v14, v64, 0, 8
	v_cvt_f32_i32_sdwa v6, sext(v49) dst_sel:DWORD dst_unused:UNUSED_PAD src0_sel:WORD_0
	v_cvt_f32_i32_sdwa v7, sext(v7) dst_sel:DWORD dst_unused:UNUSED_PAD src0_sel:WORD_0
	;; [unrolled: 1-line block ×3, first 2 shown]
	v_bfe_i32 v54, v15, 0, 8
	v_bfe_i32 v49, v31, 0, 8
	;; [unrolled: 1-line block ×3, first 2 shown]
	v_pk_fma_f32 v[0:1], v[6:7], v[14:15], v[0:1] op_sel_hi:[1,0,1]
	v_bfe_i32 v6, v50, 0, 8
	v_bfe_i32 v7, v51, 0, 8
	v_cvt_f32_i32_sdwa v7, sext(v7) dst_sel:DWORD dst_unused:UNUSED_PAD src0_sel:WORD_0
	v_cvt_f32_i32_sdwa v6, sext(v6) dst_sel:DWORD dst_unused:UNUSED_PAD src0_sel:WORD_0
	v_lshrrev_b32_e32 v51, 8, v30
	v_bfe_i32 v30, v60, 0, 8
	v_bfe_i32 v59, v27, 0, 8
	v_pk_fma_f32 v[2:3], v[6:7], v[14:15], v[2:3] op_sel_hi:[1,0,1]
	v_bfe_i32 v7, v53, 0, 8
	v_cvt_f32_i32_sdwa v6, sext(v52) dst_sel:DWORD dst_unused:UNUSED_PAD src0_sel:WORD_0
	v_bfe_i32 v52, v63, 0, 8
	v_bfe_i32 v53, v19, 0, 8
	v_cvt_f32_i32_sdwa v19, sext(v26) dst_sel:DWORD dst_unused:UNUSED_PAD src0_sel:WORD_0
	v_cvt_f32_i32_sdwa v26, sext(v28) dst_sel:DWORD dst_unused:UNUSED_PAD src0_sel:WORD_0
	;; [unrolled: 1-line block ×4, first 2 shown]
	v_bfe_i32 v11, v38, 0, 8
	v_cvt_f32_i32_sdwa v25, sext(v52) dst_sel:DWORD dst_unused:UNUSED_PAD src0_sel:WORD_0
	v_cvt_f32_i32_sdwa v27, sext(v29) dst_sel:DWORD dst_unused:UNUSED_PAD src0_sel:WORD_0
	v_bfe_i32 v52, v35, 0, 8
	v_cvt_f32_i32_sdwa v29, sext(v54) dst_sel:DWORD dst_unused:UNUSED_PAD src0_sel:WORD_0
	v_bfe_i32 v54, v40, 0, 8
	;; [unrolled: 2-line block ×3, first 2 shown]
	v_cvt_f32_i32_sdwa v15, sext(v30) dst_sel:DWORD dst_unused:UNUSED_PAD src0_sel:WORD_0
	v_cvt_f32_i32_sdwa v30, sext(v33) dst_sel:DWORD dst_unused:UNUSED_PAD src0_sel:WORD_0
	;; [unrolled: 1-line block ×5, first 2 shown]
	v_lshrrev_b32_e32 v11, 8, v64
	v_bfe_i32 v56, v24, 0, 8
	v_bfe_i32 v58, v34, 0, 8
	;; [unrolled: 1-line block ×3, first 2 shown]
	v_cvt_f32_i32_sdwa v7, sext(v7) dst_sel:DWORD dst_unused:UNUSED_PAD src0_sel:WORD_0
	v_cvt_f32_i32_sdwa v35, sext(v56) dst_sel:DWORD dst_unused:UNUSED_PAD src0_sel:WORD_0
	v_bfe_i32 v56, v42, 0, 8
	v_cvt_f32_i32_sdwa v42, sext(v58) dst_sel:DWORD dst_unused:UNUSED_PAD src0_sel:WORD_0
	v_cvt_f32_i32_sdwa v58, sext(v11) dst_sel:DWORD dst_unused:UNUSED_PAD src0_sel:WORD_0
	v_lshrrev_b32_e32 v43, 8, v31
	v_lshrrev_b32_e32 v48, 16, v31
	;; [unrolled: 1-line block ×3, first 2 shown]
	v_pk_fma_f32 v[0:1], v[6:7], v[58:59], v[0:1] op_sel_hi:[1,0,1]
	v_lshrrev_b32_e32 v6, 16, v64
	v_bfe_i32 v6, v6, 0, 8
	v_cvt_f32_i32_sdwa v14, sext(v61) dst_sel:DWORD dst_unused:UNUSED_PAD src0_sel:WORD_0
	v_cvt_f32_i32_sdwa v16, sext(v16) dst_sel:DWORD dst_unused:UNUSED_PAD src0_sel:WORD_0
	;; [unrolled: 1-line block ×3, first 2 shown]
	v_bfe_i32 v31, v62, 0, 8
	v_cvt_f32_i32_sdwa v6, sext(v6) dst_sel:DWORD dst_unused:UNUSED_PAD src0_sel:WORD_0
	v_cvt_f32_i32_sdwa v24, sext(v31) dst_sel:DWORD dst_unused:UNUSED_PAD src0_sel:WORD_0
	v_lshrrev_b32_e32 v7, 24, v64
	v_pk_fma_f32 v[2:3], v[16:17], v[58:59], v[2:3] op_sel_hi:[1,0,1]
	s_waitcnt vmcnt(1)
	v_bfe_i32 v16, v65, 0, 8
	v_pk_fma_f32 v[0:1], v[14:15], v[6:7], v[0:1] op_sel_hi:[1,0,1]
	v_bfe_i32 v7, v7, 0, 8
	v_pk_fma_f32 v[2:3], v[24:25], v[6:7], v[2:3] op_sel_hi:[1,0,1]
	v_cvt_f32_i32_sdwa v6, sext(v16) dst_sel:DWORD dst_unused:UNUSED_PAD src0_sel:WORD_0
	v_cvt_f32_i32_sdwa v16, sext(v7) dst_sel:DWORD dst_unused:UNUSED_PAD src0_sel:WORD_0
	v_bfe_i32 v55, v20, 0, 8
	v_lshrrev_b32_e32 v17, 8, v65
	v_cvt_f32_i32_sdwa v20, sext(v32) dst_sel:DWORD dst_unused:UNUSED_PAD src0_sel:WORD_0
	v_cvt_f32_i32_sdwa v31, sext(v53) dst_sel:DWORD dst_unused:UNUSED_PAD src0_sel:WORD_0
	;; [unrolled: 1-line block ×3, first 2 shown]
	v_bfe_i32 v53, v44, 0, 8
	v_bfe_i32 v55, v41, 0, 8
	v_cvt_f32_i32_sdwa v38, sext(v45) dst_sel:DWORD dst_unused:UNUSED_PAD src0_sel:WORD_0
	v_cvt_f32_i32_sdwa v44, sext(v23) dst_sel:DWORD dst_unused:UNUSED_PAD src0_sel:WORD_0
	;; [unrolled: 1-line block ×3, first 2 shown]
	v_bfe_i32 v23, v68, 0, 8
	v_bfe_i32 v54, v69, 0, 8
	v_lshrrev_b32_e32 v11, 16, v65
	v_bfe_i32 v17, v17, 0, 8
	v_bfe_i32 v39, v39, 0, 8
	;; [unrolled: 1-line block ×3, first 2 shown]
	v_cvt_f32_i32_sdwa v50, sext(v55) dst_sel:DWORD dst_unused:UNUSED_PAD src0_sel:WORD_0
	v_cvt_f32_i32_sdwa v55, sext(v54) dst_sel:DWORD dst_unused:UNUSED_PAD src0_sel:WORD_0
	v_cvt_f32_i32_sdwa v54, sext(v23) dst_sel:DWORD dst_unused:UNUSED_PAD src0_sel:WORD_0
	v_lshrrev_b32_e32 v23, 24, v65
	v_bfe_i32 v11, v11, 0, 8
	v_cvt_f32_i32_sdwa v24, sext(v17) dst_sel:DWORD dst_unused:UNUSED_PAD src0_sel:WORD_0
	v_cvt_f32_i32_sdwa v32, sext(v37) dst_sel:DWORD dst_unused:UNUSED_PAD src0_sel:WORD_0
	v_cvt_f32_i32_sdwa v41, sext(v39) dst_sel:DWORD dst_unused:UNUSED_PAD src0_sel:WORD_0
	s_waitcnt vmcnt(0)
	v_lshrrev_b32_e32 v58, 16, v66
	v_bfe_i32 v23, v23, 0, 8
	v_pk_fma_f32 v[0:1], v[18:19], v[16:17], v[0:1] op_sel_hi:[1,0,1]
	v_cvt_f32_i32_sdwa v18, sext(v11) dst_sel:DWORD dst_unused:UNUSED_PAD src0_sel:WORD_0
	v_cvt_f32_i32_sdwa v36, sext(v36) dst_sel:DWORD dst_unused:UNUSED_PAD src0_sel:WORD_0
	v_bfe_i32 v46, v46, 0, 8
	v_bfe_i32 v47, v47, 0, 8
	;; [unrolled: 1-line block ×3, first 2 shown]
	v_cvt_f32_i32_sdwa v37, sext(v57) dst_sel:DWORD dst_unused:UNUSED_PAD src0_sel:WORD_0
	v_cvt_f32_i32_sdwa v43, sext(v59) dst_sel:DWORD dst_unused:UNUSED_PAD src0_sel:WORD_0
	v_bfe_i32 v14, v66, 0, 8
	v_lshrrev_b32_e32 v15, 8, v66
	v_bfe_i32 v25, v58, 0, 8
	v_cvt_f32_i32_sdwa v58, sext(v23) dst_sel:DWORD dst_unused:UNUSED_PAD src0_sel:WORD_0
	v_pk_fma_f32 v[2:3], v[26:27], v[16:17], v[2:3] op_sel_hi:[1,0,1]
	v_cvt_f32_i32_sdwa v39, sext(v53) dst_sel:DWORD dst_unused:UNUSED_PAD src0_sel:WORD_0
	v_cvt_f32_i32_sdwa v47, sext(v47) dst_sel:DWORD dst_unused:UNUSED_PAD src0_sel:WORD_0
	;; [unrolled: 1-line block ×3, first 2 shown]
	v_bfe_i32 v15, v15, 0, 8
	v_cvt_f32_i32_sdwa v14, sext(v14) dst_sel:DWORD dst_unused:UNUSED_PAD src0_sel:WORD_0
	v_pk_fma_f32 v[0:1], v[20:21], v[6:7], v[0:1] op_sel_hi:[1,0,1]
	v_pk_fma_f32 v[2:3], v[30:31], v[6:7], v[2:3] op_sel_hi:[1,0,1]
	v_cvt_f32_i32_sdwa v51, sext(v56) dst_sel:DWORD dst_unused:UNUSED_PAD src0_sel:WORD_0
	v_lshrrev_b32_e32 v59, 24, v66
	v_cvt_f32_i32_sdwa v16, sext(v15) dst_sel:DWORD dst_unused:UNUSED_PAD src0_sel:WORD_0
	v_pk_fma_f32 v[0:1], v[28:29], v[24:25], v[0:1] op_sel_hi:[1,0,1]
	v_pk_fma_f32 v[2:3], v[34:35], v[24:25], v[2:3] op_sel_hi:[1,0,1]
	v_bfe_i32 v61, v48, 0, 8
	v_cvt_f32_i32_sdwa v48, sext(v67) dst_sel:DWORD dst_unused:UNUSED_PAD src0_sel:WORD_0
	v_bfe_i32 v59, v59, 0, 8
	v_cvt_f32_i32_sdwa v26, sext(v25) dst_sel:DWORD dst_unused:UNUSED_PAD src0_sel:WORD_0
	v_pk_fma_f32 v[0:1], v[32:33], v[18:19], v[0:1] op_sel_hi:[1,0,1]
	v_pk_fma_f32 v[2:3], v[40:41], v[18:19], v[2:3] op_sel_hi:[1,0,1]
	v_cvt_f32_i32_sdwa v53, sext(v60) dst_sel:DWORD dst_unused:UNUSED_PAD src0_sel:WORD_0
	v_cvt_f32_i32_sdwa v57, sext(v62) dst_sel:DWORD dst_unused:UNUSED_PAD src0_sel:WORD_0
	;; [unrolled: 1-line block ×4, first 2 shown]
	v_pk_fma_f32 v[0:1], v[36:37], v[58:59], v[0:1] op_sel_hi:[1,0,1]
	v_pk_fma_f32 v[2:3], v[42:43], v[58:59], v[2:3] op_sel_hi:[1,0,1]
	;; [unrolled: 1-line block ×10, first 2 shown]
	s_andn2_b64 exec, exec, s[10:11]
	s_cbranch_execnz .LBB78_33
; %bb.34:
	s_or_b64 exec, exec, s[10:11]
.LBB78_35:
	s_or_b64 exec, exec, s[0:1]
.LBB78_36:
	s_or_b64 exec, exec, s[8:9]
.LBB78_37:
	v_mov_b32_dpp v0, v16 row_shr:1 row_mask:0xf bank_mask:0xf
	v_mov_b32_dpp v1, v17 row_shr:1 row_mask:0xf bank_mask:0xf
	;; [unrolled: 1-line block ×4, first 2 shown]
	v_pk_add_f32 v[0:1], v[16:17], v[0:1]
	v_pk_add_f32 v[4:5], v[14:15], v[4:5]
	v_cmp_eq_u32_e32 vcc, 31, v9
	v_mov_b32_dpp v2, v0 row_shr:2 row_mask:0xf bank_mask:0xf
	v_mov_b32_dpp v3, v1 row_shr:2 row_mask:0xf bank_mask:0xf
	v_mov_b32_dpp v6, v4 row_shr:2 row_mask:0xf bank_mask:0xf
	v_mov_b32_dpp v7, v5 row_shr:2 row_mask:0xf bank_mask:0xf
	v_pk_add_f32 v[0:1], v[0:1], v[2:3]
	v_pk_add_f32 v[4:5], v[4:5], v[6:7]
	s_nop 0
	v_mov_b32_dpp v2, v0 row_shr:4 row_mask:0xf bank_mask:0xe
	v_mov_b32_dpp v3, v1 row_shr:4 row_mask:0xf bank_mask:0xe
	v_mov_b32_dpp v6, v4 row_shr:4 row_mask:0xf bank_mask:0xe
	v_mov_b32_dpp v7, v5 row_shr:4 row_mask:0xf bank_mask:0xe
	v_pk_add_f32 v[0:1], v[0:1], v[2:3]
	v_pk_add_f32 v[4:5], v[4:5], v[6:7]
	s_nop 0
	;; [unrolled: 7-line block ×3, first 2 shown]
	v_mov_b32_dpp v2, v0 row_bcast:15 row_mask:0xa bank_mask:0xf
	v_mov_b32_dpp v3, v1 row_bcast:15 row_mask:0xa bank_mask:0xf
	;; [unrolled: 1-line block ×4, first 2 shown]
	s_and_b64 exec, exec, vcc
	s_cbranch_execz .LBB78_10
; %bb.38:
	s_load_dwordx2 s[0:1], s[4:5], 0x50
	v_cmp_eq_f32_e64 s[4:5], s16, 0
	v_pk_add_f32 v[2:3], v[0:1], v[2:3]
	v_pk_add_f32 v[0:1], v[4:5], v[6:7]
	s_and_b64 vcc, exec, s[4:5]
	v_lshlrev_b32_e32 v4, 2, v8
	s_cbranch_vccz .LBB78_40
; %bb.39:
	v_ashrrev_i32_e32 v5, 31, v4
	v_lshlrev_b64 v[6:7], 2, v[4:5]
	s_waitcnt lgkmcnt(0)
	v_mov_b32_e32 v5, s1
	v_add_co_u32_e32 v10, vcc, s0, v6
	v_addc_co_u32_e32 v11, vcc, v5, v7, vcc
	v_pk_mul_f32 v[6:7], s[2:3], v[2:3] op_sel_hi:[0,1]
	v_pk_mul_f32 v[8:9], s[2:3], v[0:1] op_sel_hi:[0,1]
	global_store_dwordx4 v[10:11], v[6:9], off
	s_cbranch_execnz .LBB78_10
	s_branch .LBB78_41
.LBB78_40:
.LBB78_41:
	v_ashrrev_i32_e32 v5, 31, v4
	v_lshlrev_b64 v[4:5], 2, v[4:5]
	s_waitcnt lgkmcnt(0)
	v_mov_b32_e32 v6, s1
	v_add_co_u32_e32 v8, vcc, s0, v4
	v_addc_co_u32_e32 v9, vcc, v6, v5, vcc
	global_load_dwordx4 v[4:7], v[8:9], off
	v_pk_mul_f32 v[2:3], s[2:3], v[2:3] op_sel_hi:[0,1]
	v_pk_mul_f32 v[10:11], s[2:3], v[0:1] op_sel_hi:[0,1]
	s_waitcnt vmcnt(0)
	v_pk_fma_f32 v[0:1], s[16:17], v[4:5], v[2:3] op_sel_hi:[0,1,1]
	v_pk_fma_f32 v[2:3], s[16:17], v[6:7], v[10:11] op_sel_hi:[0,1,1]
	global_store_dwordx4 v[8:9], v[0:3], off
	s_endpgm
	.section	.rodata,"a",@progbits
	.p2align	6, 0x0
	.amdhsa_kernel _ZN9rocsparseL18bsrxmvn_4x4_kernelILj128ELj32EfiiaafEEvT3_20rocsparse_direction_NS_24const_host_device_scalarIT1_EES1_PKS1_PKT2_SA_S7_PKT4_PKT5_S5_PT6_21rocsparse_index_base_b
		.amdhsa_group_segment_fixed_size 0
		.amdhsa_private_segment_fixed_size 0
		.amdhsa_kernarg_size 96
		.amdhsa_user_sgpr_count 6
		.amdhsa_user_sgpr_private_segment_buffer 1
		.amdhsa_user_sgpr_dispatch_ptr 0
		.amdhsa_user_sgpr_queue_ptr 0
		.amdhsa_user_sgpr_kernarg_segment_ptr 1
		.amdhsa_user_sgpr_dispatch_id 0
		.amdhsa_user_sgpr_flat_scratch_init 0
		.amdhsa_user_sgpr_kernarg_preload_length 0
		.amdhsa_user_sgpr_kernarg_preload_offset 0
		.amdhsa_user_sgpr_private_segment_size 0
		.amdhsa_uses_dynamic_stack 0
		.amdhsa_system_sgpr_private_segment_wavefront_offset 0
		.amdhsa_system_sgpr_workgroup_id_x 1
		.amdhsa_system_sgpr_workgroup_id_y 0
		.amdhsa_system_sgpr_workgroup_id_z 0
		.amdhsa_system_sgpr_workgroup_info 0
		.amdhsa_system_vgpr_workitem_id 0
		.amdhsa_next_free_vgpr 70
		.amdhsa_next_free_sgpr 20
		.amdhsa_accum_offset 72
		.amdhsa_reserve_vcc 1
		.amdhsa_reserve_flat_scratch 0
		.amdhsa_float_round_mode_32 0
		.amdhsa_float_round_mode_16_64 0
		.amdhsa_float_denorm_mode_32 3
		.amdhsa_float_denorm_mode_16_64 3
		.amdhsa_dx10_clamp 1
		.amdhsa_ieee_mode 1
		.amdhsa_fp16_overflow 0
		.amdhsa_tg_split 0
		.amdhsa_exception_fp_ieee_invalid_op 0
		.amdhsa_exception_fp_denorm_src 0
		.amdhsa_exception_fp_ieee_div_zero 0
		.amdhsa_exception_fp_ieee_overflow 0
		.amdhsa_exception_fp_ieee_underflow 0
		.amdhsa_exception_fp_ieee_inexact 0
		.amdhsa_exception_int_div_zero 0
	.end_amdhsa_kernel
	.section	.text._ZN9rocsparseL18bsrxmvn_4x4_kernelILj128ELj32EfiiaafEEvT3_20rocsparse_direction_NS_24const_host_device_scalarIT1_EES1_PKS1_PKT2_SA_S7_PKT4_PKT5_S5_PT6_21rocsparse_index_base_b,"axG",@progbits,_ZN9rocsparseL18bsrxmvn_4x4_kernelILj128ELj32EfiiaafEEvT3_20rocsparse_direction_NS_24const_host_device_scalarIT1_EES1_PKS1_PKT2_SA_S7_PKT4_PKT5_S5_PT6_21rocsparse_index_base_b,comdat
.Lfunc_end78:
	.size	_ZN9rocsparseL18bsrxmvn_4x4_kernelILj128ELj32EfiiaafEEvT3_20rocsparse_direction_NS_24const_host_device_scalarIT1_EES1_PKS1_PKT2_SA_S7_PKT4_PKT5_S5_PT6_21rocsparse_index_base_b, .Lfunc_end78-_ZN9rocsparseL18bsrxmvn_4x4_kernelILj128ELj32EfiiaafEEvT3_20rocsparse_direction_NS_24const_host_device_scalarIT1_EES1_PKS1_PKT2_SA_S7_PKT4_PKT5_S5_PT6_21rocsparse_index_base_b
                                        ; -- End function
	.section	.AMDGPU.csdata,"",@progbits
; Kernel info:
; codeLenInByte = 6484
; NumSgprs: 24
; NumVgprs: 70
; NumAgprs: 0
; TotalNumVgprs: 70
; ScratchSize: 0
; MemoryBound: 0
; FloatMode: 240
; IeeeMode: 1
; LDSByteSize: 0 bytes/workgroup (compile time only)
; SGPRBlocks: 2
; VGPRBlocks: 8
; NumSGPRsForWavesPerEU: 24
; NumVGPRsForWavesPerEU: 70
; AccumOffset: 72
; Occupancy: 7
; WaveLimiterHint : 1
; COMPUTE_PGM_RSRC2:SCRATCH_EN: 0
; COMPUTE_PGM_RSRC2:USER_SGPR: 6
; COMPUTE_PGM_RSRC2:TRAP_HANDLER: 0
; COMPUTE_PGM_RSRC2:TGID_X_EN: 1
; COMPUTE_PGM_RSRC2:TGID_Y_EN: 0
; COMPUTE_PGM_RSRC2:TGID_Z_EN: 0
; COMPUTE_PGM_RSRC2:TIDIG_COMP_CNT: 0
; COMPUTE_PGM_RSRC3_GFX90A:ACCUM_OFFSET: 17
; COMPUTE_PGM_RSRC3_GFX90A:TG_SPLIT: 0
	.section	.text._ZN9rocsparseL18bsrxmvn_4x4_kernelILj128ELj64EfiiaafEEvT3_20rocsparse_direction_NS_24const_host_device_scalarIT1_EES1_PKS1_PKT2_SA_S7_PKT4_PKT5_S5_PT6_21rocsparse_index_base_b,"axG",@progbits,_ZN9rocsparseL18bsrxmvn_4x4_kernelILj128ELj64EfiiaafEEvT3_20rocsparse_direction_NS_24const_host_device_scalarIT1_EES1_PKS1_PKT2_SA_S7_PKT4_PKT5_S5_PT6_21rocsparse_index_base_b,comdat
	.globl	_ZN9rocsparseL18bsrxmvn_4x4_kernelILj128ELj64EfiiaafEEvT3_20rocsparse_direction_NS_24const_host_device_scalarIT1_EES1_PKS1_PKT2_SA_S7_PKT4_PKT5_S5_PT6_21rocsparse_index_base_b ; -- Begin function _ZN9rocsparseL18bsrxmvn_4x4_kernelILj128ELj64EfiiaafEEvT3_20rocsparse_direction_NS_24const_host_device_scalarIT1_EES1_PKS1_PKT2_SA_S7_PKT4_PKT5_S5_PT6_21rocsparse_index_base_b
	.p2align	8
	.type	_ZN9rocsparseL18bsrxmvn_4x4_kernelILj128ELj64EfiiaafEEvT3_20rocsparse_direction_NS_24const_host_device_scalarIT1_EES1_PKS1_PKT2_SA_S7_PKT4_PKT5_S5_PT6_21rocsparse_index_base_b,@function
_ZN9rocsparseL18bsrxmvn_4x4_kernelILj128ELj64EfiiaafEEvT3_20rocsparse_direction_NS_24const_host_device_scalarIT1_EES1_PKS1_PKT2_SA_S7_PKT4_PKT5_S5_PT6_21rocsparse_index_base_b: ; @_ZN9rocsparseL18bsrxmvn_4x4_kernelILj128ELj64EfiiaafEEvT3_20rocsparse_direction_NS_24const_host_device_scalarIT1_EES1_PKS1_PKT2_SA_S7_PKT4_PKT5_S5_PT6_21rocsparse_index_base_b
; %bb.0:
	s_load_dwordx2 s[18:19], s[4:5], 0x58
	s_load_dwordx2 s[2:3], s[4:5], 0x8
	;; [unrolled: 1-line block ×3, first 2 shown]
	s_waitcnt lgkmcnt(0)
	s_bitcmp1_b32 s19, 0
	s_cselect_b64 s[8:9], -1, 0
	s_xor_b64 s[0:1], s[8:9], -1
	s_and_b64 vcc, exec, s[8:9]
	s_cbranch_vccnz .LBB79_2
; %bb.1:
	s_load_dword s2, s[2:3], 0x0
.LBB79_2:
	s_andn2_b64 vcc, exec, s[0:1]
	s_cbranch_vccnz .LBB79_4
; %bb.3:
	s_load_dword s16, s[16:17], 0x0
.LBB79_4:
	s_waitcnt lgkmcnt(0)
	v_cmp_neq_f32_e64 s[0:1], s2, 0
	v_cmp_neq_f32_e64 s[8:9], s16, 1.0
	s_or_b64 s[0:1], s[0:1], s[8:9]
	s_andn2_b64 vcc, exec, s[0:1]
	s_cbranch_vccnz .LBB79_10
; %bb.5:
	s_load_dwordx2 s[8:9], s[4:5], 0x18
	s_load_dwordx2 s[0:1], s[4:5], 0x0
	v_lshrrev_b32_e32 v1, 6, v0
	v_lshl_or_b32 v12, s6, 1, v1
	s_mov_b64 s[6:7], 0
	s_waitcnt lgkmcnt(0)
	s_cmp_lg_u64 s[8:9], 0
	s_cbranch_scc0 .LBB79_11
; %bb.6:
	s_load_dword s3, s[4:5], 0x10
                                        ; implicit-def: $vgpr1
	s_waitcnt lgkmcnt(0)
	v_cmp_gt_i32_e32 vcc, s3, v12
	s_and_saveexec_b64 s[10:11], vcc
	s_xor_b64 s[10:11], exec, s[10:11]
	s_cbranch_execz .LBB79_8
; %bb.7:
	v_ashrrev_i32_e32 v13, 31, v12
	v_lshlrev_b64 v[2:3], 2, v[12:13]
	v_mov_b32_e32 v1, s9
	v_add_co_u32_e32 v2, vcc, s8, v2
	v_addc_co_u32_e32 v3, vcc, v1, v3, vcc
	global_load_dword v1, v[2:3], off
	s_mov_b64 s[6:7], exec
	s_waitcnt vmcnt(0)
	v_subrev_u32_e32 v1, s18, v1
.LBB79_8:
	s_or_b64 exec, exec, s[10:11]
	s_branch .LBB79_12
.LBB79_9:
	v_cmp_gt_i32_e32 vcc, s0, v12
	s_andn2_b64 s[6:7], s[6:7], exec
	s_and_b64 s[8:9], vcc, exec
	s_or_b64 s[6:7], s[6:7], s[8:9]
	s_and_saveexec_b64 s[8:9], s[6:7]
	s_cbranch_execnz .LBB79_13
.LBB79_10:
	s_endpgm
.LBB79_11:
                                        ; implicit-def: $vgpr1
	s_cbranch_execnz .LBB79_9
.LBB79_12:
	v_mov_b32_e32 v12, v1
	s_and_saveexec_b64 s[8:9], s[6:7]
	s_cbranch_execz .LBB79_10
.LBB79_13:
	s_load_dwordx8 s[8:15], s[4:5], 0x20
	v_ashrrev_i32_e32 v13, 31, v12
	v_lshlrev_b64 v[2:3], 2, v[12:13]
	v_and_b32_e32 v13, 63, v0
	s_load_dwordx2 s[6:7], s[4:5], 0x40
	s_waitcnt lgkmcnt(0)
	v_mov_b32_e32 v1, s9
	v_add_co_u32_e32 v4, vcc, s8, v2
	v_addc_co_u32_e32 v5, vcc, v1, v3, vcc
	v_add_co_u32_e32 v1, vcc, 4, v4
	global_load_dword v27, v[4:5], off
	v_addc_co_u32_e32 v4, vcc, 0, v5, vcc
	v_mov_b32_e32 v5, s11
	v_add_co_u32_e32 v2, vcc, s10, v2
	s_cmp_eq_u64 s[10:11], 0
	v_addc_co_u32_e32 v3, vcc, v5, v3, vcc
	s_cselect_b64 vcc, -1, 0
	v_cndmask_b32_e32 v3, v3, v4, vcc
	v_cndmask_b32_e32 v2, v2, v1, vcc
	global_load_dword v1, v[2:3], off
	v_mov_b32_e32 v2, s15
	s_cmp_eq_u32 s1, 1
	s_waitcnt vmcnt(1)
	v_subrev_u32_e32 v0, s18, v27
	v_add_u32_e32 v14, v0, v13
	v_ashrrev_i32_e32 v15, 31, v14
	s_waitcnt vmcnt(0)
	v_subrev_u32_e32 v26, s18, v1
	v_lshlrev_b64 v[0:1], 4, v[14:15]
	v_add_co_u32_e32 v16, vcc, s14, v0
	v_addc_co_u32_e32 v17, vcc, v2, v1, vcc
	v_cmp_lt_i32_e64 s[0:1], v14, v26
	s_cbranch_scc1 .LBB79_25
; %bb.14:
	v_mov_b32_e32 v19, 0
	v_mov_b32_e32 v18, 0
	;; [unrolled: 1-line block ×4, first 2 shown]
	s_and_saveexec_b64 s[8:9], s[0:1]
	s_cbranch_execz .LBB79_24
; %bb.15:
	v_add_u32_e32 v0, v27, v13
	v_subrev_u32_e32 v0, s18, v0
	v_add_u32_e32 v0, 64, v0
	v_max_i32_e32 v0, v0, v26
	v_not_b32_e32 v1, v27
	v_add3_u32 v0, v0, s18, v1
	v_sub_u32_e32 v0, v0, v13
	v_lshrrev_b32_e32 v1, 6, v0
	v_add_u32_e32 v1, 1, v1
	v_and_b32_e32 v1, 3, v1
	v_mov_b32_e32 v20, 0
	v_cmp_ne_u32_e32 vcc, 0, v1
	v_mov_b32_e32 v21, v20
	v_mov_b32_e32 v18, v20
	;; [unrolled: 1-line block ×4, first 2 shown]
	v_pk_mov_b32 v[24:25], v[16:17], v[16:17] op_sel:[0,1]
	s_and_saveexec_b64 s[10:11], vcc
	s_cbranch_execz .LBB79_19
; %bb.16:
	v_mov_b32_e32 v19, 0
	v_lshlrev_b32_e32 v1, 4, v1
	s_mov_b64 s[14:15], 0
	v_mov_b32_e32 v2, s13
	v_mov_b32_e32 v3, s7
	v_pk_mov_b32 v[24:25], v[16:17], v[16:17] op_sel:[0,1]
	v_mov_b32_e32 v22, v14
	v_mov_b32_e32 v18, v19
	v_mov_b32_e32 v21, v19
	v_mov_b32_e32 v20, v19
.LBB79_17:                              ; =>This Inner Loop Header: Depth=1
	v_ashrrev_i32_e32 v23, 31, v22
	v_lshlrev_b64 v[4:5], 2, v[22:23]
	v_add_co_u32_e32 v8, vcc, s12, v4
	v_addc_co_u32_e32 v9, vcc, v2, v5, vcc
	global_load_dword v10, v[8:9], off
	global_load_dwordx4 v[4:7], v[24:25], off
	v_add_u32_e32 v1, -16, v1
	v_add_u32_e32 v22, 64, v22
	s_waitcnt vmcnt(1)
	v_subrev_u32_e32 v8, s18, v10
	v_lshlrev_b32_e32 v8, 2, v8
	v_ashrrev_i32_e32 v9, 31, v8
	v_add_co_u32_e32 v8, vcc, s6, v8
	v_addc_co_u32_e32 v9, vcc, v3, v9, vcc
	global_load_dword v15, v[8:9], off
	s_waitcnt vmcnt(1)
	v_bfe_i32 v8, v4, 0, 8
	v_lshrrev_b32_e32 v9, 8, v4
	v_lshrrev_b32_e32 v10, 16, v4
	;; [unrolled: 1-line block ×7, first 2 shown]
	v_bfe_i32 v29, v6, 0, 8
	v_lshrrev_b32_e32 v6, 24, v6
	v_lshrrev_b32_e32 v34, 16, v7
	v_bfe_i32 v35, v4, 0, 8
	v_bfe_i32 v30, v30, 0, 8
	;; [unrolled: 1-line block ×5, first 2 shown]
	v_lshrrev_b32_e32 v23, 8, v5
	v_lshrrev_b32_e32 v5, 24, v5
	v_bfe_i32 v32, v7, 0, 8
	v_bfe_i32 v9, v9, 0, 8
	;; [unrolled: 1-line block ×5, first 2 shown]
	v_cvt_f32_i32_sdwa v39, sext(v8) dst_sel:DWORD dst_unused:UNUSED_PAD src0_sel:WORD_0
	v_cvt_f32_i32_sdwa v6, sext(v35) dst_sel:DWORD dst_unused:UNUSED_PAD src0_sel:WORD_0
	;; [unrolled: 1-line block ×5, first 2 shown]
	v_bfe_i32 v23, v23, 0, 8
	v_bfe_i32 v36, v5, 0, 8
	v_cvt_f32_i32_sdwa v40, sext(v11) dst_sel:DWORD dst_unused:UNUSED_PAD src0_sel:WORD_0
	v_cvt_f32_i32_sdwa v29, sext(v29) dst_sel:DWORD dst_unused:UNUSED_PAD src0_sel:WORD_0
	;; [unrolled: 1-line block ×6, first 2 shown]
	v_lshrrev_b32_e32 v7, 24, v7
	v_bfe_i32 v10, v10, 0, 8
	v_cvt_f32_i32_sdwa v23, sext(v23) dst_sel:DWORD dst_unused:UNUSED_PAD src0_sel:WORD_0
	v_bfe_i32 v38, v7, 0, 8
	v_cvt_f32_i32_sdwa v4, sext(v10) dst_sel:DWORD dst_unused:UNUSED_PAD src0_sel:WORD_0
	v_cvt_f32_i32_sdwa v7, sext(v36) dst_sel:DWORD dst_unused:UNUSED_PAD src0_sel:WORD_0
	;; [unrolled: 1-line block ×4, first 2 shown]
	v_add_co_u32_e32 v24, vcc, 0x400, v24
	v_addc_co_u32_e32 v25, vcc, 0, v25, vcc
	v_cmp_eq_u32_e32 vcc, 0, v1
	s_or_b64 s[14:15], vcc, s[14:15]
	s_waitcnt vmcnt(0)
	v_bfe_i32 v30, v15, 0, 8
	v_lshrrev_b32_e32 v33, 8, v15
	v_lshrrev_b32_e32 v28, 16, v15
	v_bfe_i32 v33, v33, 0, 8
	v_cvt_f32_i32_sdwa v34, sext(v30) dst_sel:DWORD dst_unused:UNUSED_PAD src0_sel:WORD_0
	v_lshrrev_b32_e32 v15, 24, v15
	v_bfe_i32 v28, v28, 0, 8
	v_cvt_f32_i32_sdwa v33, sext(v33) dst_sel:DWORD dst_unused:UNUSED_PAD src0_sel:WORD_0
	v_bfe_i32 v15, v15, 0, 8
	v_cvt_f32_i32_sdwa v28, sext(v28) dst_sel:DWORD dst_unused:UNUSED_PAD src0_sel:WORD_0
	v_cvt_f32_i32_sdwa v30, sext(v15) dst_sel:DWORD dst_unused:UNUSED_PAD src0_sel:WORD_0
	v_fmac_f32_e32 v20, v39, v34
	v_fmac_f32_e32 v21, v40, v34
	;; [unrolled: 1-line block ×8, first 2 shown]
	v_pk_fma_f32 v[4:5], v[4:5], v[28:29], v[20:21] op_sel_hi:[1,0,1]
	v_pk_fma_f32 v[8:9], v[8:9], v[28:29], v[18:19] op_sel_hi:[1,0,1]
	;; [unrolled: 1-line block ×4, first 2 shown]
	s_andn2_b64 exec, exec, s[14:15]
	s_cbranch_execnz .LBB79_17
; %bb.18:
	s_or_b64 exec, exec, s[14:15]
.LBB79_19:
	s_or_b64 exec, exec, s[10:11]
	s_movk_i32 s3, 0xbf
	v_cmp_lt_u32_e32 vcc, s3, v0
	s_and_saveexec_b64 s[10:11], vcc
	s_cbranch_execz .LBB79_23
; %bb.20:
	s_mov_b64 s[14:15], 0
	v_mov_b32_e32 v15, s13
	v_mov_b32_e32 v28, s7
.LBB79_21:                              ; =>This Inner Loop Header: Depth=1
	global_load_dwordx4 v[0:3], v[24:25], off
	global_load_dwordx4 v[4:7], v[24:25], off offset:1024
	global_load_dwordx4 v[8:11], v[24:25], off offset:2048
	;; [unrolled: 1-line block ×3, first 2 shown]
	v_ashrrev_i32_e32 v23, 31, v22
	s_waitcnt vmcnt(3)
	v_bfe_i32 v29, v0, 0, 8
	v_lshrrev_b32_e32 v34, 8, v0
	v_lshrrev_b32_e32 v35, 16, v0
	;; [unrolled: 1-line block ×3, first 2 shown]
	v_bfe_i32 v37, v1, 0, 8
	v_lshrrev_b32_e32 v38, 8, v1
	v_lshrrev_b32_e32 v39, 16, v1
	;; [unrolled: 1-line block ×3, first 2 shown]
	v_lshlrev_b64 v[0:1], 2, v[22:23]
	v_add_co_u32_e32 v0, vcc, s12, v0
	v_addc_co_u32_e32 v1, vcc, v15, v1, vcc
	v_bfe_i32 v41, v2, 0, 8
	v_lshrrev_b32_e32 v42, 8, v2
	v_lshrrev_b32_e32 v43, 16, v2
	;; [unrolled: 1-line block ×3, first 2 shown]
	v_bfe_i32 v45, v3, 0, 8
	v_lshrrev_b32_e32 v46, 8, v3
	v_lshrrev_b32_e32 v47, 16, v3
	v_lshrrev_b32_e32 v48, 24, v3
	s_waitcnt vmcnt(2)
	v_bfe_i32 v49, v4, 0, 8
	v_lshrrev_b32_e32 v50, 8, v4
	v_lshrrev_b32_e32 v51, 16, v4
	;; [unrolled: 1-line block ×3, first 2 shown]
	v_bfe_i32 v57, v6, 0, 8
	v_lshrrev_b32_e32 v58, 8, v6
	v_lshrrev_b32_e32 v59, 16, v6
	;; [unrolled: 1-line block ×3, first 2 shown]
	global_load_dword v2, v[0:1], off
	global_load_dword v3, v[0:1], off offset:256
	global_load_dword v4, v[0:1], off offset:512
	;; [unrolled: 1-line block ×3, first 2 shown]
	v_bfe_i32 v53, v5, 0, 8
	v_lshrrev_b32_e32 v54, 8, v5
	v_lshrrev_b32_e32 v55, 16, v5
	;; [unrolled: 1-line block ×3, first 2 shown]
	v_bfe_i32 v61, v7, 0, 8
	v_lshrrev_b32_e32 v62, 8, v7
	v_lshrrev_b32_e32 v63, 16, v7
	;; [unrolled: 1-line block ×3, first 2 shown]
	s_waitcnt vmcnt(5)
	v_lshrrev_b32_e32 v70, 16, v9
	s_waitcnt vmcnt(4)
	v_lshrrev_b32_e32 v88, 16, v33
	v_bfe_i32 v50, v50, 0, 8
	v_lshrrev_b32_e32 v67, 16, v8
	v_lshrrev_b32_e32 v82, 16, v31
	;; [unrolled: 1-line block ×4, first 2 shown]
	v_bfe_i32 v86, v33, 0, 8
	v_lshrrev_b32_e32 v87, 8, v33
	v_lshrrev_b32_e32 v76, 16, v11
	v_bfe_i32 v71, v10, 0, 8
	v_lshrrev_b32_e32 v72, 8, v10
	v_lshrrev_b32_e32 v73, 16, v10
	;; [unrolled: 1-line block ×3, first 2 shown]
	v_bfe_i32 v68, v9, 0, 8
	v_lshrrev_b32_e32 v69, 8, v9
	v_lshrrev_b32_e32 v9, 24, v9
	v_bfe_i32 v54, v54, 0, 8
	v_bfe_i32 v65, v8, 0, 8
	v_lshrrev_b32_e32 v66, 8, v8
	v_lshrrev_b32_e32 v8, 24, v8
	;; [unrolled: 1-line block ×3, first 2 shown]
	v_bfe_i32 v58, v58, 0, 8
	v_bfe_i32 v69, v69, 0, 8
	;; [unrolled: 1-line block ×3, first 2 shown]
	v_lshrrev_b32_e32 v75, 8, v11
	v_lshrrev_b32_e32 v11, 24, v11
	v_bfe_i32 v80, v31, 0, 8
	v_lshrrev_b32_e32 v81, 8, v31
	v_lshrrev_b32_e32 v31, 24, v31
	v_cvt_f32_i32_sdwa v53, sext(v53) dst_sel:DWORD dst_unused:UNUSED_PAD src0_sel:WORD_0
	v_cvt_f32_i32_sdwa v57, sext(v57) dst_sel:DWORD dst_unused:UNUSED_PAD src0_sel:WORD_0
	v_bfe_i32 v62, v62, 0, 8
	v_cvt_f32_i32_sdwa v61, sext(v61) dst_sel:DWORD dst_unused:UNUSED_PAD src0_sel:WORD_0
	v_bfe_i32 v72, v72, 0, 8
	v_bfe_i32 v77, v30, 0, 8
	v_lshrrev_b32_e32 v78, 8, v30
	v_lshrrev_b32_e32 v30, 24, v30
	v_bfe_i32 v83, v32, 0, 8
	v_lshrrev_b32_e32 v32, 24, v32
	v_lshrrev_b32_e32 v33, 24, v33
	v_bfe_i32 v66, v66, 0, 8
	v_bfe_i32 v75, v75, 0, 8
	v_cvt_f32_i32_sdwa v65, sext(v65) dst_sel:DWORD dst_unused:UNUSED_PAD src0_sel:WORD_0
	v_cvt_f32_i32_sdwa v68, sext(v68) dst_sel:DWORD dst_unused:UNUSED_PAD src0_sel:WORD_0
	;; [unrolled: 1-line block ×4, first 2 shown]
	v_bfe_i32 v78, v78, 0, 8
	v_bfe_i32 v81, v81, 0, 8
	v_cvt_f32_i32_sdwa v77, sext(v77) dst_sel:DWORD dst_unused:UNUSED_PAD src0_sel:WORD_0
	v_cvt_f32_i32_sdwa v80, sext(v80) dst_sel:DWORD dst_unused:UNUSED_PAD src0_sel:WORD_0
	;; [unrolled: 1-line block ×3, first 2 shown]
	v_add_u32_e32 v22, 0x100, v22
	s_waitcnt vmcnt(3)
	v_subrev_u32_e32 v0, s18, v2
	v_lshlrev_b32_e32 v0, 2, v0
	v_ashrrev_i32_e32 v1, 31, v0
	v_add_co_u32_e32 v0, vcc, s6, v0
	s_waitcnt vmcnt(2)
	v_subrev_u32_e32 v2, s18, v3
	v_addc_co_u32_e32 v1, vcc, v28, v1, vcc
	v_lshlrev_b32_e32 v2, 2, v2
	v_ashrrev_i32_e32 v3, 31, v2
	v_add_co_u32_e32 v2, vcc, s6, v2
	s_waitcnt vmcnt(1)
	v_subrev_u32_e32 v4, s18, v4
	v_addc_co_u32_e32 v3, vcc, v28, v3, vcc
	;; [unrolled: 6-line block ×3, first 2 shown]
	v_lshlrev_b32_e32 v6, 2, v6
	v_ashrrev_i32_e32 v7, 31, v6
	v_add_co_u32_e32 v6, vcc, s6, v6
	v_addc_co_u32_e32 v7, vcc, v28, v7, vcc
	global_load_dword v23, v[0:1], off
	global_load_dword v89, v[2:3], off
	;; [unrolled: 1-line block ×4, first 2 shown]
	v_cvt_f32_i32_sdwa v0, sext(v29) dst_sel:DWORD dst_unused:UNUSED_PAD src0_sel:WORD_0
	v_bfe_i32 v4, v42, 0, 8
	v_bfe_i32 v29, v36, 0, 8
	;; [unrolled: 1-line block ×5, first 2 shown]
	v_cvt_f32_i32_sdwa v88, sext(v4) dst_sel:DWORD dst_unused:UNUSED_PAD src0_sel:WORD_0
	v_cvt_f32_i32_sdwa v4, sext(v29) dst_sel:DWORD dst_unused:UNUSED_PAD src0_sel:WORD_0
	;; [unrolled: 1-line block ×3, first 2 shown]
	v_bfe_i32 v2, v34, 0, 8
	v_bfe_i32 v3, v38, 0, 8
	;; [unrolled: 1-line block ×7, first 2 shown]
	v_cvt_f32_i32_sdwa v87, sext(v3) dst_sel:DWORD dst_unused:UNUSED_PAD src0_sel:WORD_0
	v_cvt_f32_i32_sdwa v92, sext(v5) dst_sel:DWORD dst_unused:UNUSED_PAD src0_sel:WORD_0
	v_bfe_i32 v38, v55, 0, 8
	v_bfe_i32 v55, v10, 0, 8
	;; [unrolled: 1-line block ×5, first 2 shown]
	v_cvt_f32_i32_sdwa v3, sext(v7) dst_sel:DWORD dst_unused:UNUSED_PAD src0_sel:WORD_0
	v_cvt_f32_i32_sdwa v9, sext(v38) dst_sel:DWORD dst_unused:UNUSED_PAD src0_sel:WORD_0
	v_bfe_i32 v34, v40, 0, 8
	v_cvt_f32_i32_sdwa v5, sext(v34) dst_sel:DWORD dst_unused:UNUSED_PAD src0_sel:WORD_0
	v_bfe_i32 v47, v8, 0, 8
	v_cvt_f32_i32_sdwa v7, sext(v36) dst_sel:DWORD dst_unused:UNUSED_PAD src0_sel:WORD_0
	v_cvt_f32_i32_sdwa v36, sext(v47) dst_sel:DWORD dst_unused:UNUSED_PAD src0_sel:WORD_0
	;; [unrolled: 1-line block ×3, first 2 shown]
	v_bfe_i32 v40, v56, 0, 8
	v_bfe_i32 v42, v63, 0, 8
	;; [unrolled: 1-line block ×3, first 2 shown]
	v_cvt_f32_i32_sdwa v11, sext(v40) dst_sel:DWORD dst_unused:UNUSED_PAD src0_sel:WORD_0
	v_cvt_f32_i32_sdwa v40, sext(v55) dst_sel:DWORD dst_unused:UNUSED_PAD src0_sel:WORD_0
	;; [unrolled: 1-line block ×3, first 2 shown]
	v_bfe_i32 v63, v30, 0, 8
	v_cvt_f32_i32_sdwa v62, sext(v78) dst_sel:DWORD dst_unused:UNUSED_PAD src0_sel:WORD_0
	v_add_co_u32_e32 v24, vcc, 0x1000, v24
	v_addc_co_u32_e32 v25, vcc, 0, v25, vcc
	v_cmp_ge_i32_e32 vcc, v22, v26
	s_or_b64 s[14:15], vcc, s[14:15]
	s_waitcnt vmcnt(3)
	v_bfe_i32 v1, v23, 0, 8
	v_cvt_f32_i32_sdwa v1, sext(v1) dst_sel:DWORD dst_unused:UNUSED_PAD src0_sel:WORD_0
	v_lshrrev_b32_e32 v50, 8, v23
	v_bfe_i32 v50, v50, 0, 8
	v_cvt_f32_i32_sdwa v50, sext(v50) dst_sel:DWORD dst_unused:UNUSED_PAD src0_sel:WORD_0
	v_fmac_f32_e32 v20, v0, v1
	v_cvt_f32_i32_sdwa v0, sext(v37) dst_sel:DWORD dst_unused:UNUSED_PAD src0_sel:WORD_0
	v_bfe_i32 v37, v51, 0, 8
	v_bfe_i32 v51, v73, 0, 8
	v_cvt_f32_i32_sdwa v38, sext(v51) dst_sel:DWORD dst_unused:UNUSED_PAD src0_sel:WORD_0
	v_fmac_f32_e32 v21, v0, v1
	v_cvt_f32_i32_sdwa v0, sext(v41) dst_sel:DWORD dst_unused:UNUSED_PAD src0_sel:WORD_0
	v_fmac_f32_e32 v21, v87, v50
	v_cvt_f32_i32_sdwa v51, sext(v54) dst_sel:DWORD dst_unused:UNUSED_PAD src0_sel:WORD_0
	s_waitcnt vmcnt(2)
	v_lshrrev_b32_e32 v70, 8, v89
	v_fmac_f32_e32 v18, v0, v1
	v_cvt_f32_i32_sdwa v0, sext(v45) dst_sel:DWORD dst_unused:UNUSED_PAD src0_sel:WORD_0
	v_bfe_i32 v45, v67, 0, 8
	v_bfe_i32 v67, v85, 0, 8
	v_cvt_f32_i32_sdwa v85, sext(v86) dst_sel:DWORD dst_unused:UNUSED_PAD src0_sel:WORD_0
	v_cvt_f32_i32_sdwa v86, sext(v2) dst_sel:DWORD dst_unused:UNUSED_PAD src0_sel:WORD_0
	v_fmac_f32_e32 v19, v0, v1
	v_bfe_i32 v1, v39, 0, 8
	v_bfe_i32 v39, v52, 0, 8
	;; [unrolled: 1-line block ×3, first 2 shown]
	v_cvt_f32_i32_sdwa v10, sext(v39) dst_sel:DWORD dst_unused:UNUSED_PAD src0_sel:WORD_0
	v_cvt_f32_i32_sdwa v39, sext(v52) dst_sel:DWORD dst_unused:UNUSED_PAD src0_sel:WORD_0
	v_lshrrev_b32_e32 v52, 16, v23
	v_fmac_f32_e32 v20, v86, v50
	v_fmac_f32_e32 v18, v88, v50
	;; [unrolled: 1-line block ×3, first 2 shown]
	v_bfe_i32 v50, v52, 0, 8
	v_cvt_f32_i32_sdwa v2, sext(v6) dst_sel:DWORD dst_unused:UNUSED_PAD src0_sel:WORD_0
	v_cvt_f32_i32_sdwa v50, sext(v50) dst_sel:DWORD dst_unused:UNUSED_PAD src0_sel:WORD_0
	v_bfe_i32 v0, v35, 0, 8
	v_lshrrev_b32_e32 v23, 24, v23
	v_cvt_f32_i32_sdwa v0, sext(v0) dst_sel:DWORD dst_unused:UNUSED_PAD src0_sel:WORD_0
	v_cvt_f32_i32_sdwa v1, sext(v1) dst_sel:DWORD dst_unused:UNUSED_PAD src0_sel:WORD_0
	v_pk_fma_f32 v[2:3], v[2:3], v[50:51], v[18:19] op_sel_hi:[1,0,1]
	v_bfe_i32 v18, v23, 0, 8
	v_cvt_f32_i32_sdwa v18, sext(v18) dst_sel:DWORD dst_unused:UNUSED_PAD src0_sel:WORD_0
	v_bfe_i32 v35, v44, 0, 8
	v_cvt_f32_i32_sdwa v6, sext(v35) dst_sel:DWORD dst_unused:UNUSED_PAD src0_sel:WORD_0
	v_cvt_f32_i32_sdwa v35, sext(v46) dst_sel:DWORD dst_unused:UNUSED_PAD src0_sel:WORD_0
	;; [unrolled: 1-line block ×3, first 2 shown]
	v_bfe_i32 v67, v89, 0, 8
	v_bfe_i32 v41, v59, 0, 8
	;; [unrolled: 1-line block ×3, first 2 shown]
	v_cvt_f32_i32_sdwa v79, sext(v49) dst_sel:DWORD dst_unused:UNUSED_PAD src0_sel:WORD_0
	v_cvt_f32_i32_sdwa v54, sext(v58) dst_sel:DWORD dst_unused:UNUSED_PAD src0_sel:WORD_0
	;; [unrolled: 1-line block ×3, first 2 shown]
	v_lshrrev_b32_e32 v69, 16, v89
	v_pk_fma_f32 v[0:1], v[0:1], v[50:51], v[20:21] op_sel_hi:[1,0,1]
	s_waitcnt vmcnt(1)
	v_lshrrev_b32_e32 v19, 8, v90
	v_cvt_f32_i32_sdwa v23, sext(v67) dst_sel:DWORD dst_unused:UNUSED_PAD src0_sel:WORD_0
	v_bfe_i32 v67, v70, 0, 8
	v_bfe_i32 v44, v64, 0, 8
	;; [unrolled: 1-line block ×3, first 2 shown]
	v_cvt_f32_i32_sdwa v31, sext(v42) dst_sel:DWORD dst_unused:UNUSED_PAD src0_sel:WORD_0
	v_cvt_f32_i32_sdwa v42, sext(v59) dst_sel:DWORD dst_unused:UNUSED_PAD src0_sel:WORD_0
	;; [unrolled: 1-line block ×3, first 2 shown]
	v_lshrrev_b32_e32 v72, 24, v89
	v_pk_fma_f32 v[0:1], v[4:5], v[18:19], v[0:1] op_sel_hi:[1,0,1]
	s_waitcnt vmcnt(0)
	v_lshrrev_b32_e32 v4, 8, v91
	v_bfe_i32 v69, v69, 0, 8
	v_cvt_f32_i32_sdwa v67, sext(v67) dst_sel:DWORD dst_unused:UNUSED_PAD src0_sel:WORD_0
	v_cvt_f32_i32_sdwa v8, sext(v37) dst_sel:DWORD dst_unused:UNUSED_PAD src0_sel:WORD_0
	;; [unrolled: 1-line block ×3, first 2 shown]
	v_bfe_i32 v70, v72, 0, 8
	v_bfe_i32 v19, v19, 0, 8
	;; [unrolled: 1-line block ×3, first 2 shown]
	v_cvt_f32_i32_sdwa v4, sext(v69) dst_sel:DWORD dst_unused:UNUSED_PAD src0_sel:WORD_0
	v_bfe_i32 v73, v32, 0, 8
	v_bfe_i32 v76, v33, 0, 8
	v_cvt_f32_i32_sdwa v33, sext(v44) dst_sel:DWORD dst_unused:UNUSED_PAD src0_sel:WORD_0
	v_cvt_f32_i32_sdwa v32, sext(v43) dst_sel:DWORD dst_unused:UNUSED_PAD src0_sel:WORD_0
	v_bfe_i32 v21, v90, 0, 8
	v_pk_fma_f32 v[2:3], v[6:7], v[18:19], v[2:3] op_sel_hi:[1,0,1]
	v_cvt_f32_i32_sdwa v6, sext(v70) dst_sel:DWORD dst_unused:UNUSED_PAD src0_sel:WORD_0
	v_cvt_f32_i32_sdwa v7, sext(v19) dst_sel:DWORD dst_unused:UNUSED_PAD src0_sel:WORD_0
	v_lshrrev_b32_e32 v20, 16, v90
	v_lshrrev_b32_e32 v5, 24, v91
	v_cvt_f32_i32_sdwa v21, sext(v21) dst_sel:DWORD dst_unused:UNUSED_PAD src0_sel:WORD_0
	v_fma_f32 v0, v79, v23, v0
	v_fmac_f32_e32 v1, v53, v23
	v_fma_f32 v2, v57, v23, v2
	v_fmac_f32_e32 v3, v61, v23
	v_cvt_f32_i32_sdwa v41, sext(v56) dst_sel:DWORD dst_unused:UNUSED_PAD src0_sel:WORD_0
	v_cvt_f32_i32_sdwa v43, sext(v60) dst_sel:DWORD dst_unused:UNUSED_PAD src0_sel:WORD_0
	;; [unrolled: 1-line block ×4, first 2 shown]
	v_lshrrev_b32_e32 v50, 24, v90
	v_bfe_i32 v20, v20, 0, 8
	v_bfe_i32 v5, v5, 0, 8
	v_fmac_f32_e32 v0, v29, v67
	v_fmac_f32_e32 v1, v51, v67
	;; [unrolled: 1-line block ×4, first 2 shown]
	v_cvt_f32_i32_sdwa v34, sext(v45) dst_sel:DWORD dst_unused:UNUSED_PAD src0_sel:WORD_0
	v_bfe_i32 v50, v50, 0, 8
	v_cvt_f32_i32_sdwa v18, sext(v20) dst_sel:DWORD dst_unused:UNUSED_PAD src0_sel:WORD_0
	v_cvt_f32_i32_sdwa v19, sext(v72) dst_sel:DWORD dst_unused:UNUSED_PAD src0_sel:WORD_0
	v_pk_fma_f32 v[0:1], v[8:9], v[4:5], v[0:1] op_sel_hi:[1,0,1]
	v_pk_fma_f32 v[2:3], v[30:31], v[4:5], v[2:3] op_sel_hi:[1,0,1]
	v_cvt_f32_i32_sdwa v37, sext(v48) dst_sel:DWORD dst_unused:UNUSED_PAD src0_sel:WORD_0
	v_cvt_f32_i32_sdwa v48, sext(v73) dst_sel:DWORD dst_unused:UNUSED_PAD src0_sel:WORD_0
	v_bfe_i32 v73, v91, 0, 8
	v_cvt_f32_i32_sdwa v20, sext(v50) dst_sel:DWORD dst_unused:UNUSED_PAD src0_sel:WORD_0
	v_pk_fma_f32 v[0:1], v[10:11], v[6:7], v[0:1] op_sel_hi:[1,0,1]
	v_pk_fma_f32 v[2:3], v[32:33], v[6:7], v[2:3] op_sel_hi:[1,0,1]
	v_lshrrev_b32_e32 v52, 16, v91
	v_cvt_f32_i32_sdwa v73, sext(v73) dst_sel:DWORD dst_unused:UNUSED_PAD src0_sel:WORD_0
	v_fma_f32 v0, v65, v21, v0
	v_fmac_f32_e32 v1, v68, v21
	v_fma_f32 v2, v71, v21, v2
	v_fmac_f32_e32 v3, v74, v21
	v_cvt_f32_i32_sdwa v45, sext(v64) dst_sel:DWORD dst_unused:UNUSED_PAD src0_sel:WORD_0
	v_cvt_f32_i32_sdwa v44, sext(v63) dst_sel:DWORD dst_unused:UNUSED_PAD src0_sel:WORD_0
	;; [unrolled: 1-line block ×5, first 2 shown]
	v_bfe_i32 v52, v52, 0, 8
	v_fmac_f32_e32 v0, v56, v7
	v_fmac_f32_e32 v1, v58, v7
	;; [unrolled: 1-line block ×4, first 2 shown]
	v_cvt_f32_i32_sdwa v50, sext(v52) dst_sel:DWORD dst_unused:UNUSED_PAD src0_sel:WORD_0
	v_pk_fma_f32 v[0:1], v[34:35], v[18:19], v[0:1] op_sel_hi:[1,0,1]
	v_pk_fma_f32 v[2:3], v[38:39], v[18:19], v[2:3] op_sel_hi:[1,0,1]
	v_cvt_f32_i32_sdwa v49, sext(v76) dst_sel:DWORD dst_unused:UNUSED_PAD src0_sel:WORD_0
	v_cvt_f32_i32_sdwa v52, sext(v5) dst_sel:DWORD dst_unused:UNUSED_PAD src0_sel:WORD_0
	v_pk_fma_f32 v[0:1], v[36:37], v[20:21], v[0:1] op_sel_hi:[1,0,1]
	v_pk_fma_f32 v[2:3], v[40:41], v[20:21], v[2:3] op_sel_hi:[1,0,1]
	v_fma_f32 v0, v77, v73, v0
	v_fmac_f32_e32 v1, v80, v73
	v_fma_f32 v2, v83, v73, v2
	v_fmac_f32_e32 v3, v85, v73
	v_fmac_f32_e32 v0, v62, v19
	;; [unrolled: 1-line block ×5, first 2 shown]
	v_pk_fma_f32 v[0:1], v[42:43], v[50:51], v[0:1] op_sel_hi:[1,0,1]
	v_pk_fma_f32 v[2:3], v[46:47], v[50:51], v[2:3] op_sel_hi:[1,0,1]
	;; [unrolled: 1-line block ×4, first 2 shown]
	s_andn2_b64 exec, exec, s[14:15]
	s_cbranch_execnz .LBB79_21
; %bb.22:
	s_or_b64 exec, exec, s[14:15]
.LBB79_23:
	s_or_b64 exec, exec, s[10:11]
.LBB79_24:
	s_or_b64 exec, exec, s[8:9]
	s_cbranch_execz .LBB79_26
	s_branch .LBB79_37
.LBB79_25:
                                        ; implicit-def: $vgpr19
                                        ; implicit-def: $vgpr21
.LBB79_26:
	s_mov_b32 s10, 0
	v_mov_b32_e32 v19, 0
	v_mov_b32_e32 v18, 0
	;; [unrolled: 1-line block ×4, first 2 shown]
	s_and_saveexec_b64 s[8:9], s[0:1]
	s_cbranch_execz .LBB79_36
; %bb.27:
	v_add_u32_e32 v0, v27, v13
	v_subrev_u32_e32 v0, s18, v0
	v_add_u32_e32 v0, 64, v0
	v_max_i32_e32 v0, v0, v26
	v_not_b32_e32 v1, v27
	v_add3_u32 v0, v0, s18, v1
	v_sub_u32_e32 v0, v0, v13
	v_lshrrev_b32_e32 v1, 6, v0
	v_add_u32_e32 v1, 1, v1
	v_and_b32_e32 v1, 3, v1
	s_mov_b32 s11, s10
	v_cmp_ne_u32_e32 vcc, 0, v1
	v_pk_mov_b32 v[20:21], s[10:11], s[10:11] op_sel:[0,1]
	v_pk_mov_b32 v[18:19], s[10:11], s[10:11] op_sel:[0,1]
	s_and_saveexec_b64 s[0:1], vcc
	s_cbranch_execz .LBB79_31
; %bb.28:
	v_mov_b32_e32 v18, 0
	v_lshlrev_b32_e32 v1, 4, v1
	s_mov_b64 s[10:11], 0
	v_mov_b32_e32 v2, s13
	v_mov_b32_e32 v3, s7
	;; [unrolled: 1-line block ×5, first 2 shown]
.LBB79_29:                              ; =>This Inner Loop Header: Depth=1
	v_ashrrev_i32_e32 v15, 31, v14
	v_lshlrev_b64 v[4:5], 2, v[14:15]
	v_add_co_u32_e32 v8, vcc, s12, v4
	v_addc_co_u32_e32 v9, vcc, v2, v5, vcc
	global_load_dword v10, v[8:9], off
	global_load_dwordx4 v[4:7], v[16:17], off
	v_add_u32_e32 v1, -16, v1
	v_add_u32_e32 v14, 64, v14
	s_waitcnt vmcnt(1)
	v_subrev_u32_e32 v8, s18, v10
	v_lshlrev_b32_e32 v8, 2, v8
	v_ashrrev_i32_e32 v9, 31, v8
	v_add_co_u32_e32 v8, vcc, s6, v8
	v_addc_co_u32_e32 v9, vcc, v3, v9, vcc
	global_load_dword v15, v[8:9], off
	s_waitcnt vmcnt(1)
	v_lshrrev_b32_e32 v8, 8, v4
	v_bfe_i32 v9, v4, 0, 8
	v_lshrrev_b32_e32 v10, 16, v4
	v_lshrrev_b32_e32 v4, 24, v4
	v_bfe_i32 v22, v5, 0, 8
	v_lshrrev_b32_e32 v23, 16, v5
	v_bfe_i32 v24, v6, 0, 8
	v_lshrrev_b32_e32 v25, 8, v6
	v_lshrrev_b32_e32 v27, 16, v6
	;; [unrolled: 1-line block ×3, first 2 shown]
	v_bfe_i32 v32, v10, 0, 8
	v_bfe_i32 v33, v4, 0, 8
	v_lshrrev_b32_e32 v11, 8, v5
	v_lshrrev_b32_e32 v5, 24, v5
	;; [unrolled: 1-line block ×3, first 2 shown]
	v_bfe_i32 v31, v8, 0, 8
	v_bfe_i32 v34, v23, 0, 8
	;; [unrolled: 1-line block ×4, first 2 shown]
	v_cvt_f32_i32_sdwa v6, sext(v22) dst_sel:DWORD dst_unused:UNUSED_PAD src0_sel:WORD_0
	v_cvt_f32_i32_sdwa v23, sext(v33) dst_sel:DWORD dst_unused:UNUSED_PAD src0_sel:WORD_0
	;; [unrolled: 1-line block ×3, first 2 shown]
	v_bfe_i32 v29, v7, 0, 8
	v_lshrrev_b32_e32 v30, 16, v7
	v_lshrrev_b32_e32 v7, 24, v7
	v_bfe_i32 v11, v11, 0, 8
	v_bfe_i32 v35, v5, 0, 8
	v_cvt_f32_i32_sdwa v4, sext(v9) dst_sel:DWORD dst_unused:UNUSED_PAD src0_sel:WORD_0
	v_bfe_i32 v38, v28, 0, 8
	v_cvt_f32_i32_sdwa v5, sext(v31) dst_sel:DWORD dst_unused:UNUSED_PAD src0_sel:WORD_0
	v_cvt_f32_i32_sdwa v28, sext(v27) dst_sel:DWORD dst_unused:UNUSED_PAD src0_sel:WORD_0
	v_bfe_i32 v36, v25, 0, 8
	v_cvt_f32_i32_sdwa v8, sext(v24) dst_sel:DWORD dst_unused:UNUSED_PAD src0_sel:WORD_0
	v_bfe_i32 v39, v7, 0, 8
	v_cvt_f32_i32_sdwa v7, sext(v11) dst_sel:DWORD dst_unused:UNUSED_PAD src0_sel:WORD_0
	v_cvt_f32_i32_sdwa v25, sext(v35) dst_sel:DWORD dst_unused:UNUSED_PAD src0_sel:WORD_0
	;; [unrolled: 1-line block ×4, first 2 shown]
	v_bfe_i32 v30, v30, 0, 8
	v_cvt_f32_i32_sdwa v9, sext(v36) dst_sel:DWORD dst_unused:UNUSED_PAD src0_sel:WORD_0
	v_cvt_f32_i32_sdwa v29, sext(v37) dst_sel:DWORD dst_unused:UNUSED_PAD src0_sel:WORD_0
	;; [unrolled: 1-line block ×5, first 2 shown]
	v_add_co_u32_e32 v16, vcc, 0x400, v16
	v_addc_co_u32_e32 v17, vcc, 0, v17, vcc
	v_cmp_eq_u32_e32 vcc, 0, v1
	s_or_b64 s[10:11], vcc, s[10:11]
	s_waitcnt vmcnt(0)
	v_bfe_i32 v32, v15, 0, 8
	v_lshrrev_b32_e32 v33, 8, v15
	v_lshrrev_b32_e32 v27, 16, v15
	v_bfe_i32 v33, v33, 0, 8
	v_cvt_f32_i32_sdwa v32, sext(v32) dst_sel:DWORD dst_unused:UNUSED_PAD src0_sel:WORD_0
	v_lshrrev_b32_e32 v15, 24, v15
	v_bfe_i32 v27, v27, 0, 8
	v_cvt_f32_i32_sdwa v34, sext(v33) dst_sel:DWORD dst_unused:UNUSED_PAD src0_sel:WORD_0
	v_bfe_i32 v15, v15, 0, 8
	v_cvt_f32_i32_sdwa v36, sext(v27) dst_sel:DWORD dst_unused:UNUSED_PAD src0_sel:WORD_0
	v_cvt_f32_i32_sdwa v38, sext(v15) dst_sel:DWORD dst_unused:UNUSED_PAD src0_sel:WORD_0
	v_pk_fma_f32 v[4:5], v[4:5], v[32:33], v[20:21] op_sel_hi:[1,0,1]
	v_pk_fma_f32 v[18:19], v[22:23], v[32:33], v[18:19] op_sel_hi:[1,0,1]
	;; [unrolled: 1-line block ×8, first 2 shown]
	s_andn2_b64 exec, exec, s[10:11]
	s_cbranch_execnz .LBB79_29
; %bb.30:
	s_or_b64 exec, exec, s[10:11]
.LBB79_31:
	s_or_b64 exec, exec, s[0:1]
	s_movk_i32 s0, 0xbf
	v_cmp_lt_u32_e32 vcc, s0, v0
	s_and_saveexec_b64 s[0:1], vcc
	s_cbranch_execz .LBB79_35
; %bb.32:
	s_mov_b64 s[10:11], 0
	v_mov_b32_e32 v8, s13
	v_mov_b32_e32 v9, s7
.LBB79_33:                              ; =>This Inner Loop Header: Depth=1
	global_load_dwordx4 v[0:3], v[16:17], off
	global_load_dwordx4 v[22:25], v[16:17], off offset:1024
	global_load_dwordx4 v[28:31], v[16:17], off offset:2048
	v_ashrrev_i32_e32 v15, 31, v14
	v_lshlrev_b64 v[10:11], 2, v[14:15]
	v_add_co_u32_e32 v10, vcc, s12, v10
	v_addc_co_u32_e32 v11, vcc, v8, v11, vcc
	global_load_dwordx4 v[4:7], v[16:17], off offset:3072
	v_add_u32_e32 v14, 0x100, v14
	s_waitcnt vmcnt(3)
	v_bfe_i32 v38, v2, 0, 8
	v_lshrrev_b32_e32 v39, 8, v2
	v_lshrrev_b32_e32 v40, 16, v2
	;; [unrolled: 1-line block ×3, first 2 shown]
	s_waitcnt vmcnt(2)
	v_lshrrev_b32_e32 v46, 8, v22
	v_bfe_i32 v47, v22, 0, 8
	v_lshrrev_b32_e32 v48, 16, v22
	v_lshrrev_b32_e32 v49, 24, v22
	v_lshrrev_b32_e32 v50, 8, v23
	v_bfe_i32 v51, v23, 0, 8
	v_lshrrev_b32_e32 v52, 16, v23
	v_lshrrev_b32_e32 v53, 24, v23
	v_bfe_i32 v54, v24, 0, 8
	v_lshrrev_b32_e32 v55, 8, v24
	v_lshrrev_b32_e32 v56, 16, v24
	;; [unrolled: 1-line block ×3, first 2 shown]
	global_load_dword v2, v[10:11], off
	global_load_dword v22, v[10:11], off offset:256
	global_load_dword v23, v[10:11], off offset:512
	;; [unrolled: 1-line block ×3, first 2 shown]
	v_lshrrev_b32_e32 v42, 8, v3
	v_bfe_i32 v43, v3, 0, 8
	v_lshrrev_b32_e32 v44, 16, v3
	v_lshrrev_b32_e32 v45, 24, v3
	;; [unrolled: 1-line block ×4, first 2 shown]
	v_bfe_i32 v35, v1, 0, 8
	v_lshrrev_b32_e32 v36, 16, v1
	v_lshrrev_b32_e32 v37, 24, v1
	v_bfe_i32 v1, v15, 0, 8
	v_bfe_i32 v27, v0, 0, 8
	v_lshrrev_b32_e32 v58, 8, v25
	v_bfe_i32 v59, v25, 0, 8
	v_lshrrev_b32_e32 v60, 16, v25
	v_lshrrev_b32_e32 v61, 24, v25
	;; [unrolled: 1-line block ×4, first 2 shown]
	v_cvt_f32_i32_sdwa v0, sext(v27) dst_sel:DWORD dst_unused:UNUSED_PAD src0_sel:WORD_0
	v_cvt_f32_i32_sdwa v1, sext(v1) dst_sel:DWORD dst_unused:UNUSED_PAD src0_sel:WORD_0
	s_waitcnt vmcnt(4)
	v_lshrrev_b32_e32 v80, 8, v4
	v_bfe_i32 v81, v4, 0, 8
	v_lshrrev_b32_e32 v82, 16, v4
	v_lshrrev_b32_e32 v83, 24, v4
	v_bfe_i32 v4, v36, 0, 8
	v_lshrrev_b32_e32 v84, 8, v5
	v_bfe_i32 v85, v5, 0, 8
	v_lshrrev_b32_e32 v86, 16, v5
	v_lshrrev_b32_e32 v87, 24, v5
	;; [unrolled: 1-line block ×3, first 2 shown]
	v_bfe_i32 v67, v29, 0, 8
	v_bfe_i32 v88, v6, 0, 8
	v_lshrrev_b32_e32 v89, 8, v6
	v_lshrrev_b32_e32 v90, 16, v6
	;; [unrolled: 1-line block ×4, first 2 shown]
	v_bfe_i32 v93, v7, 0, 8
	v_lshrrev_b32_e32 v94, 16, v7
	v_lshrrev_b32_e32 v95, 24, v7
	v_bfe_i32 v6, v44, 0, 8
	v_bfe_i32 v7, v45, 0, 8
	v_cvt_f32_i32_sdwa v7, sext(v7) dst_sel:DWORD dst_unused:UNUSED_PAD src0_sel:WORD_0
	v_cvt_f32_i32_sdwa v6, sext(v6) dst_sel:DWORD dst_unused:UNUSED_PAD src0_sel:WORD_0
	v_lshrrev_b32_e32 v68, 16, v29
	v_lshrrev_b32_e32 v62, 8, v28
	v_bfe_i32 v63, v28, 0, 8
	v_lshrrev_b32_e32 v64, 16, v28
	v_lshrrev_b32_e32 v65, 24, v28
	;; [unrolled: 1-line block ×3, first 2 shown]
	v_bfe_i32 v28, v56, 0, 8
	v_bfe_i32 v29, v57, 0, 8
	v_lshrrev_b32_e32 v74, 8, v31
	v_bfe_i32 v75, v31, 0, 8
	v_lshrrev_b32_e32 v76, 16, v31
	v_lshrrev_b32_e32 v77, 24, v31
	v_bfe_i32 v31, v58, 0, 8
	v_cvt_f32_i32_sdwa v28, sext(v28) dst_sel:DWORD dst_unused:UNUSED_PAD src0_sel:WORD_0
	v_cvt_f32_i32_sdwa v29, sext(v29) dst_sel:DWORD dst_unused:UNUSED_PAD src0_sel:WORD_0
	v_bfe_i32 v70, v30, 0, 8
	v_lshrrev_b32_e32 v71, 8, v30
	v_lshrrev_b32_e32 v72, 16, v30
	;; [unrolled: 1-line block ×3, first 2 shown]
	v_cvt_f32_i32_sdwa v30, sext(v59) dst_sel:DWORD dst_unused:UNUSED_PAD src0_sel:WORD_0
	v_cvt_f32_i32_sdwa v31, sext(v31) dst_sel:DWORD dst_unused:UNUSED_PAD src0_sel:WORD_0
	v_bfe_i32 v44, v72, 0, 8
	v_bfe_i32 v45, v73, 0, 8
	v_cvt_f32_i32_sdwa v36, sext(v67) dst_sel:DWORD dst_unused:UNUSED_PAD src0_sel:WORD_0
	v_cvt_f32_i32_sdwa v44, sext(v44) dst_sel:DWORD dst_unused:UNUSED_PAD src0_sel:WORD_0
	;; [unrolled: 1-line block ×3, first 2 shown]
	v_bfe_i32 v56, v86, 0, 8
	v_bfe_i32 v57, v87, 0, 8
	;; [unrolled: 1-line block ×3, first 2 shown]
	v_cvt_f32_i32_sdwa v57, sext(v57) dst_sel:DWORD dst_unused:UNUSED_PAD src0_sel:WORD_0
	v_cvt_f32_i32_sdwa v56, sext(v56) dst_sel:DWORD dst_unused:UNUSED_PAD src0_sel:WORD_0
	;; [unrolled: 1-line block ×4, first 2 shown]
	s_waitcnt vmcnt(3)
	v_subrev_u32_e32 v2, s18, v2
	v_lshlrev_b32_e32 v2, 2, v2
	v_ashrrev_i32_e32 v3, 31, v2
	v_add_co_u32_e32 v2, vcc, s6, v2
	s_waitcnt vmcnt(2)
	v_subrev_u32_e32 v10, s18, v22
	v_addc_co_u32_e32 v3, vcc, v9, v3, vcc
	v_lshlrev_b32_e32 v10, 2, v10
	v_ashrrev_i32_e32 v11, 31, v10
	v_add_co_u32_e32 v10, vcc, s6, v10
	s_waitcnt vmcnt(1)
	v_subrev_u32_e32 v15, s18, v23
	v_addc_co_u32_e32 v11, vcc, v9, v11, vcc
	;; [unrolled: 6-line block ×3, first 2 shown]
	v_lshlrev_b32_e32 v15, 2, v15
	v_ashrrev_i32_e32 v25, 31, v15
	v_add_co_u32_e32 v24, vcc, s6, v15
	v_addc_co_u32_e32 v25, vcc, v9, v25, vcc
	global_load_dword v15, v[2:3], off
	global_load_dword v27, v[10:11], off
	;; [unrolled: 1-line block ×4, first 2 shown]
	v_bfe_i32 v10, v33, 0, 8
	v_cvt_f32_i32_sdwa v11, sext(v10) dst_sel:DWORD dst_unused:UNUSED_PAD src0_sel:WORD_0
	v_bfe_i32 v22, v52, 0, 8
	v_bfe_i32 v23, v53, 0, 8
	v_cvt_f32_i32_sdwa v23, sext(v23) dst_sel:DWORD dst_unused:UNUSED_PAD src0_sel:WORD_0
	v_cvt_f32_i32_sdwa v22, sext(v22) dst_sel:DWORD dst_unused:UNUSED_PAD src0_sel:WORD_0
	v_bfe_i32 v25, v55, 0, 8
	v_cvt_f32_i32_sdwa v24, sext(v54) dst_sel:DWORD dst_unused:UNUSED_PAD src0_sel:WORD_0
	v_cvt_f32_i32_sdwa v25, sext(v25) dst_sel:DWORD dst_unused:UNUSED_PAD src0_sel:WORD_0
	v_bfe_i32 v33, v61, 0, 8
	v_cvt_f32_i32_sdwa v33, sext(v33) dst_sel:DWORD dst_unused:UNUSED_PAD src0_sel:WORD_0
	v_bfe_i32 v54, v82, 0, 8
	v_bfe_i32 v55, v83, 0, 8
	;; [unrolled: 1-line block ×3, first 2 shown]
	v_cvt_f32_i32_sdwa v55, sext(v55) dst_sel:DWORD dst_unused:UNUSED_PAD src0_sel:WORD_0
	v_cvt_f32_i32_sdwa v54, sext(v54) dst_sel:DWORD dst_unused:UNUSED_PAD src0_sel:WORD_0
	v_bfe_i32 v61, v91, 0, 8
	v_cvt_f32_i32_sdwa v52, sext(v85) dst_sel:DWORD dst_unused:UNUSED_PAD src0_sel:WORD_0
	v_cvt_f32_i32_sdwa v53, sext(v53) dst_sel:DWORD dst_unused:UNUSED_PAD src0_sel:WORD_0
	;; [unrolled: 1-line block ×3, first 2 shown]
	v_add_co_u32_e32 v16, vcc, 0x1000, v16
	v_addc_co_u32_e32 v17, vcc, 0, v17, vcc
	v_cmp_ge_i32_e32 vcc, v14, v26
	s_or_b64 s[10:11], vcc, s[10:11]
	s_waitcnt vmcnt(3)
	v_bfe_i32 v2, v15, 0, 8
	v_cvt_f32_i32_sdwa v2, sext(v2) dst_sel:DWORD dst_unused:UNUSED_PAD src0_sel:WORD_0
	v_pk_fma_f32 v[0:1], v[0:1], v[2:3], v[20:21] op_sel_hi:[1,0,1]
	v_bfe_i32 v3, v32, 0, 8
	v_cvt_f32_i32_sdwa v10, sext(v3) dst_sel:DWORD dst_unused:UNUSED_PAD src0_sel:WORD_0
	v_bfe_i32 v21, v50, 0, 8
	v_cvt_f32_i32_sdwa v20, sext(v51) dst_sel:DWORD dst_unused:UNUSED_PAD src0_sel:WORD_0
	v_cvt_f32_i32_sdwa v21, sext(v21) dst_sel:DWORD dst_unused:UNUSED_PAD src0_sel:WORD_0
	v_pk_fma_f32 v[2:3], v[10:11], v[2:3], v[18:19] op_sel_hi:[1,0,1]
	v_lshrrev_b32_e32 v18, 8, v15
	v_bfe_i32 v11, v34, 0, 8
	v_bfe_i32 v18, v18, 0, 8
	v_cvt_f32_i32_sdwa v10, sext(v35) dst_sel:DWORD dst_unused:UNUSED_PAD src0_sel:WORD_0
	v_cvt_f32_i32_sdwa v11, sext(v11) dst_sel:DWORD dst_unused:UNUSED_PAD src0_sel:WORD_0
	;; [unrolled: 1-line block ×3, first 2 shown]
	v_bfe_i32 v32, v60, 0, 8
	v_bfe_i32 v35, v62, 0, 8
	v_cvt_f32_i32_sdwa v32, sext(v32) dst_sel:DWORD dst_unused:UNUSED_PAD src0_sel:WORD_0
	v_pk_fma_f32 v[0:1], v[10:11], v[18:19], v[0:1] op_sel_hi:[1,0,1]
	v_bfe_i32 v10, v37, 0, 8
	v_cvt_f32_i32_sdwa v11, sext(v10) dst_sel:DWORD dst_unused:UNUSED_PAD src0_sel:WORD_0
	v_cvt_f32_i32_sdwa v10, sext(v4) dst_sel:DWORD dst_unused:UNUSED_PAD src0_sel:WORD_0
	v_bfe_i32 v4, v39, 0, 8
	v_bfe_i32 v37, v66, 0, 8
	;; [unrolled: 1-line block ×3, first 2 shown]
	v_pk_fma_f32 v[2:3], v[10:11], v[18:19], v[2:3] op_sel_hi:[1,0,1]
	v_cvt_f32_i32_sdwa v11, sext(v4) dst_sel:DWORD dst_unused:UNUSED_PAD src0_sel:WORD_0
	v_lshrrev_b32_e32 v4, 16, v15
	v_bfe_i32 v4, v4, 0, 8
	v_cvt_f32_i32_sdwa v10, sext(v38) dst_sel:DWORD dst_unused:UNUSED_PAD src0_sel:WORD_0
	v_cvt_f32_i32_sdwa v4, sext(v4) dst_sel:DWORD dst_unused:UNUSED_PAD src0_sel:WORD_0
	v_lshrrev_b32_e32 v15, 24, v15
	v_bfe_i32 v15, v15, 0, 8
	v_cvt_f32_i32_sdwa v66, sext(v15) dst_sel:DWORD dst_unused:UNUSED_PAD src0_sel:WORD_0
	v_pk_fma_f32 v[0:1], v[10:11], v[4:5], v[0:1] op_sel_hi:[1,0,1]
	v_bfe_i32 v5, v40, 0, 8
	v_bfe_i32 v11, v41, 0, 8
	v_cvt_f32_i32_sdwa v10, sext(v5) dst_sel:DWORD dst_unused:UNUSED_PAD src0_sel:WORD_0
	v_cvt_f32_i32_sdwa v11, sext(v11) dst_sel:DWORD dst_unused:UNUSED_PAD src0_sel:WORD_0
	v_bfe_i32 v18, v48, 0, 8
	v_bfe_i32 v19, v49, 0, 8
	v_cvt_f32_i32_sdwa v19, sext(v19) dst_sel:DWORD dst_unused:UNUSED_PAD src0_sel:WORD_0
	v_pk_fma_f32 v[2:3], v[10:11], v[4:5], v[2:3] op_sel_hi:[1,0,1]
	v_bfe_i32 v5, v42, 0, 8
	v_cvt_f32_i32_sdwa v4, sext(v43) dst_sel:DWORD dst_unused:UNUSED_PAD src0_sel:WORD_0
	v_cvt_f32_i32_sdwa v5, sext(v5) dst_sel:DWORD dst_unused:UNUSED_PAD src0_sel:WORD_0
	v_bfe_i32 v11, v46, 0, 8
	v_cvt_f32_i32_sdwa v10, sext(v47) dst_sel:DWORD dst_unused:UNUSED_PAD src0_sel:WORD_0
	v_cvt_f32_i32_sdwa v11, sext(v11) dst_sel:DWORD dst_unused:UNUSED_PAD src0_sel:WORD_0
	v_pk_fma_f32 v[0:1], v[4:5], v[66:67], v[0:1] op_sel_hi:[1,0,1]
	s_waitcnt vmcnt(2)
	v_bfe_i32 v4, v27, 0, 8
	v_cvt_f32_i32_sdwa v18, sext(v18) dst_sel:DWORD dst_unused:UNUSED_PAD src0_sel:WORD_0
	v_cvt_f32_i32_sdwa v4, sext(v4) dst_sel:DWORD dst_unused:UNUSED_PAD src0_sel:WORD_0
	v_lshrrev_b32_e32 v5, 8, v27
	v_pk_fma_f32 v[2:3], v[6:7], v[66:67], v[2:3] op_sel_hi:[1,0,1]
	v_lshrrev_b32_e32 v6, 16, v27
	v_pk_fma_f32 v[0:1], v[10:11], v[4:5], v[0:1] op_sel_hi:[1,0,1]
	v_pk_fma_f32 v[2:3], v[18:19], v[4:5], v[2:3] op_sel_hi:[1,0,1]
	v_bfe_i32 v5, v5, 0, 8
	v_bfe_i32 v40, v68, 0, 8
	;; [unrolled: 1-line block ×3, first 2 shown]
	v_cvt_f32_i32_sdwa v6, sext(v5) dst_sel:DWORD dst_unused:UNUSED_PAD src0_sel:WORD_0
	v_lshrrev_b32_e32 v7, 24, v27
	s_waitcnt vmcnt(1)
	v_lshrrev_b32_e32 v10, 8, v78
	s_waitcnt vmcnt(0)
	v_bfe_i32 v18, v79, 0, 8
	v_bfe_i32 v41, v69, 0, 8
	;; [unrolled: 1-line block ×4, first 2 shown]
	v_cvt_f32_i32_sdwa v10, sext(v18) dst_sel:DWORD dst_unused:UNUSED_PAD src0_sel:WORD_0
	v_cvt_f32_i32_sdwa v18, sext(v68) dst_sel:DWORD dst_unused:UNUSED_PAD src0_sel:WORD_0
	v_bfe_i32 v38, v64, 0, 8
	v_bfe_i32 v27, v78, 0, 8
	v_pk_fma_f32 v[0:1], v[20:21], v[6:7], v[0:1] op_sel_hi:[1,0,1]
	v_pk_fma_f32 v[2:3], v[22:23], v[6:7], v[2:3] op_sel_hi:[1,0,1]
	v_cvt_f32_i32_sdwa v6, sext(v7) dst_sel:DWORD dst_unused:UNUSED_PAD src0_sel:WORD_0
	v_cvt_f32_i32_sdwa v34, sext(v63) dst_sel:DWORD dst_unused:UNUSED_PAD src0_sel:WORD_0
	;; [unrolled: 1-line block ×5, first 2 shown]
	v_lshrrev_b32_e32 v15, 16, v78
	v_lshrrev_b32_e32 v19, 8, v79
	v_cvt_f32_i32_sdwa v4, sext(v27) dst_sel:DWORD dst_unused:UNUSED_PAD src0_sel:WORD_0
	v_bfe_i32 v43, v71, 0, 8
	v_cvt_f32_i32_sdwa v37, sext(v37) dst_sel:DWORD dst_unused:UNUSED_PAD src0_sel:WORD_0
	v_cvt_f32_i32_sdwa v41, sext(v41) dst_sel:DWORD dst_unused:UNUSED_PAD src0_sel:WORD_0
	;; [unrolled: 1-line block ×3, first 2 shown]
	v_lshrrev_b32_e32 v11, 24, v78
	v_bfe_i32 v15, v15, 0, 8
	v_bfe_i32 v19, v19, 0, 8
	v_cvt_f32_i32_sdwa v20, sext(v69) dst_sel:DWORD dst_unused:UNUSED_PAD src0_sel:WORD_0
	v_cvt_f32_i32_sdwa v42, sext(v70) dst_sel:DWORD dst_unused:UNUSED_PAD src0_sel:WORD_0
	v_bfe_i32 v47, v74, 0, 8
	v_cvt_f32_i32_sdwa v43, sext(v43) dst_sel:DWORD dst_unused:UNUSED_PAD src0_sel:WORD_0
	v_bfe_i32 v48, v76, 0, 8
	v_bfe_i32 v49, v77, 0, 8
	v_lshrrev_b32_e32 v66, 16, v79
	v_bfe_i32 v11, v11, 0, 8
	v_cvt_f32_i32_sdwa v22, sext(v15) dst_sel:DWORD dst_unused:UNUSED_PAD src0_sel:WORD_0
	v_pk_fma_f32 v[0:1], v[24:25], v[18:19], v[0:1] op_sel_hi:[1,0,1]
	v_pk_fma_f32 v[2:3], v[28:29], v[18:19], v[2:3] op_sel_hi:[1,0,1]
	v_cvt_f32_i32_sdwa v46, sext(v75) dst_sel:DWORD dst_unused:UNUSED_PAD src0_sel:WORD_0
	v_bfe_i32 v51, v80, 0, 8
	v_cvt_f32_i32_sdwa v47, sext(v47) dst_sel:DWORD dst_unused:UNUSED_PAD src0_sel:WORD_0
	v_cvt_f32_i32_sdwa v49, sext(v49) dst_sel:DWORD dst_unused:UNUSED_PAD src0_sel:WORD_0
	;; [unrolled: 1-line block ×3, first 2 shown]
	v_bfe_i32 v27, v66, 0, 8
	v_cvt_f32_i32_sdwa v66, sext(v11) dst_sel:DWORD dst_unused:UNUSED_PAD src0_sel:WORD_0
	v_pk_fma_f32 v[0:1], v[30:31], v[6:7], v[0:1] op_sel_hi:[1,0,1]
	v_pk_fma_f32 v[2:3], v[32:33], v[6:7], v[2:3] op_sel_hi:[1,0,1]
	v_cvt_f32_i32_sdwa v50, sext(v81) dst_sel:DWORD dst_unused:UNUSED_PAD src0_sel:WORD_0
	v_cvt_f32_i32_sdwa v51, sext(v51) dst_sel:DWORD dst_unused:UNUSED_PAD src0_sel:WORD_0
	v_pk_fma_f32 v[0:1], v[34:35], v[4:5], v[0:1] op_sel_hi:[1,0,1]
	v_pk_fma_f32 v[2:3], v[38:39], v[4:5], v[2:3] op_sel_hi:[1,0,1]
	v_bfe_i32 v60, v90, 0, 8
	v_lshrrev_b32_e32 v67, 24, v79
	v_cvt_f32_i32_sdwa v24, sext(v19) dst_sel:DWORD dst_unused:UNUSED_PAD src0_sel:WORD_0
	v_pk_fma_f32 v[0:1], v[36:37], v[20:21], v[0:1] op_sel_hi:[1,0,1]
	v_pk_fma_f32 v[2:3], v[40:41], v[20:21], v[2:3] op_sel_hi:[1,0,1]
	v_bfe_i32 v63, v92, 0, 8
	v_cvt_f32_i32_sdwa v60, sext(v60) dst_sel:DWORD dst_unused:UNUSED_PAD src0_sel:WORD_0
	v_bfe_i32 v64, v94, 0, 8
	v_bfe_i32 v65, v95, 0, 8
	;; [unrolled: 1-line block ×3, first 2 shown]
	v_cvt_f32_i32_sdwa v68, sext(v27) dst_sel:DWORD dst_unused:UNUSED_PAD src0_sel:WORD_0
	v_pk_fma_f32 v[0:1], v[42:43], v[22:23], v[0:1] op_sel_hi:[1,0,1]
	v_pk_fma_f32 v[2:3], v[44:45], v[22:23], v[2:3] op_sel_hi:[1,0,1]
	v_cvt_f32_i32_sdwa v62, sext(v93) dst_sel:DWORD dst_unused:UNUSED_PAD src0_sel:WORD_0
	v_cvt_f32_i32_sdwa v63, sext(v63) dst_sel:DWORD dst_unused:UNUSED_PAD src0_sel:WORD_0
	v_cvt_f32_i32_sdwa v65, sext(v65) dst_sel:DWORD dst_unused:UNUSED_PAD src0_sel:WORD_0
	v_cvt_f32_i32_sdwa v64, sext(v64) dst_sel:DWORD dst_unused:UNUSED_PAD src0_sel:WORD_0
	v_cvt_f32_i32_sdwa v18, sext(v67) dst_sel:DWORD dst_unused:UNUSED_PAD src0_sel:WORD_0
	v_pk_fma_f32 v[0:1], v[46:47], v[66:67], v[0:1] op_sel_hi:[1,0,1]
	v_pk_fma_f32 v[2:3], v[48:49], v[66:67], v[2:3] op_sel_hi:[1,0,1]
	;; [unrolled: 1-line block ×10, first 2 shown]
	s_andn2_b64 exec, exec, s[10:11]
	s_cbranch_execnz .LBB79_33
; %bb.34:
	s_or_b64 exec, exec, s[10:11]
.LBB79_35:
	s_or_b64 exec, exec, s[0:1]
.LBB79_36:
	s_or_b64 exec, exec, s[8:9]
.LBB79_37:
	v_mov_b32_dpp v0, v20 row_shr:1 row_mask:0xf bank_mask:0xf
	v_mov_b32_dpp v1, v21 row_shr:1 row_mask:0xf bank_mask:0xf
	;; [unrolled: 1-line block ×4, first 2 shown]
	v_pk_add_f32 v[0:1], v[20:21], v[0:1]
	v_pk_add_f32 v[4:5], v[18:19], v[4:5]
	v_cmp_eq_u32_e32 vcc, 63, v13
	v_mov_b32_dpp v2, v0 row_shr:2 row_mask:0xf bank_mask:0xf
	v_mov_b32_dpp v3, v1 row_shr:2 row_mask:0xf bank_mask:0xf
	v_mov_b32_dpp v6, v4 row_shr:2 row_mask:0xf bank_mask:0xf
	v_mov_b32_dpp v7, v5 row_shr:2 row_mask:0xf bank_mask:0xf
	v_pk_add_f32 v[0:1], v[0:1], v[2:3]
	v_pk_add_f32 v[4:5], v[4:5], v[6:7]
	s_nop 0
	v_mov_b32_dpp v2, v0 row_shr:4 row_mask:0xf bank_mask:0xe
	v_mov_b32_dpp v3, v1 row_shr:4 row_mask:0xf bank_mask:0xe
	v_mov_b32_dpp v6, v4 row_shr:4 row_mask:0xf bank_mask:0xe
	v_mov_b32_dpp v7, v5 row_shr:4 row_mask:0xf bank_mask:0xe
	v_pk_add_f32 v[0:1], v[0:1], v[2:3]
	v_pk_add_f32 v[4:5], v[4:5], v[6:7]
	s_nop 0
	;; [unrolled: 7-line block ×3, first 2 shown]
	v_mov_b32_dpp v2, v0 row_bcast:15 row_mask:0xa bank_mask:0xf
	v_mov_b32_dpp v3, v1 row_bcast:15 row_mask:0xa bank_mask:0xf
	;; [unrolled: 1-line block ×4, first 2 shown]
	v_pk_add_f32 v[0:1], v[0:1], v[2:3]
	v_pk_add_f32 v[4:5], v[4:5], v[6:7]
	s_nop 0
	v_mov_b32_dpp v2, v0 row_bcast:31 row_mask:0xc bank_mask:0xf
	v_mov_b32_dpp v3, v1 row_bcast:31 row_mask:0xc bank_mask:0xf
	;; [unrolled: 1-line block ×4, first 2 shown]
	s_and_b64 exec, exec, vcc
	s_cbranch_execz .LBB79_10
; %bb.38:
	s_load_dwordx2 s[0:1], s[4:5], 0x50
	v_cmp_eq_f32_e64 s[4:5], s16, 0
	v_pk_add_f32 v[2:3], v[0:1], v[2:3]
	v_pk_add_f32 v[0:1], v[4:5], v[6:7]
	s_and_b64 vcc, exec, s[4:5]
	v_lshlrev_b32_e32 v4, 2, v12
	s_cbranch_vccz .LBB79_40
; %bb.39:
	v_ashrrev_i32_e32 v5, 31, v4
	v_lshlrev_b64 v[6:7], 2, v[4:5]
	s_waitcnt lgkmcnt(0)
	v_mov_b32_e32 v5, s1
	v_add_co_u32_e32 v10, vcc, s0, v6
	v_addc_co_u32_e32 v11, vcc, v5, v7, vcc
	v_pk_mul_f32 v[6:7], s[2:3], v[2:3] op_sel_hi:[0,1]
	v_pk_mul_f32 v[8:9], s[2:3], v[0:1] op_sel_hi:[0,1]
	global_store_dwordx4 v[10:11], v[6:9], off
	s_cbranch_execnz .LBB79_10
	s_branch .LBB79_41
.LBB79_40:
.LBB79_41:
	v_ashrrev_i32_e32 v5, 31, v4
	v_lshlrev_b64 v[4:5], 2, v[4:5]
	s_waitcnt lgkmcnt(0)
	v_mov_b32_e32 v6, s1
	v_add_co_u32_e32 v8, vcc, s0, v4
	v_addc_co_u32_e32 v9, vcc, v6, v5, vcc
	global_load_dwordx4 v[4:7], v[8:9], off
	v_pk_mul_f32 v[2:3], s[2:3], v[2:3] op_sel_hi:[0,1]
	v_pk_mul_f32 v[10:11], s[2:3], v[0:1] op_sel_hi:[0,1]
	s_waitcnt vmcnt(0)
	v_pk_fma_f32 v[0:1], s[16:17], v[4:5], v[2:3] op_sel_hi:[0,1,1]
	v_pk_fma_f32 v[2:3], s[16:17], v[6:7], v[10:11] op_sel_hi:[0,1,1]
	global_store_dwordx4 v[8:9], v[0:3], off
	s_endpgm
	.section	.rodata,"a",@progbits
	.p2align	6, 0x0
	.amdhsa_kernel _ZN9rocsparseL18bsrxmvn_4x4_kernelILj128ELj64EfiiaafEEvT3_20rocsparse_direction_NS_24const_host_device_scalarIT1_EES1_PKS1_PKT2_SA_S7_PKT4_PKT5_S5_PT6_21rocsparse_index_base_b
		.amdhsa_group_segment_fixed_size 0
		.amdhsa_private_segment_fixed_size 0
		.amdhsa_kernarg_size 96
		.amdhsa_user_sgpr_count 6
		.amdhsa_user_sgpr_private_segment_buffer 1
		.amdhsa_user_sgpr_dispatch_ptr 0
		.amdhsa_user_sgpr_queue_ptr 0
		.amdhsa_user_sgpr_kernarg_segment_ptr 1
		.amdhsa_user_sgpr_dispatch_id 0
		.amdhsa_user_sgpr_flat_scratch_init 0
		.amdhsa_user_sgpr_kernarg_preload_length 0
		.amdhsa_user_sgpr_kernarg_preload_offset 0
		.amdhsa_user_sgpr_private_segment_size 0
		.amdhsa_uses_dynamic_stack 0
		.amdhsa_system_sgpr_private_segment_wavefront_offset 0
		.amdhsa_system_sgpr_workgroup_id_x 1
		.amdhsa_system_sgpr_workgroup_id_y 0
		.amdhsa_system_sgpr_workgroup_id_z 0
		.amdhsa_system_sgpr_workgroup_info 0
		.amdhsa_system_vgpr_workitem_id 0
		.amdhsa_next_free_vgpr 96
		.amdhsa_next_free_sgpr 20
		.amdhsa_accum_offset 96
		.amdhsa_reserve_vcc 1
		.amdhsa_reserve_flat_scratch 0
		.amdhsa_float_round_mode_32 0
		.amdhsa_float_round_mode_16_64 0
		.amdhsa_float_denorm_mode_32 3
		.amdhsa_float_denorm_mode_16_64 3
		.amdhsa_dx10_clamp 1
		.amdhsa_ieee_mode 1
		.amdhsa_fp16_overflow 0
		.amdhsa_tg_split 0
		.amdhsa_exception_fp_ieee_invalid_op 0
		.amdhsa_exception_fp_denorm_src 0
		.amdhsa_exception_fp_ieee_div_zero 0
		.amdhsa_exception_fp_ieee_overflow 0
		.amdhsa_exception_fp_ieee_underflow 0
		.amdhsa_exception_fp_ieee_inexact 0
		.amdhsa_exception_int_div_zero 0
	.end_amdhsa_kernel
	.section	.text._ZN9rocsparseL18bsrxmvn_4x4_kernelILj128ELj64EfiiaafEEvT3_20rocsparse_direction_NS_24const_host_device_scalarIT1_EES1_PKS1_PKT2_SA_S7_PKT4_PKT5_S5_PT6_21rocsparse_index_base_b,"axG",@progbits,_ZN9rocsparseL18bsrxmvn_4x4_kernelILj128ELj64EfiiaafEEvT3_20rocsparse_direction_NS_24const_host_device_scalarIT1_EES1_PKS1_PKT2_SA_S7_PKT4_PKT5_S5_PT6_21rocsparse_index_base_b,comdat
.Lfunc_end79:
	.size	_ZN9rocsparseL18bsrxmvn_4x4_kernelILj128ELj64EfiiaafEEvT3_20rocsparse_direction_NS_24const_host_device_scalarIT1_EES1_PKS1_PKT2_SA_S7_PKT4_PKT5_S5_PT6_21rocsparse_index_base_b, .Lfunc_end79-_ZN9rocsparseL18bsrxmvn_4x4_kernelILj128ELj64EfiiaafEEvT3_20rocsparse_direction_NS_24const_host_device_scalarIT1_EES1_PKS1_PKT2_SA_S7_PKT4_PKT5_S5_PT6_21rocsparse_index_base_b
                                        ; -- End function
	.section	.AMDGPU.csdata,"",@progbits
; Kernel info:
; codeLenInByte = 6556
; NumSgprs: 24
; NumVgprs: 96
; NumAgprs: 0
; TotalNumVgprs: 96
; ScratchSize: 0
; MemoryBound: 0
; FloatMode: 240
; IeeeMode: 1
; LDSByteSize: 0 bytes/workgroup (compile time only)
; SGPRBlocks: 2
; VGPRBlocks: 11
; NumSGPRsForWavesPerEU: 24
; NumVGPRsForWavesPerEU: 96
; AccumOffset: 96
; Occupancy: 5
; WaveLimiterHint : 1
; COMPUTE_PGM_RSRC2:SCRATCH_EN: 0
; COMPUTE_PGM_RSRC2:USER_SGPR: 6
; COMPUTE_PGM_RSRC2:TRAP_HANDLER: 0
; COMPUTE_PGM_RSRC2:TGID_X_EN: 1
; COMPUTE_PGM_RSRC2:TGID_Y_EN: 0
; COMPUTE_PGM_RSRC2:TGID_Z_EN: 0
; COMPUTE_PGM_RSRC2:TIDIG_COMP_CNT: 0
; COMPUTE_PGM_RSRC3_GFX90A:ACCUM_OFFSET: 23
; COMPUTE_PGM_RSRC3_GFX90A:TG_SPLIT: 0
	.section	.text._ZN9rocsparseL18bsrxmvn_4x4_kernelILj128ELj4EfliaafEEvT3_20rocsparse_direction_NS_24const_host_device_scalarIT1_EES1_PKS1_PKT2_SA_S7_PKT4_PKT5_S5_PT6_21rocsparse_index_base_b,"axG",@progbits,_ZN9rocsparseL18bsrxmvn_4x4_kernelILj128ELj4EfliaafEEvT3_20rocsparse_direction_NS_24const_host_device_scalarIT1_EES1_PKS1_PKT2_SA_S7_PKT4_PKT5_S5_PT6_21rocsparse_index_base_b,comdat
	.globl	_ZN9rocsparseL18bsrxmvn_4x4_kernelILj128ELj4EfliaafEEvT3_20rocsparse_direction_NS_24const_host_device_scalarIT1_EES1_PKS1_PKT2_SA_S7_PKT4_PKT5_S5_PT6_21rocsparse_index_base_b ; -- Begin function _ZN9rocsparseL18bsrxmvn_4x4_kernelILj128ELj4EfliaafEEvT3_20rocsparse_direction_NS_24const_host_device_scalarIT1_EES1_PKS1_PKT2_SA_S7_PKT4_PKT5_S5_PT6_21rocsparse_index_base_b
	.p2align	8
	.type	_ZN9rocsparseL18bsrxmvn_4x4_kernelILj128ELj4EfliaafEEvT3_20rocsparse_direction_NS_24const_host_device_scalarIT1_EES1_PKS1_PKT2_SA_S7_PKT4_PKT5_S5_PT6_21rocsparse_index_base_b,@function
_ZN9rocsparseL18bsrxmvn_4x4_kernelILj128ELj4EfliaafEEvT3_20rocsparse_direction_NS_24const_host_device_scalarIT1_EES1_PKS1_PKT2_SA_S7_PKT4_PKT5_S5_PT6_21rocsparse_index_base_b: ; @_ZN9rocsparseL18bsrxmvn_4x4_kernelILj128ELj4EfliaafEEvT3_20rocsparse_direction_NS_24const_host_device_scalarIT1_EES1_PKS1_PKT2_SA_S7_PKT4_PKT5_S5_PT6_21rocsparse_index_base_b
; %bb.0:
	s_load_dwordx2 s[20:21], s[4:5], 0x58
	s_load_dwordx2 s[16:17], s[4:5], 0x8
	;; [unrolled: 1-line block ×3, first 2 shown]
	s_waitcnt lgkmcnt(0)
	s_bitcmp1_b32 s21, 0
	s_cselect_b64 s[2:3], -1, 0
	s_xor_b64 s[0:1], s[2:3], -1
	s_and_b64 vcc, exec, s[2:3]
	s_cbranch_vccnz .LBB80_2
; %bb.1:
	s_load_dword s16, s[16:17], 0x0
.LBB80_2:
	s_andn2_b64 vcc, exec, s[0:1]
	s_cbranch_vccnz .LBB80_4
; %bb.3:
	s_load_dword s18, s[18:19], 0x0
.LBB80_4:
	s_waitcnt lgkmcnt(0)
	v_cmp_neq_f32_e64 s[0:1], s16, 0
	v_cmp_neq_f32_e64 s[2:3], s18, 1.0
	s_or_b64 s[0:1], s[0:1], s[2:3]
	s_andn2_b64 vcc, exec, s[0:1]
	s_cbranch_vccnz .LBB80_10
; %bb.5:
	s_load_dwordx2 s[8:9], s[4:5], 0x18
	s_load_dwordx2 s[0:1], s[4:5], 0x0
	v_lshrrev_b32_e32 v1, 2, v0
	v_lshl_or_b32 v16, s6, 5, v1
	s_mov_b64 s[2:3], 0
	s_waitcnt lgkmcnt(0)
	s_cmp_lg_u64 s[8:9], 0
	s_cbranch_scc0 .LBB80_11
; %bb.6:
	s_load_dword s6, s[4:5], 0x10
                                        ; implicit-def: $vgpr1
	s_waitcnt lgkmcnt(0)
	v_cmp_gt_i32_e32 vcc, s6, v16
	s_and_saveexec_b64 s[6:7], vcc
	s_xor_b64 s[6:7], exec, s[6:7]
	s_cbranch_execz .LBB80_8
; %bb.7:
	v_ashrrev_i32_e32 v17, 31, v16
	v_lshlrev_b64 v[2:3], 2, v[16:17]
	v_mov_b32_e32 v1, s9
	v_add_co_u32_e32 v2, vcc, s8, v2
	v_addc_co_u32_e32 v3, vcc, v1, v3, vcc
	global_load_dword v1, v[2:3], off
	s_mov_b64 s[2:3], exec
	s_waitcnt vmcnt(0)
	v_subrev_u32_e32 v1, s20, v1
.LBB80_8:
	s_or_b64 exec, exec, s[6:7]
	s_branch .LBB80_12
.LBB80_9:
	v_cmp_gt_i32_e32 vcc, s0, v16
	s_andn2_b64 s[2:3], s[2:3], exec
	s_and_b64 s[6:7], vcc, exec
	s_or_b64 s[2:3], s[2:3], s[6:7]
	s_and_saveexec_b64 s[6:7], s[2:3]
	s_cbranch_execnz .LBB80_13
.LBB80_10:
	s_endpgm
.LBB80_11:
                                        ; implicit-def: $vgpr1
	s_cbranch_execnz .LBB80_9
.LBB80_12:
	v_mov_b32_e32 v16, v1
	s_and_saveexec_b64 s[6:7], s[2:3]
	s_cbranch_execz .LBB80_10
.LBB80_13:
	s_load_dwordx8 s[8:15], s[4:5], 0x20
	v_ashrrev_i32_e32 v17, 31, v16
	v_lshlrev_b64 v[2:3], 3, v[16:17]
	v_and_b32_e32 v18, 3, v0
	s_mov_b32 s17, 0
	s_waitcnt lgkmcnt(0)
	v_mov_b32_e32 v1, s9
	v_add_co_u32_e32 v4, vcc, s8, v2
	v_addc_co_u32_e32 v5, vcc, v1, v3, vcc
	v_add_co_u32_e32 v1, vcc, 8, v4
	global_load_dwordx2 v[30:31], v[4:5], off
	v_addc_co_u32_e32 v4, vcc, 0, v5, vcc
	v_mov_b32_e32 v5, s11
	v_add_co_u32_e32 v2, vcc, s10, v2
	s_cmp_eq_u64 s[10:11], 0
	v_addc_co_u32_e32 v3, vcc, v5, v3, vcc
	s_cselect_b64 vcc, -1, 0
	v_cndmask_b32_e32 v3, v3, v4, vcc
	v_cndmask_b32_e32 v2, v2, v1, vcc
	global_load_dwordx2 v[2:3], v[2:3], off
	s_load_dwordx2 s[10:11], s[4:5], 0x40
	v_mov_b32_e32 v4, s15
	v_mov_b32_e32 v27, 0
	s_cmp_eq_u32 s1, 1
	s_waitcnt vmcnt(1)
	v_subrev_co_u32_e32 v0, vcc, s20, v30
	v_subbrev_co_u32_e32 v1, vcc, 0, v31, vcc
	v_add_co_u32_e32 v20, vcc, v0, v18
	v_addc_co_u32_e32 v21, vcc, 0, v1, vcc
	v_lshlrev_b64 v[0:1], 4, v[20:21]
	s_waitcnt vmcnt(0)
	v_subrev_co_u32_e32 v22, vcc, s20, v2
	v_subbrev_co_u32_e32 v23, vcc, 0, v3, vcc
	v_add_co_u32_e32 v24, vcc, s14, v0
	v_addc_co_u32_e32 v25, vcc, v4, v1, vcc
	v_cmp_lt_i64_e64 s[0:1], v[20:21], v[22:23]
	s_cbranch_scc1 .LBB80_25
; %bb.14:
	v_mov_b32_e32 v26, 0
	v_mov_b32_e32 v29, 0
	v_mov_b32_e32 v28, 0
	s_and_saveexec_b64 s[14:15], s[0:1]
	s_cbranch_execz .LBB80_24
; %bb.15:
	v_or_b32_e32 v0, 4, v18
	v_mov_b32_e32 v1, s17
	v_subrev_co_u32_e32 v0, vcc, s20, v0
	v_subb_co_u32_e32 v1, vcc, 0, v1, vcc
	v_add_co_u32_e32 v0, vcc, v0, v30
	v_addc_co_u32_e32 v1, vcc, v1, v31, vcc
	v_cmp_gt_i64_e32 vcc, v[0:1], v[22:23]
	v_cndmask_b32_e32 v1, v23, v1, vcc
	v_cndmask_b32_e32 v0, v22, v0, vcc
	v_mov_b32_e32 v4, s17
	v_sub_co_u32_e32 v5, vcc, s20, v18
	v_not_b32_e32 v3, v30
	v_subbrev_co_u32_e32 v4, vcc, 0, v4, vcc
	v_not_b32_e32 v2, v31
	v_add_co_u32_e32 v3, vcc, v5, v3
	v_addc_co_u32_e32 v2, vcc, v4, v2, vcc
	v_add_co_u32_e32 v0, vcc, v3, v0
	v_addc_co_u32_e32 v1, vcc, v2, v1, vcc
	v_lshrrev_b32_e32 v2, 2, v0
	v_add_u32_e32 v2, 1, v2
	v_and_b32_e32 v2, 3, v2
	v_mov_b32_e32 v28, 0
	v_cmp_ne_u32_e32 vcc, 0, v2
	v_mov_b32_e32 v29, v28
	v_mov_b32_e32 v26, v28
	;; [unrolled: 1-line block ×3, first 2 shown]
	v_pk_mov_b32 v[32:33], v[20:21], v[20:21] op_sel:[0,1]
	v_pk_mov_b32 v[34:35], v[24:25], v[24:25] op_sel:[0,1]
	s_and_saveexec_b64 s[2:3], vcc
	s_cbranch_execz .LBB80_19
; %bb.16:
	v_lshlrev_b64 v[4:5], 2, v[20:21]
	v_mov_b32_e32 v3, 0
	v_mov_b32_e32 v6, s13
	v_add_co_u32_e32 v4, vcc, s12, v4
	v_addc_co_u32_e32 v5, vcc, v6, v5, vcc
	v_lshlrev_b32_e32 v2, 2, v2
	s_mov_b64 s[6:7], 0
	s_waitcnt lgkmcnt(0)
	v_mov_b32_e32 v6, s11
	v_pk_mov_b32 v[34:35], v[24:25], v[24:25] op_sel:[0,1]
	v_pk_mov_b32 v[32:33], v[20:21], v[20:21] op_sel:[0,1]
	v_mov_b32_e32 v28, v3
	v_mov_b32_e32 v29, v3
	;; [unrolled: 1-line block ×4, first 2 shown]
.LBB80_17:                              ; =>This Inner Loop Header: Depth=1
	global_load_dword v7, v[4:5], off
	global_load_dwordx4 v[8:11], v[34:35], off
	s_waitcnt vmcnt(1)
	v_subrev_u32_e32 v7, s20, v7
	v_lshlrev_b32_e32 v7, 2, v7
	v_ashrrev_i32_e32 v13, 31, v7
	v_add_co_u32_e32 v12, vcc, s10, v7
	v_addc_co_u32_e32 v13, vcc, v6, v13, vcc
	global_load_dword v7, v[12:13], off
	s_waitcnt vmcnt(1)
	v_lshrrev_b32_e32 v13, 8, v8
	v_bfe_i32 v15, v9, 0, 8
	v_lshrrev_b32_e32 v17, 8, v9
	v_lshrrev_b32_e32 v19, 16, v9
	;; [unrolled: 1-line block ×6, first 2 shown]
	v_add_co_u32_e32 v34, vcc, 64, v34
	v_bfe_i32 v39, v11, 0, 8
	v_lshrrev_b32_e32 v41, 16, v11
	v_lshrrev_b32_e32 v11, 24, v11
	v_bfe_i32 v42, v13, 0, 8
	v_bfe_i32 v13, v17, 0, 8
	;; [unrolled: 1-line block ×7, first 2 shown]
	v_addc_co_u32_e32 v35, vcc, 0, v35, vcc
	v_bfe_i32 v12, v8, 0, 8
	v_lshrrev_b32_e32 v14, 16, v8
	v_lshrrev_b32_e32 v8, 24, v8
	v_bfe_i32 v36, v10, 0, 8
	v_lshrrev_b32_e32 v10, 24, v10
	v_bfe_i32 v40, v41, 0, 8
	v_bfe_i32 v47, v11, 0, 8
	v_cvt_f32_i32_sdwa v11, sext(v39) dst_sel:DWORD dst_unused:UNUSED_PAD src0_sel:WORD_0
	v_cvt_f32_i32_sdwa v37, sext(v19) dst_sel:DWORD dst_unused:UNUSED_PAD src0_sel:WORD_0
	;; [unrolled: 1-line block ×4, first 2 shown]
	v_add_co_u32_e32 v32, vcc, 4, v32
	v_bfe_i32 v43, v8, 0, 8
	v_bfe_i32 v46, v10, 0, 8
	v_cvt_f32_i32_sdwa v9, sext(v15) dst_sel:DWORD dst_unused:UNUSED_PAD src0_sel:WORD_0
	v_cvt_f32_i32_sdwa v8, sext(v12) dst_sel:DWORD dst_unused:UNUSED_PAD src0_sel:WORD_0
	;; [unrolled: 1-line block ×6, first 2 shown]
	v_addc_co_u32_e32 v33, vcc, 0, v33, vcc
	v_bfe_i32 v14, v14, 0, 8
	v_cvt_f32_i32_sdwa v13, sext(v13) dst_sel:DWORD dst_unused:UNUSED_PAD src0_sel:WORD_0
	v_cvt_f32_i32_sdwa v12, sext(v42) dst_sel:DWORD dst_unused:UNUSED_PAD src0_sel:WORD_0
	;; [unrolled: 1-line block ×3, first 2 shown]
	v_add_co_u32_e32 v4, vcc, 16, v4
	v_cvt_f32_i32_sdwa v14, sext(v14) dst_sel:DWORD dst_unused:UNUSED_PAD src0_sel:WORD_0
	v_addc_co_u32_e32 v5, vcc, 0, v5, vcc
	v_cvt_f32_i32_sdwa v36, sext(v43) dst_sel:DWORD dst_unused:UNUSED_PAD src0_sel:WORD_0
	v_cvt_f32_i32_sdwa v43, sext(v47) dst_sel:DWORD dst_unused:UNUSED_PAD src0_sel:WORD_0
	v_add_co_u32_e32 v2, vcc, -4, v2
	v_addc_co_u32_e32 v3, vcc, -1, v3, vcc
	v_cmp_eq_u64_e32 vcc, 0, v[2:3]
	s_or_b64 s[6:7], vcc, s[6:7]
	s_waitcnt vmcnt(0)
	v_bfe_i32 v19, v7, 0, 8
	v_lshrrev_b32_e32 v44, 8, v7
	v_lshrrev_b32_e32 v17, 16, v7
	v_bfe_i32 v45, v44, 0, 8
	v_cvt_f32_i32_sdwa v44, sext(v19) dst_sel:DWORD dst_unused:UNUSED_PAD src0_sel:WORD_0
	v_lshrrev_b32_e32 v7, 24, v7
	v_bfe_i32 v17, v17, 0, 8
	v_cvt_f32_i32_sdwa v46, sext(v45) dst_sel:DWORD dst_unused:UNUSED_PAD src0_sel:WORD_0
	v_bfe_i32 v7, v7, 0, 8
	v_cvt_f32_i32_sdwa v48, sext(v17) dst_sel:DWORD dst_unused:UNUSED_PAD src0_sel:WORD_0
	v_cvt_f32_i32_sdwa v50, sext(v7) dst_sel:DWORD dst_unused:UNUSED_PAD src0_sel:WORD_0
	v_pk_fma_f32 v[8:9], v[8:9], v[44:45], v[28:29] op_sel_hi:[1,0,1]
	v_pk_fma_f32 v[10:11], v[10:11], v[44:45], v[26:27] op_sel_hi:[1,0,1]
	;; [unrolled: 1-line block ×8, first 2 shown]
	s_andn2_b64 exec, exec, s[6:7]
	s_cbranch_execnz .LBB80_17
; %bb.18:
	s_or_b64 exec, exec, s[6:7]
.LBB80_19:
	s_or_b64 exec, exec, s[2:3]
	v_cmp_lt_u64_e32 vcc, 11, v[0:1]
	s_and_saveexec_b64 s[22:23], vcc
	s_cbranch_execz .LBB80_23
; %bb.20:
	v_lshlrev_b64 v[0:1], 2, v[32:33]
	v_mov_b32_e32 v2, s13
	v_add_co_u32_e32 v0, vcc, s12, v0
	v_addc_co_u32_e32 v1, vcc, v1, v2, vcc
	v_add_co_u32_e32 v36, vcc, 32, v0
	v_addc_co_u32_e32 v37, vcc, 0, v1, vcc
	s_mov_b64 s[24:25], 0
	s_waitcnt lgkmcnt(0)
	v_mov_b32_e32 v17, s11
.LBB80_21:                              ; =>This Inner Loop Header: Depth=1
	global_load_dwordx4 v[0:3], v[34:35], off
	global_load_dwordx4 v[4:7], v[34:35], off offset:64
	global_load_dwordx4 v[8:11], v[34:35], off offset:128
	;; [unrolled: 1-line block ×3, first 2 shown]
	global_load_dword v19, v[36:37], off offset:-32
	global_load_dword v38, v[36:37], off offset:-16
	global_load_dword v39, v[36:37], off
	global_load_dword v40, v[36:37], off offset:16
	v_add_co_u32_e32 v32, vcc, 16, v32
	v_addc_co_u32_e32 v33, vcc, 0, v33, vcc
	v_add_co_u32_e32 v36, vcc, 64, v36
	v_addc_co_u32_e32 v37, vcc, 0, v37, vcc
	v_add_co_u32_e32 v34, vcc, 0x100, v34
	v_cmp_ge_i64_e64 s[2:3], v[32:33], v[22:23]
	v_addc_co_u32_e32 v35, vcc, 0, v35, vcc
	s_or_b64 s[24:25], s[2:3], s[24:25]
	s_waitcnt vmcnt(7)
	v_bfe_i32 v41, v0, 0, 8
	v_lshrrev_b32_e32 v42, 8, v0
	v_lshrrev_b32_e32 v45, 8, v1
	;; [unrolled: 1-line block ×5, first 2 shown]
	s_waitcnt vmcnt(5)
	v_lshrrev_b32_e32 v68, 16, v8
	s_waitcnt vmcnt(3)
	v_subrev_u32_e32 v19, s20, v19
	v_lshrrev_b32_e32 v43, 16, v0
	v_lshrrev_b32_e32 v44, 24, v0
	v_bfe_i32 v0, v1, 0, 8
	v_lshrrev_b32_e32 v46, 16, v1
	v_lshrrev_b32_e32 v47, 24, v1
	v_bfe_i32 v1, v2, 0, 8
	;; [unrolled: 3-line block ×3, first 2 shown]
	v_lshrrev_b32_e32 v53, 24, v3
	v_bfe_i32 v54, v4, 0, 8
	v_bfe_i32 v66, v8, 0, 8
	v_lshrrev_b32_e32 v67, 8, v8
	v_lshrrev_b32_e32 v8, 24, v8
	;; [unrolled: 1-line block ×4, first 2 shown]
	v_bfe_i32 v72, v10, 0, 8
	v_lshrrev_b32_e32 v73, 8, v10
	v_lshrrev_b32_e32 v74, 16, v10
	;; [unrolled: 1-line block ×5, first 2 shown]
	v_bfe_i32 v3, v12, 0, 8
	v_bfe_i32 v86, v15, 0, 8
	s_waitcnt vmcnt(2)
	v_subrev_u32_e32 v38, s20, v38
	s_waitcnt vmcnt(1)
	v_subrev_u32_e32 v39, s20, v39
	;; [unrolled: 2-line block ×3, first 2 shown]
	v_lshlrev_b32_e32 v19, 2, v19
	v_cvt_f32_i32_sdwa v89, sext(v41) dst_sel:DWORD dst_unused:UNUSED_PAD src0_sel:WORD_0
	v_bfe_i32 v41, v42, 0, 8
	v_bfe_i32 v42, v45, 0, 8
	;; [unrolled: 1-line block ×6, first 2 shown]
	v_lshrrev_b32_e32 v55, 8, v4
	v_lshrrev_b32_e32 v56, 16, v4
	v_lshrrev_b32_e32 v4, 24, v4
	v_bfe_i32 v57, v5, 0, 8
	v_lshrrev_b32_e32 v58, 8, v5
	v_lshrrev_b32_e32 v59, 16, v5
	v_lshrrev_b32_e32 v5, 24, v5
	v_bfe_i32 v60, v6, 0, 8
	v_lshrrev_b32_e32 v61, 8, v6
	v_lshrrev_b32_e32 v62, 16, v6
	v_lshrrev_b32_e32 v6, 24, v6
	v_bfe_i32 v63, v7, 0, 8
	v_lshrrev_b32_e32 v64, 8, v7
	v_lshrrev_b32_e32 v65, 16, v7
	v_lshrrev_b32_e32 v7, 24, v7
	v_bfe_i32 v69, v9, 0, 8
	v_lshrrev_b32_e32 v9, 24, v9
	v_lshrrev_b32_e32 v78, 8, v12
	;; [unrolled: 1-line block ×4, first 2 shown]
	v_bfe_i32 v80, v13, 0, 8
	v_lshrrev_b32_e32 v81, 8, v13
	v_lshrrev_b32_e32 v82, 16, v13
	;; [unrolled: 1-line block ×3, first 2 shown]
	v_bfe_i32 v83, v14, 0, 8
	v_lshrrev_b32_e32 v84, 8, v14
	v_lshrrev_b32_e32 v85, 16, v14
	;; [unrolled: 1-line block ×3, first 2 shown]
	v_lshlrev_b32_e32 v38, 2, v38
	v_lshlrev_b32_e32 v39, 2, v39
	v_lshlrev_b32_e32 v40, 2, v40
	v_cvt_f32_i32_sdwa v90, sext(v0) dst_sel:DWORD dst_unused:UNUSED_PAD src0_sel:WORD_0
	v_cvt_f32_i32_sdwa v0, sext(v3) dst_sel:DWORD dst_unused:UNUSED_PAD src0_sel:WORD_0
	;; [unrolled: 1-line block ×3, first 2 shown]
	v_bfe_i32 v68, v71, 0, 8
	v_bfe_i32 v71, v74, 0, 8
	;; [unrolled: 1-line block ×6, first 2 shown]
	v_cvt_f32_i32_sdwa v101, sext(v54) dst_sel:DWORD dst_unused:UNUSED_PAD src0_sel:WORD_0
	v_bfe_i32 v54, v67, 0, 8
	v_bfe_i32 v67, v70, 0, 8
	;; [unrolled: 1-line block ×4, first 2 shown]
	v_ashrrev_i32_e32 v76, 31, v19
	v_cvt_f32_i32_sdwa v10, sext(v52) dst_sel:DWORD dst_unused:UNUSED_PAD src0_sel:WORD_0
	v_add_co_u32_e64 v52, s[8:9], s10, v19
	v_lshrrev_b32_e32 v87, 8, v15
	v_lshrrev_b32_e32 v88, 16, v15
	;; [unrolled: 1-line block ×3, first 2 shown]
	v_cvt_f32_i32_sdwa v91, sext(v1) dst_sel:DWORD dst_unused:UNUSED_PAD src0_sel:WORD_0
	v_cvt_f32_i32_sdwa v92, sext(v2) dst_sel:DWORD dst_unused:UNUSED_PAD src0_sel:WORD_0
	v_bfe_i32 v43, v43, 0, 8
	v_cvt_f32_i32_sdwa v1, sext(v80) dst_sel:DWORD dst_unused:UNUSED_PAD src0_sel:WORD_0
	v_cvt_f32_i32_sdwa v2, sext(v83) dst_sel:DWORD dst_unused:UNUSED_PAD src0_sel:WORD_0
	v_bfe_i32 v9, v9, 0, 8
	v_bfe_i32 v78, v78, 0, 8
	;; [unrolled: 1-line block ×12, first 2 shown]
	v_ashrrev_i32_e32 v102, 31, v38
	v_add_co_u32_e32 v4, vcc, s10, v38
	v_ashrrev_i32_e32 v103, 31, v39
	v_add_co_u32_e64 v6, s[2:3], s10, v39
	v_ashrrev_i32_e32 v104, 31, v40
	v_add_co_u32_e64 v8, s[6:7], s10, v40
	v_cvt_f32_i32_sdwa v14, sext(v77) dst_sel:DWORD dst_unused:UNUSED_PAD src0_sel:WORD_0
	v_cvt_f32_i32_sdwa v77, sext(v53) dst_sel:DWORD dst_unused:UNUSED_PAD src0_sel:WORD_0
	v_addc_co_u32_e64 v53, s[8:9], v17, v76, s[8:9]
	v_bfe_i32 v95, v15, 0, 8
	v_cvt_f32_i32_sdwa v106, sext(v42) dst_sel:DWORD dst_unused:UNUSED_PAD src0_sel:WORD_0
	v_cvt_f32_i32_sdwa v109, sext(v43) dst_sel:DWORD dst_unused:UNUSED_PAD src0_sel:WORD_0
	v_cvt_f32_i32_sdwa v15, sext(v9) dst_sel:DWORD dst_unused:UNUSED_PAD src0_sel:WORD_0
	v_cvt_f32_i32_sdwa v39, sext(v80) dst_sel:DWORD dst_unused:UNUSED_PAD src0_sel:WORD_0
	v_cvt_f32_i32_sdwa v38, sext(v78) dst_sel:DWORD dst_unused:UNUSED_PAD src0_sel:WORD_0
	v_cvt_f32_i32_sdwa v43, sext(v83) dst_sel:DWORD dst_unused:UNUSED_PAD src0_sel:WORD_0
	v_cvt_f32_i32_sdwa v42, sext(v82) dst_sel:DWORD dst_unused:UNUSED_PAD src0_sel:WORD_0
	v_cvt_f32_i32_sdwa v78, sext(v56) dst_sel:DWORD dst_unused:UNUSED_PAD src0_sel:WORD_0
	v_cvt_f32_i32_sdwa v80, sext(v5) dst_sel:DWORD dst_unused:UNUSED_PAD src0_sel:WORD_0
	v_cvt_f32_i32_sdwa v82, sext(v7) dst_sel:DWORD dst_unused:UNUSED_PAD src0_sel:WORD_0
	v_cvt_f32_i32_sdwa v83, sext(v54) dst_sel:DWORD dst_unused:UNUSED_PAD src0_sel:WORD_0
	v_addc_co_u32_e32 v5, vcc, v17, v102, vcc
	v_addc_co_u32_e64 v7, vcc, v17, v103, s[2:3]
	v_addc_co_u32_e64 v9, vcc, v17, v104, s[6:7]
	global_load_dword v19, v[52:53], off
	global_load_dword v54, v[4:5], off
	;; [unrolled: 1-line block ×4, first 2 shown]
	v_bfe_i32 v87, v87, 0, 8
	v_bfe_i32 v97, v47, 0, 8
	v_cvt_f32_i32_sdwa v47, sext(v87) dst_sel:DWORD dst_unused:UNUSED_PAD src0_sel:WORD_0
	v_bfe_i32 v46, v46, 0, 8
	v_bfe_i32 v49, v49, 0, 8
	;; [unrolled: 1-line block ×4, first 2 shown]
	v_cvt_f32_i32_sdwa v105, sext(v41) dst_sel:DWORD dst_unused:UNUSED_PAD src0_sel:WORD_0
	v_cvt_f32_i32_sdwa v107, sext(v45) dst_sel:DWORD dst_unused:UNUSED_PAD src0_sel:WORD_0
	;; [unrolled: 1-line block ×4, first 2 shown]
	v_bfe_i32 v75, v11, 0, 8
	v_lshrrev_b32_e32 v11, 24, v11
	v_bfe_i32 v98, v50, 0, 8
	v_cvt_f32_i32_sdwa v110, sext(v46) dst_sel:DWORD dst_unused:UNUSED_PAD src0_sel:WORD_0
	v_cvt_f32_i32_sdwa v111, sext(v49) dst_sel:DWORD dst_unused:UNUSED_PAD src0_sel:WORD_0
	;; [unrolled: 1-line block ×4, first 2 shown]
	v_bfe_i32 v93, v11, 0, 8
	v_cvt_f32_i32_sdwa v11, sext(v68) dst_sel:DWORD dst_unused:UNUSED_PAD src0_sel:WORD_0
	v_cvt_f32_i32_sdwa v12, sext(v71) dst_sel:DWORD dst_unused:UNUSED_PAD src0_sel:WORD_0
	;; [unrolled: 1-line block ×6, first 2 shown]
	v_bfe_i32 v55, v55, 0, 8
	v_bfe_i32 v58, v58, 0, 8
	;; [unrolled: 1-line block ×4, first 2 shown]
	v_cvt_f32_i32_sdwa v57, sext(v57) dst_sel:DWORD dst_unused:UNUSED_PAD src0_sel:WORD_0
	v_cvt_f32_i32_sdwa v60, sext(v60) dst_sel:DWORD dst_unused:UNUSED_PAD src0_sel:WORD_0
	;; [unrolled: 1-line block ×3, first 2 shown]
	v_bfe_i32 v59, v59, 0, 8
	v_bfe_i32 v62, v62, 0, 8
	v_bfe_i32 v65, v65, 0, 8
	v_cvt_f32_i32_sdwa v55, sext(v55) dst_sel:DWORD dst_unused:UNUSED_PAD src0_sel:WORD_0
	v_cvt_f32_i32_sdwa v58, sext(v58) dst_sel:DWORD dst_unused:UNUSED_PAD src0_sel:WORD_0
	;; [unrolled: 1-line block ×4, first 2 shown]
	v_bfe_i32 v79, v79, 0, 8
	v_bfe_i32 v84, v84, 0, 8
	v_cvt_f32_i32_sdwa v59, sext(v59) dst_sel:DWORD dst_unused:UNUSED_PAD src0_sel:WORD_0
	v_cvt_f32_i32_sdwa v62, sext(v62) dst_sel:DWORD dst_unused:UNUSED_PAD src0_sel:WORD_0
	;; [unrolled: 1-line block ×15, first 2 shown]
	v_bfe_i32 v85, v85, 0, 8
	v_cvt_f32_i32_sdwa v45, sext(v93) dst_sel:DWORD dst_unused:UNUSED_PAD src0_sel:WORD_0
	v_cvt_f32_i32_sdwa v48, sext(v85) dst_sel:DWORD dst_unused:UNUSED_PAD src0_sel:WORD_0
	;; [unrolled: 1-line block ×4, first 2 shown]
	s_waitcnt vmcnt(3)
	v_bfe_i32 v4, v19, 0, 8
	v_lshrrev_b32_e32 v5, 8, v19
	v_lshrrev_b32_e32 v6, 16, v19
	v_cvt_f32_i32_sdwa v87, sext(v4) dst_sel:DWORD dst_unused:UNUSED_PAD src0_sel:WORD_0
	v_bfe_i32 v5, v5, 0, 8
	v_lshrrev_b32_e32 v7, 24, v19
	s_waitcnt vmcnt(2)
	v_lshrrev_b32_e32 v8, 16, v54
	v_bfe_i32 v9, v54, 0, 8
	v_lshrrev_b32_e32 v19, 8, v54
	v_lshrrev_b32_e32 v52, 24, v54
	s_waitcnt vmcnt(1)
	v_bfe_i32 v54, v56, 0, 8
	s_waitcnt vmcnt(0)
	v_bfe_i32 v86, v76, 0, 8
	v_lshrrev_b32_e32 v4, 8, v76
	v_bfe_i32 v6, v6, 0, 8
	v_cvt_f32_i32_sdwa v5, sext(v5) dst_sel:DWORD dst_unused:UNUSED_PAD src0_sel:WORD_0
	v_bfe_i32 v7, v7, 0, 8
	v_cvt_f32_i32_sdwa v88, sext(v54) dst_sel:DWORD dst_unused:UNUSED_PAD src0_sel:WORD_0
	;; [unrolled: 2-line block ×3, first 2 shown]
	v_cvt_f32_i32_sdwa v86, sext(v6) dst_sel:DWORD dst_unused:UNUSED_PAD src0_sel:WORD_0
	v_cvt_f32_i32_sdwa v7, sext(v7) dst_sel:DWORD dst_unused:UNUSED_PAD src0_sel:WORD_0
	v_fmac_f32_e32 v28, v89, v87
	v_cvt_f32_i32_sdwa v9, sext(v9) dst_sel:DWORD dst_unused:UNUSED_PAD src0_sel:WORD_0
	v_bfe_i32 v19, v19, 0, 8
	v_fmac_f32_e32 v29, v90, v87
	v_fmac_f32_e32 v26, v91, v87
	;; [unrolled: 1-line block ×3, first 2 shown]
	v_bfe_i32 v8, v8, 0, 8
	v_cvt_f32_i32_sdwa v19, sext(v19) dst_sel:DWORD dst_unused:UNUSED_PAD src0_sel:WORD_0
	v_fmac_f32_e32 v28, v105, v5
	v_fmac_f32_e32 v29, v106, v5
	v_fmac_f32_e32 v26, v107, v5
	v_fmac_f32_e32 v27, v108, v5
	v_bfe_i32 v52, v52, 0, 8
	v_cvt_f32_i32_sdwa v89, sext(v8) dst_sel:DWORD dst_unused:UNUSED_PAD src0_sel:WORD_0
	v_fmac_f32_e32 v28, v109, v86
	v_fmac_f32_e32 v29, v110, v86
	;; [unrolled: 1-line block ×4, first 2 shown]
	v_lshrrev_b32_e32 v84, 8, v56
	v_cvt_f32_i32_sdwa v90, sext(v52) dst_sel:DWORD dst_unused:UNUSED_PAD src0_sel:WORD_0
	v_fmac_f32_e32 v28, v68, v7
	v_fmac_f32_e32 v29, v71, v7
	;; [unrolled: 1-line block ×4, first 2 shown]
	v_lshrrev_b32_e32 v53, 16, v56
	v_bfe_i32 v84, v84, 0, 8
	v_fmac_f32_e32 v28, v101, v9
	v_fmac_f32_e32 v29, v57, v9
	;; [unrolled: 1-line block ×4, first 2 shown]
	v_lshrrev_b32_e32 v56, 24, v56
	v_bfe_i32 v53, v53, 0, 8
	v_cvt_f32_i32_sdwa v84, sext(v84) dst_sel:DWORD dst_unused:UNUSED_PAD src0_sel:WORD_0
	v_fmac_f32_e32 v28, v55, v19
	v_fmac_f32_e32 v29, v58, v19
	;; [unrolled: 1-line block ×4, first 2 shown]
	v_bfe_i32 v56, v56, 0, 8
	v_cvt_f32_i32_sdwa v6, sext(v53) dst_sel:DWORD dst_unused:UNUSED_PAD src0_sel:WORD_0
	v_fmac_f32_e32 v28, v78, v89
	v_fmac_f32_e32 v29, v59, v89
	;; [unrolled: 1-line block ×4, first 2 shown]
	v_cvt_f32_i32_sdwa v8, sext(v56) dst_sel:DWORD dst_unused:UNUSED_PAD src0_sel:WORD_0
	v_fmac_f32_e32 v28, v79, v90
	v_fmac_f32_e32 v29, v80, v90
	;; [unrolled: 1-line block ×4, first 2 shown]
	v_lshrrev_b32_e32 v85, 16, v76
	v_fmac_f32_e32 v28, v66, v88
	v_fmac_f32_e32 v29, v69, v88
	v_fmac_f32_e32 v26, v72, v88
	v_fmac_f32_e32 v27, v75, v88
	v_lshrrev_b32_e32 v76, 24, v76
	v_bfe_i32 v85, v85, 0, 8
	v_cvt_f32_i32_sdwa v52, sext(v54) dst_sel:DWORD dst_unused:UNUSED_PAD src0_sel:WORD_0
	v_fmac_f32_e32 v28, v83, v84
	v_fmac_f32_e32 v29, v67, v84
	;; [unrolled: 1-line block ×4, first 2 shown]
	v_bfe_i32 v76, v76, 0, 8
	v_cvt_f32_i32_sdwa v54, sext(v85) dst_sel:DWORD dst_unused:UNUSED_PAD src0_sel:WORD_0
	v_pk_fma_f32 v[10:11], v[10:11], v[6:7], v[28:29] op_sel_hi:[1,0,1]
	v_pk_fma_f32 v[6:7], v[12:13], v[6:7], v[26:27] op_sel_hi:[1,0,1]
	v_cvt_f32_i32_sdwa v56, sext(v76) dst_sel:DWORD dst_unused:UNUSED_PAD src0_sel:WORD_0
	v_pk_fma_f32 v[10:11], v[14:15], v[8:9], v[10:11] op_sel_hi:[1,0,1]
	v_pk_fma_f32 v[6:7], v[44:45], v[8:9], v[6:7] op_sel_hi:[1,0,1]
	;; [unrolled: 1-line block ×10, first 2 shown]
	s_andn2_b64 exec, exec, s[24:25]
	s_cbranch_execnz .LBB80_21
; %bb.22:
	s_or_b64 exec, exec, s[24:25]
.LBB80_23:
	s_or_b64 exec, exec, s[22:23]
.LBB80_24:
	s_or_b64 exec, exec, s[14:15]
	s_cbranch_execz .LBB80_26
	s_branch .LBB80_37
.LBB80_25:
                                        ; implicit-def: $vgpr27
                                        ; implicit-def: $vgpr29
.LBB80_26:
	v_mov_b32_e32 v27, 0
	v_mov_b32_e32 v26, 0
	;; [unrolled: 1-line block ×4, first 2 shown]
	s_and_saveexec_b64 s[8:9], s[0:1]
	s_cbranch_execz .LBB80_36
; %bb.27:
	v_or_b32_e32 v0, 4, v18
	v_mov_b32_e32 v1, s17
	v_subrev_co_u32_e32 v0, vcc, s20, v0
	v_subb_co_u32_e32 v1, vcc, 0, v1, vcc
	v_add_co_u32_e32 v0, vcc, v0, v30
	v_addc_co_u32_e32 v1, vcc, v1, v31, vcc
	v_cmp_gt_i64_e32 vcc, v[0:1], v[22:23]
	v_cndmask_b32_e32 v1, v23, v1, vcc
	v_cndmask_b32_e32 v0, v22, v0, vcc
	v_mov_b32_e32 v4, s17
	v_sub_co_u32_e32 v5, vcc, s20, v18
	v_not_b32_e32 v3, v30
	v_subbrev_co_u32_e32 v4, vcc, 0, v4, vcc
	v_not_b32_e32 v2, v31
	v_add_co_u32_e32 v3, vcc, v5, v3
	v_addc_co_u32_e32 v2, vcc, v4, v2, vcc
	v_add_co_u32_e32 v0, vcc, v3, v0
	v_addc_co_u32_e32 v1, vcc, v2, v1, vcc
	v_lshrrev_b32_e32 v2, 2, v0
	v_add_u32_e32 v2, 1, v2
	v_and_b32_e32 v2, 3, v2
	v_mov_b32_e32 v28, 0
	v_cmp_ne_u32_e32 vcc, 0, v2
	v_mov_b32_e32 v29, v28
	v_mov_b32_e32 v26, v28
	;; [unrolled: 1-line block ×3, first 2 shown]
	s_and_saveexec_b64 s[0:1], vcc
	s_cbranch_execz .LBB80_31
; %bb.28:
	v_lshlrev_b64 v[4:5], 2, v[20:21]
	v_mov_b32_e32 v3, 0
	v_mov_b32_e32 v6, s13
	v_add_co_u32_e32 v4, vcc, s12, v4
	v_addc_co_u32_e32 v5, vcc, v6, v5, vcc
	v_lshlrev_b32_e32 v2, 2, v2
	s_mov_b64 s[2:3], 0
	s_waitcnt lgkmcnt(0)
	v_mov_b32_e32 v6, s11
	v_mov_b32_e32 v28, v3
	;; [unrolled: 1-line block ×5, first 2 shown]
.LBB80_29:                              ; =>This Inner Loop Header: Depth=1
	global_load_dword v7, v[4:5], off
	global_load_dwordx4 v[8:11], v[24:25], off
	s_waitcnt vmcnt(1)
	v_subrev_u32_e32 v7, s20, v7
	v_lshlrev_b32_e32 v7, 2, v7
	v_ashrrev_i32_e32 v13, 31, v7
	v_add_co_u32_e32 v12, vcc, s10, v7
	v_addc_co_u32_e32 v13, vcc, v6, v13, vcc
	global_load_dword v7, v[12:13], off
	s_waitcnt vmcnt(1)
	v_lshrrev_b32_e32 v14, 16, v9
	v_lshrrev_b32_e32 v19, 16, v10
	v_add_co_u32_e32 v24, vcc, 64, v24
	v_lshrrev_b32_e32 v12, 8, v9
	v_bfe_i32 v13, v9, 0, 8
	v_lshrrev_b32_e32 v9, 24, v9
	v_lshrrev_b32_e32 v15, 8, v10
	v_bfe_i32 v17, v10, 0, 8
	v_lshrrev_b32_e32 v30, 8, v11
	v_bfe_i32 v31, v11, 0, 8
	v_lshrrev_b32_e32 v32, 16, v11
	v_lshrrev_b32_e32 v33, 8, v8
	v_bfe_i32 v34, v8, 0, 8
	v_lshrrev_b32_e32 v35, 16, v8
	v_lshrrev_b32_e32 v36, 24, v8
	v_bfe_i32 v38, v14, 0, 8
	v_bfe_i32 v19, v19, 0, 8
	v_addc_co_u32_e32 v25, vcc, 0, v25, vcc
	v_lshrrev_b32_e32 v10, 24, v10
	v_bfe_i32 v37, v12, 0, 8
	v_bfe_i32 v39, v9, 0, 8
	;; [unrolled: 1-line block ×6, first 2 shown]
	v_cvt_f32_i32_sdwa v8, sext(v34) dst_sel:DWORD dst_unused:UNUSED_PAD src0_sel:WORD_0
	v_cvt_f32_i32_sdwa v12, sext(v17) dst_sel:DWORD dst_unused:UNUSED_PAD src0_sel:WORD_0
	;; [unrolled: 1-line block ×3, first 2 shown]
	v_bfe_i32 v17, v35, 0, 8
	v_bfe_i32 v31, v36, 0, 8
	v_cvt_f32_i32_sdwa v32, sext(v38) dst_sel:DWORD dst_unused:UNUSED_PAD src0_sel:WORD_0
	v_cvt_f32_i32_sdwa v34, sext(v19) dst_sel:DWORD dst_unused:UNUSED_PAD src0_sel:WORD_0
	v_add_co_u32_e32 v20, vcc, 4, v20
	v_lshrrev_b32_e32 v11, 24, v11
	v_bfe_i32 v40, v10, 0, 8
	v_cvt_f32_i32_sdwa v10, sext(v13) dst_sel:DWORD dst_unused:UNUSED_PAD src0_sel:WORD_0
	v_cvt_f32_i32_sdwa v9, sext(v9) dst_sel:DWORD dst_unused:UNUSED_PAD src0_sel:WORD_0
	;; [unrolled: 1-line block ×7, first 2 shown]
	v_addc_co_u32_e32 v21, vcc, 0, v21, vcc
	v_bfe_i32 v42, v11, 0, 8
	v_cvt_f32_i32_sdwa v11, sext(v37) dst_sel:DWORD dst_unused:UNUSED_PAD src0_sel:WORD_0
	v_cvt_f32_i32_sdwa v35, sext(v40) dst_sel:DWORD dst_unused:UNUSED_PAD src0_sel:WORD_0
	v_add_co_u32_e32 v4, vcc, 16, v4
	v_cvt_f32_i32_sdwa v37, sext(v42) dst_sel:DWORD dst_unused:UNUSED_PAD src0_sel:WORD_0
	v_addc_co_u32_e32 v5, vcc, 0, v5, vcc
	v_cvt_f32_i32_sdwa v36, sext(v41) dst_sel:DWORD dst_unused:UNUSED_PAD src0_sel:WORD_0
	v_add_co_u32_e32 v2, vcc, -4, v2
	v_addc_co_u32_e32 v3, vcc, -1, v3, vcc
	v_cmp_eq_u64_e32 vcc, 0, v[2:3]
	s_or_b64 s[2:3], vcc, s[2:3]
	s_waitcnt vmcnt(0)
	v_bfe_i32 v19, v7, 0, 8
	v_lshrrev_b32_e32 v38, 8, v7
	v_lshrrev_b32_e32 v17, 16, v7
	v_bfe_i32 v39, v38, 0, 8
	v_cvt_f32_i32_sdwa v38, sext(v19) dst_sel:DWORD dst_unused:UNUSED_PAD src0_sel:WORD_0
	v_lshrrev_b32_e32 v7, 24, v7
	v_bfe_i32 v17, v17, 0, 8
	v_cvt_f32_i32_sdwa v40, sext(v39) dst_sel:DWORD dst_unused:UNUSED_PAD src0_sel:WORD_0
	v_bfe_i32 v7, v7, 0, 8
	v_cvt_f32_i32_sdwa v42, sext(v17) dst_sel:DWORD dst_unused:UNUSED_PAD src0_sel:WORD_0
	v_cvt_f32_i32_sdwa v44, sext(v7) dst_sel:DWORD dst_unused:UNUSED_PAD src0_sel:WORD_0
	v_pk_fma_f32 v[8:9], v[8:9], v[38:39], v[28:29] op_sel_hi:[1,0,1]
	v_pk_fma_f32 v[26:27], v[30:31], v[38:39], v[26:27] op_sel_hi:[1,0,1]
	;; [unrolled: 1-line block ×8, first 2 shown]
	s_andn2_b64 exec, exec, s[2:3]
	s_cbranch_execnz .LBB80_29
; %bb.30:
	s_or_b64 exec, exec, s[2:3]
.LBB80_31:
	s_or_b64 exec, exec, s[0:1]
	v_cmp_lt_u64_e32 vcc, 11, v[0:1]
	s_and_saveexec_b64 s[14:15], vcc
	s_cbranch_execz .LBB80_35
; %bb.32:
	v_lshlrev_b64 v[0:1], 2, v[20:21]
	v_mov_b32_e32 v2, s13
	v_add_co_u32_e32 v0, vcc, s12, v0
	v_addc_co_u32_e32 v1, vcc, v1, v2, vcc
	v_add_co_u32_e32 v30, vcc, 32, v0
	v_addc_co_u32_e32 v31, vcc, 0, v1, vcc
	s_mov_b64 s[12:13], 0
	s_waitcnt lgkmcnt(0)
	v_mov_b32_e32 v17, s11
.LBB80_33:                              ; =>This Inner Loop Header: Depth=1
	global_load_dword v19, v[30:31], off offset:-32
	global_load_dwordx4 v[0:3], v[24:25], off
	global_load_dword v32, v[30:31], off offset:-16
	global_load_dword v33, v[30:31], off
	global_load_dwordx4 v[4:7], v[24:25], off offset:64
	global_load_dword v34, v[30:31], off offset:16
	global_load_dwordx4 v[8:11], v[24:25], off offset:128
	global_load_dwordx4 v[12:15], v[24:25], off offset:192
	v_add_co_u32_e32 v20, vcc, 16, v20
	v_addc_co_u32_e32 v21, vcc, 0, v21, vcc
	v_add_co_u32_e32 v30, vcc, 64, v30
	v_addc_co_u32_e32 v31, vcc, 0, v31, vcc
	v_add_co_u32_e32 v24, vcc, 0x100, v24
	v_cmp_ge_i64_e64 s[0:1], v[20:21], v[22:23]
	v_addc_co_u32_e32 v25, vcc, 0, v25, vcc
	s_or_b64 s[12:13], s[0:1], s[12:13]
	s_waitcnt vmcnt(7)
	v_subrev_u32_e32 v19, s20, v19
	s_waitcnt vmcnt(6)
	v_lshrrev_b32_e32 v40, 16, v2
	v_lshrrev_b32_e32 v42, 8, v3
	;; [unrolled: 1-line block ×3, first 2 shown]
	s_waitcnt vmcnt(3)
	v_lshrrev_b32_e32 v56, 24, v6
	v_bfe_i32 v39, v2, 0, 8
	v_lshrrev_b32_e32 v41, 24, v2
	s_waitcnt vmcnt(0)
	v_lshrrev_b32_e32 v70, 16, v12
	v_bfe_i32 v80, v15, 0, 8
	v_bfe_i32 v43, v3, 0, 8
	v_lshrrev_b32_e32 v44, 16, v3
	v_lshrrev_b32_e32 v3, 24, v3
	v_subrev_u32_e32 v2, s20, v32
	v_subrev_u32_e32 v32, s20, v33
	v_lshrrev_b32_e32 v33, 8, v0
	v_bfe_i32 v45, v0, 0, 8
	v_lshrrev_b32_e32 v46, 8, v4
	v_bfe_i32 v47, v4, 0, 8
	v_lshrrev_b32_e32 v48, 16, v4
	v_lshrrev_b32_e32 v49, 24, v4
	v_lshrrev_b32_e32 v53, 8, v6
	v_bfe_i32 v54, v6, 0, 8
	v_lshrrev_b32_e32 v55, 16, v6
	v_lshrrev_b32_e32 v57, 8, v7
	v_bfe_i32 v58, v7, 0, 8
	v_lshrrev_b32_e32 v59, 16, v7
	v_lshrrev_b32_e32 v7, 24, v7
	;; [unrolled: 1-line block ×4, first 2 shown]
	v_subrev_u32_e32 v34, s20, v34
	v_lshrrev_b32_e32 v60, 8, v8
	v_lshrrev_b32_e32 v78, 24, v14
	;; [unrolled: 1-line block ×3, first 2 shown]
	v_lshlrev_b32_e32 v19, 2, v19
	v_bfe_i32 v94, v40, 0, 8
	v_bfe_i32 v95, v42, 0, 8
	;; [unrolled: 1-line block ×3, first 2 shown]
	v_cvt_f32_i32_sdwa v56, sext(v80) dst_sel:DWORD dst_unused:UNUSED_PAD src0_sel:WORD_0
	v_bfe_i32 v80, v70, 0, 8
	v_lshrrev_b32_e32 v35, 8, v1
	v_bfe_i32 v36, v1, 0, 8
	v_lshrrev_b32_e32 v37, 16, v1
	v_lshrrev_b32_e32 v1, 24, v1
	v_bfe_i32 v51, v5, 0, 8
	v_lshrrev_b32_e32 v52, 16, v5
	;; [unrolled: 3-line block ×3, first 2 shown]
	v_lshrrev_b32_e32 v9, 24, v9
	v_lshrrev_b32_e32 v72, 8, v13
	v_bfe_i32 v73, v13, 0, 8
	v_lshrrev_b32_e32 v74, 16, v13
	v_lshrrev_b32_e32 v75, 8, v14
	v_bfe_i32 v76, v14, 0, 8
	v_lshrrev_b32_e32 v77, 16, v14
	v_lshrrev_b32_e32 v79, 8, v15
	;; [unrolled: 1-line block ×5, first 2 shown]
	v_lshlrev_b32_e32 v88, 2, v2
	v_lshlrev_b32_e32 v89, 2, v32
	v_bfe_i32 v33, v33, 0, 8
	v_cvt_f32_i32_sdwa v0, sext(v45) dst_sel:DWORD dst_unused:UNUSED_PAD src0_sel:WORD_0
	v_lshlrev_b32_e32 v45, 2, v34
	v_bfe_i32 v90, v4, 0, 8
	v_bfe_i32 v91, v6, 0, 8
	;; [unrolled: 1-line block ×4, first 2 shown]
	v_cvt_f32_i32_sdwa v14, sext(v58) dst_sel:DWORD dst_unused:UNUSED_PAD src0_sel:WORD_0
	v_bfe_i32 v58, v60, 0, 8
	v_bfe_i32 v102, v7, 0, 8
	v_cvt_f32_i32_sdwa v46, sext(v94) dst_sel:DWORD dst_unused:UNUSED_PAD src0_sel:WORD_0
	v_cvt_f32_i32_sdwa v7, sext(v95) dst_sel:DWORD dst_unused:UNUSED_PAD src0_sel:WORD_0
	v_bfe_i32 v94, v78, 0, 8
	v_bfe_i32 v95, v81, 0, 8
	v_ashrrev_i32_e32 v81, 31, v19
	v_cvt_f32_i32_sdwa v78, sext(v80) dst_sel:DWORD dst_unused:UNUSED_PAD src0_sel:WORD_0
	v_add_co_u32_e64 v80, s[6:7], s10, v19
	v_lshrrev_b32_e32 v50, 8, v5
	v_bfe_i32 v67, v10, 0, 8
	v_lshrrev_b32_e32 v71, 24, v12
	v_lshrrev_b32_e32 v13, 24, v13
	;; [unrolled: 1-line block ×4, first 2 shown]
	v_bfe_i32 v35, v35, 0, 8
	v_bfe_i32 v37, v37, 0, 8
	;; [unrolled: 1-line block ×4, first 2 shown]
	v_cvt_f32_i32_sdwa v4, sext(v39) dst_sel:DWORD dst_unused:UNUSED_PAD src0_sel:WORD_0
	v_bfe_i32 v96, v44, 0, 8
	v_bfe_i32 v99, v48, 0, 8
	v_cvt_f32_i32_sdwa v10, sext(v51) dst_sel:DWORD dst_unused:UNUSED_PAD src0_sel:WORD_0
	v_bfe_i32 v53, v53, 0, 8
	v_bfe_i32 v57, v57, 0, 8
	;; [unrolled: 1-line block ×9, first 2 shown]
	v_cvt_f32_i32_sdwa v1, sext(v33) dst_sel:DWORD dst_unused:UNUSED_PAD src0_sel:WORD_0
	v_cvt_f32_i32_sdwa v39, sext(v91) dst_sel:DWORD dst_unused:UNUSED_PAD src0_sel:WORD_0
	v_cvt_f32_i32_sdwa v38, sext(v90) dst_sel:DWORD dst_unused:UNUSED_PAD src0_sel:WORD_0
	v_bfe_i32 v90, v72, 0, 8
	v_cvt_f32_i32_sdwa v48, sext(v73) dst_sel:DWORD dst_unused:UNUSED_PAD src0_sel:WORD_0
	v_bfe_i32 v73, v75, 0, 8
	v_cvt_f32_i32_sdwa v51, sext(v97) dst_sel:DWORD dst_unused:UNUSED_PAD src0_sel:WORD_0
	;; [unrolled: 2-line block ×3, first 2 shown]
	v_bfe_i32 v91, v74, 0, 8
	v_ashrrev_i32_e32 v97, 31, v88
	v_ashrrev_i32_e32 v98, 31, v89
	v_cvt_f32_i32_sdwa v33, sext(v58) dst_sel:DWORD dst_unused:UNUSED_PAD src0_sel:WORD_0
	v_add_co_u32_e32 v58, vcc, s10, v89
	v_ashrrev_i32_e32 v89, 31, v45
	v_add_co_u32_e64 v72, s[0:1], s10, v45
	v_add_co_u32_e64 v74, s[2:3], s10, v88
	v_addc_co_u32_e64 v81, s[6:7], v17, v81, s[6:7]
	v_cvt_f32_i32_sdwa v6, sext(v43) dst_sel:DWORD dst_unused:UNUSED_PAD src0_sel:WORD_0
	v_bfe_i32 v100, v50, 0, 8
	v_cvt_f32_i32_sdwa v3, sext(v35) dst_sel:DWORD dst_unused:UNUSED_PAD src0_sel:WORD_0
	v_cvt_f32_i32_sdwa v43, sext(v92) dst_sel:DWORD dst_unused:UNUSED_PAD src0_sel:WORD_0
	;; [unrolled: 1-line block ×5, first 2 shown]
	v_bfe_i32 v76, v87, 0, 8
	v_bfe_i32 v87, v71, 0, 8
	;; [unrolled: 1-line block ×4, first 2 shown]
	v_cvt_f32_i32_sdwa v13, sext(v53) dst_sel:DWORD dst_unused:UNUSED_PAD src0_sel:WORD_0
	v_cvt_f32_i32_sdwa v15, sext(v57) dst_sel:DWORD dst_unused:UNUSED_PAD src0_sel:WORD_0
	;; [unrolled: 1-line block ×10, first 2 shown]
	v_addc_co_u32_e64 v75, s[2:3], v17, v97, s[2:3]
	v_addc_co_u32_e32 v59, vcc, v17, v98, vcc
	v_addc_co_u32_e64 v73, vcc, v17, v89, s[0:1]
	global_load_dword v19, v[80:81], off
	global_load_dword v82, v[74:75], off
	;; [unrolled: 1-line block ×4, first 2 shown]
	v_lshrrev_b32_e32 v68, 8, v12
	v_lshrrev_b32_e32 v85, 8, v11
	v_bfe_i32 v86, v11, 0, 8
	v_lshrrev_b32_e32 v11, 24, v11
	v_lshrrev_b32_e32 v5, 24, v5
	v_bfe_i32 v61, v8, 0, 8
	v_cvt_f32_i32_sdwa v40, sext(v86) dst_sel:DWORD dst_unused:UNUSED_PAD src0_sel:WORD_0
	v_bfe_i32 v86, v68, 0, 8
	v_bfe_i32 v79, v11, 0, 8
	v_cvt_f32_i32_sdwa v32, sext(v61) dst_sel:DWORD dst_unused:UNUSED_PAD src0_sel:WORD_0
	v_bfe_i32 v61, v5, 0, 8
	v_cvt_f32_i32_sdwa v5, sext(v93) dst_sel:DWORD dst_unused:UNUSED_PAD src0_sel:WORD_0
	;; [unrolled: 2-line block ×3, first 2 shown]
	v_cvt_f32_i32_sdwa v77, sext(v79) dst_sel:DWORD dst_unused:UNUSED_PAD src0_sel:WORD_0
	v_cvt_f32_i32_sdwa v79, sext(v87) dst_sel:DWORD dst_unused:UNUSED_PAD src0_sel:WORD_0
	;; [unrolled: 1-line block ×3, first 2 shown]
	v_bfe_i32 v41, v41, 0, 8
	v_bfe_i32 v49, v49, 0, 8
	;; [unrolled: 1-line block ×3, first 2 shown]
	v_lshrrev_b32_e32 v62, 16, v8
	v_lshrrev_b32_e32 v63, 24, v8
	v_cvt_f32_i32_sdwa v8, sext(v47) dst_sel:DWORD dst_unused:UNUSED_PAD src0_sel:WORD_0
	v_cvt_f32_i32_sdwa v34, sext(v65) dst_sel:DWORD dst_unused:UNUSED_PAD src0_sel:WORD_0
	v_bfe_i32 v65, v55, 0, 8
	v_cvt_f32_i32_sdwa v47, sext(v41) dst_sel:DWORD dst_unused:UNUSED_PAD src0_sel:WORD_0
	v_cvt_f32_i32_sdwa v55, sext(v49) dst_sel:DWORD dst_unused:UNUSED_PAD src0_sel:WORD_0
	;; [unrolled: 1-line block ×7, first 2 shown]
	v_bfe_i32 v69, v12, 0, 8
	v_cvt_f32_i32_sdwa v12, sext(v54) dst_sel:DWORD dst_unused:UNUSED_PAD src0_sel:WORD_0
	v_cvt_f32_i32_sdwa v54, sext(v99) dst_sel:DWORD dst_unused:UNUSED_PAD src0_sel:WORD_0
	v_cvt_f32_i32_sdwa v11, sext(v100) dst_sel:DWORD dst_unused:UNUSED_PAD src0_sel:WORD_0
	v_cvt_f32_i32_sdwa v61, sext(v61) dst_sel:DWORD dst_unused:UNUSED_PAD src0_sel:WORD_0
	v_bfe_i32 v103, v62, 0, 8
	v_bfe_i32 v104, v63, 0, 8
	v_cvt_f32_i32_sdwa v63, sext(v101) dst_sel:DWORD dst_unused:UNUSED_PAD src0_sel:WORD_0
	v_cvt_f32_i32_sdwa v62, sext(v65) dst_sel:DWORD dst_unused:UNUSED_PAD src0_sel:WORD_0
	;; [unrolled: 1-line block ×3, first 2 shown]
	v_bfe_i32 v105, v66, 0, 8
	v_cvt_f32_i32_sdwa v36, sext(v67) dst_sel:DWORD dst_unused:UNUSED_PAD src0_sel:WORD_0
	v_cvt_f32_i32_sdwa v67, sext(v104) dst_sel:DWORD dst_unused:UNUSED_PAD src0_sel:WORD_0
	;; [unrolled: 1-line block ×10, first 2 shown]
	s_waitcnt vmcnt(3)
	v_bfe_i32 v80, v19, 0, 8
	v_cvt_f32_i32_sdwa v80, sext(v80) dst_sel:DWORD dst_unused:UNUSED_PAD src0_sel:WORD_0
	v_lshrrev_b32_e32 v81, 8, v19
	s_waitcnt vmcnt(2)
	v_bfe_i32 v86, v82, 0, 8
	v_lshrrev_b32_e32 v87, 8, v82
	v_lshrrev_b32_e32 v88, 16, v82
	;; [unrolled: 1-line block ×3, first 2 shown]
	v_pk_fma_f32 v[0:1], v[0:1], v[80:81], v[28:29] op_sel_hi:[1,0,1]
	v_bfe_i32 v81, v81, 0, 8
	v_pk_fma_f32 v[26:27], v[38:39], v[80:81], v[26:27] op_sel_hi:[1,0,1]
	v_bfe_i32 v39, v87, 0, 8
	v_bfe_i32 v87, v82, 0, 8
	v_cvt_f32_i32_sdwa v82, sext(v81) dst_sel:DWORD dst_unused:UNUSED_PAD src0_sel:WORD_0
	v_lshrrev_b32_e32 v85, 16, v19
	s_waitcnt vmcnt(1)
	v_lshrrev_b32_e32 v89, 16, v83
	v_bfe_i32 v90, v83, 0, 8
	v_lshrrev_b32_e32 v91, 8, v83
	v_lshrrev_b32_e32 v83, 24, v83
	;; [unrolled: 1-line block ×3, first 2 shown]
	v_bfe_i32 v85, v85, 0, 8
	v_bfe_i32 v83, v83, 0, 8
	s_waitcnt vmcnt(0)
	v_lshrrev_b32_e32 v92, 16, v84
	v_bfe_i32 v29, v84, 0, 8
	v_lshrrev_b32_e32 v93, 8, v84
	v_lshrrev_b32_e32 v84, 24, v84
	v_bfe_i32 v19, v19, 0, 8
	v_pk_fma_f32 v[0:1], v[2:3], v[82:83], v[0:1] op_sel_hi:[1,0,1]
	v_cvt_f32_i32_sdwa v2, sext(v85) dst_sel:DWORD dst_unused:UNUSED_PAD src0_sel:WORD_0
	v_cvt_f32_i32_sdwa v28, sext(v86) dst_sel:DWORD dst_unused:UNUSED_PAD src0_sel:WORD_0
	v_bfe_i32 v86, v88, 0, 8
	v_bfe_i32 v88, v91, 0, 8
	v_bfe_i32 v91, v93, 0, 8
	v_bfe_i32 v93, v84, 0, 8
	v_cvt_f32_i32_sdwa v84, sext(v19) dst_sel:DWORD dst_unused:UNUSED_PAD src0_sel:WORD_0
	v_pk_fma_f32 v[26:27], v[42:43], v[82:83], v[26:27] op_sel_hi:[1,0,1]
	v_cvt_f32_i32_sdwa v42, sext(v39) dst_sel:DWORD dst_unused:UNUSED_PAD src0_sel:WORD_0
	v_cvt_f32_i32_sdwa v82, sext(v86) dst_sel:DWORD dst_unused:UNUSED_PAD src0_sel:WORD_0
	v_pk_fma_f32 v[0:1], v[4:5], v[2:3], v[0:1] op_sel_hi:[1,0,1]
	v_pk_fma_f32 v[2:3], v[46:47], v[2:3], v[26:27] op_sel_hi:[1,0,1]
	v_cvt_f32_i32_sdwa v86, sext(v87) dst_sel:DWORD dst_unused:UNUSED_PAD src0_sel:WORD_0
	v_pk_fma_f32 v[0:1], v[6:7], v[84:85], v[0:1] op_sel_hi:[1,0,1]
	v_pk_fma_f32 v[2:3], v[50:51], v[84:85], v[2:3] op_sel_hi:[1,0,1]
	;; [unrolled: 3-line block ×3, first 2 shown]
	v_bfe_i32 v89, v89, 0, 8
	v_cvt_f32_i32_sdwa v88, sext(v88) dst_sel:DWORD dst_unused:UNUSED_PAD src0_sel:WORD_0
	v_pk_fma_f32 v[0:1], v[10:11], v[42:43], v[0:1] op_sel_hi:[1,0,1]
	v_pk_fma_f32 v[2:3], v[60:61], v[42:43], v[2:3] op_sel_hi:[1,0,1]
	v_cvt_f32_i32_sdwa v4, sext(v89) dst_sel:DWORD dst_unused:UNUSED_PAD src0_sel:WORD_0
	v_pk_fma_f32 v[0:1], v[12:13], v[82:83], v[0:1] op_sel_hi:[1,0,1]
	v_pk_fma_f32 v[2:3], v[62:63], v[82:83], v[2:3] op_sel_hi:[1,0,1]
	;; [unrolled: 3-line block ×4, first 2 shown]
	v_bfe_i32 v92, v92, 0, 8
	v_cvt_f32_i32_sdwa v26, sext(v91) dst_sel:DWORD dst_unused:UNUSED_PAD src0_sel:WORD_0
	v_pk_fma_f32 v[0:1], v[34:35], v[88:89], v[0:1] op_sel_hi:[1,0,1]
	v_pk_fma_f32 v[2:3], v[68:69], v[88:89], v[2:3] op_sel_hi:[1,0,1]
	v_cvt_f32_i32_sdwa v46, sext(v92) dst_sel:DWORD dst_unused:UNUSED_PAD src0_sel:WORD_0
	v_pk_fma_f32 v[0:1], v[36:37], v[4:5], v[0:1] op_sel_hi:[1,0,1]
	v_pk_fma_f32 v[2:3], v[70:71], v[4:5], v[2:3] op_sel_hi:[1,0,1]
	v_cvt_f32_i32_sdwa v92, sext(v93) dst_sel:DWORD dst_unused:UNUSED_PAD src0_sel:WORD_0
	v_pk_fma_f32 v[0:1], v[40:41], v[90:91], v[0:1] op_sel_hi:[1,0,1]
	v_pk_fma_f32 v[2:3], v[76:77], v[90:91], v[2:3] op_sel_hi:[1,0,1]
	v_pk_fma_f32 v[0:1], v[44:45], v[80:81], v[0:1] op_sel_hi:[1,0,1]
	v_pk_fma_f32 v[2:3], v[78:79], v[80:81], v[2:3] op_sel_hi:[1,0,1]
	;; [unrolled: 1-line block ×8, first 2 shown]
	s_andn2_b64 exec, exec, s[12:13]
	s_cbranch_execnz .LBB80_33
; %bb.34:
	s_or_b64 exec, exec, s[12:13]
.LBB80_35:
	s_or_b64 exec, exec, s[14:15]
.LBB80_36:
	s_or_b64 exec, exec, s[8:9]
.LBB80_37:
	v_mov_b32_dpp v0, v28 row_shr:1 row_mask:0xf bank_mask:0xf
	v_mov_b32_dpp v1, v29 row_shr:1 row_mask:0xf bank_mask:0xf
	;; [unrolled: 1-line block ×4, first 2 shown]
	v_pk_add_f32 v[0:1], v[28:29], v[0:1]
	v_pk_add_f32 v[4:5], v[26:27], v[4:5]
	v_cmp_eq_u32_e32 vcc, 3, v18
	v_mov_b32_dpp v2, v0 row_shr:2 row_mask:0xf bank_mask:0xf
	v_mov_b32_dpp v3, v1 row_shr:2 row_mask:0xf bank_mask:0xf
	;; [unrolled: 1-line block ×4, first 2 shown]
	s_and_b64 exec, exec, vcc
	s_cbranch_execz .LBB80_10
; %bb.38:
	s_load_dwordx2 s[0:1], s[4:5], 0x50
	v_cmp_eq_f32_e64 s[2:3], s18, 0
	v_pk_add_f32 v[2:3], v[0:1], v[2:3]
	v_pk_add_f32 v[0:1], v[4:5], v[6:7]
	s_and_b64 vcc, exec, s[2:3]
	v_lshlrev_b32_e32 v4, 2, v16
	s_cbranch_vccz .LBB80_40
; %bb.39:
	v_ashrrev_i32_e32 v5, 31, v4
	v_lshlrev_b64 v[6:7], 2, v[4:5]
	s_waitcnt lgkmcnt(0)
	v_mov_b32_e32 v5, s1
	v_add_co_u32_e32 v10, vcc, s0, v6
	v_addc_co_u32_e32 v11, vcc, v5, v7, vcc
	v_pk_mul_f32 v[6:7], s[16:17], v[2:3] op_sel_hi:[0,1]
	v_pk_mul_f32 v[8:9], s[16:17], v[0:1] op_sel_hi:[0,1]
	global_store_dwordx4 v[10:11], v[6:9], off
	s_cbranch_execnz .LBB80_10
	s_branch .LBB80_41
.LBB80_40:
.LBB80_41:
	v_ashrrev_i32_e32 v5, 31, v4
	v_lshlrev_b64 v[4:5], 2, v[4:5]
	s_waitcnt lgkmcnt(0)
	v_mov_b32_e32 v6, s1
	v_add_co_u32_e32 v8, vcc, s0, v4
	v_addc_co_u32_e32 v9, vcc, v6, v5, vcc
	global_load_dwordx4 v[4:7], v[8:9], off
	v_pk_mul_f32 v[2:3], s[16:17], v[2:3] op_sel_hi:[0,1]
	v_pk_mul_f32 v[10:11], s[16:17], v[0:1] op_sel_hi:[0,1]
	s_waitcnt vmcnt(0)
	v_pk_fma_f32 v[0:1], s[18:19], v[4:5], v[2:3] op_sel_hi:[0,1,1]
	v_pk_fma_f32 v[2:3], s[18:19], v[6:7], v[10:11] op_sel_hi:[0,1,1]
	global_store_dwordx4 v[8:9], v[0:3], off
	s_endpgm
	.section	.rodata,"a",@progbits
	.p2align	6, 0x0
	.amdhsa_kernel _ZN9rocsparseL18bsrxmvn_4x4_kernelILj128ELj4EfliaafEEvT3_20rocsparse_direction_NS_24const_host_device_scalarIT1_EES1_PKS1_PKT2_SA_S7_PKT4_PKT5_S5_PT6_21rocsparse_index_base_b
		.amdhsa_group_segment_fixed_size 0
		.amdhsa_private_segment_fixed_size 0
		.amdhsa_kernarg_size 96
		.amdhsa_user_sgpr_count 6
		.amdhsa_user_sgpr_private_segment_buffer 1
		.amdhsa_user_sgpr_dispatch_ptr 0
		.amdhsa_user_sgpr_queue_ptr 0
		.amdhsa_user_sgpr_kernarg_segment_ptr 1
		.amdhsa_user_sgpr_dispatch_id 0
		.amdhsa_user_sgpr_flat_scratch_init 0
		.amdhsa_user_sgpr_kernarg_preload_length 0
		.amdhsa_user_sgpr_kernarg_preload_offset 0
		.amdhsa_user_sgpr_private_segment_size 0
		.amdhsa_uses_dynamic_stack 0
		.amdhsa_system_sgpr_private_segment_wavefront_offset 0
		.amdhsa_system_sgpr_workgroup_id_x 1
		.amdhsa_system_sgpr_workgroup_id_y 0
		.amdhsa_system_sgpr_workgroup_id_z 0
		.amdhsa_system_sgpr_workgroup_info 0
		.amdhsa_system_vgpr_workitem_id 0
		.amdhsa_next_free_vgpr 113
		.amdhsa_next_free_sgpr 26
		.amdhsa_accum_offset 116
		.amdhsa_reserve_vcc 1
		.amdhsa_reserve_flat_scratch 0
		.amdhsa_float_round_mode_32 0
		.amdhsa_float_round_mode_16_64 0
		.amdhsa_float_denorm_mode_32 3
		.amdhsa_float_denorm_mode_16_64 3
		.amdhsa_dx10_clamp 1
		.amdhsa_ieee_mode 1
		.amdhsa_fp16_overflow 0
		.amdhsa_tg_split 0
		.amdhsa_exception_fp_ieee_invalid_op 0
		.amdhsa_exception_fp_denorm_src 0
		.amdhsa_exception_fp_ieee_div_zero 0
		.amdhsa_exception_fp_ieee_overflow 0
		.amdhsa_exception_fp_ieee_underflow 0
		.amdhsa_exception_fp_ieee_inexact 0
		.amdhsa_exception_int_div_zero 0
	.end_amdhsa_kernel
	.section	.text._ZN9rocsparseL18bsrxmvn_4x4_kernelILj128ELj4EfliaafEEvT3_20rocsparse_direction_NS_24const_host_device_scalarIT1_EES1_PKS1_PKT2_SA_S7_PKT4_PKT5_S5_PT6_21rocsparse_index_base_b,"axG",@progbits,_ZN9rocsparseL18bsrxmvn_4x4_kernelILj128ELj4EfliaafEEvT3_20rocsparse_direction_NS_24const_host_device_scalarIT1_EES1_PKS1_PKT2_SA_S7_PKT4_PKT5_S5_PT6_21rocsparse_index_base_b,comdat
.Lfunc_end80:
	.size	_ZN9rocsparseL18bsrxmvn_4x4_kernelILj128ELj4EfliaafEEvT3_20rocsparse_direction_NS_24const_host_device_scalarIT1_EES1_PKS1_PKT2_SA_S7_PKT4_PKT5_S5_PT6_21rocsparse_index_base_b, .Lfunc_end80-_ZN9rocsparseL18bsrxmvn_4x4_kernelILj128ELj4EfliaafEEvT3_20rocsparse_direction_NS_24const_host_device_scalarIT1_EES1_PKS1_PKT2_SA_S7_PKT4_PKT5_S5_PT6_21rocsparse_index_base_b
                                        ; -- End function
	.section	.AMDGPU.csdata,"",@progbits
; Kernel info:
; codeLenInByte = 6508
; NumSgprs: 30
; NumVgprs: 113
; NumAgprs: 0
; TotalNumVgprs: 113
; ScratchSize: 0
; MemoryBound: 0
; FloatMode: 240
; IeeeMode: 1
; LDSByteSize: 0 bytes/workgroup (compile time only)
; SGPRBlocks: 3
; VGPRBlocks: 14
; NumSGPRsForWavesPerEU: 30
; NumVGPRsForWavesPerEU: 113
; AccumOffset: 116
; Occupancy: 4
; WaveLimiterHint : 1
; COMPUTE_PGM_RSRC2:SCRATCH_EN: 0
; COMPUTE_PGM_RSRC2:USER_SGPR: 6
; COMPUTE_PGM_RSRC2:TRAP_HANDLER: 0
; COMPUTE_PGM_RSRC2:TGID_X_EN: 1
; COMPUTE_PGM_RSRC2:TGID_Y_EN: 0
; COMPUTE_PGM_RSRC2:TGID_Z_EN: 0
; COMPUTE_PGM_RSRC2:TIDIG_COMP_CNT: 0
; COMPUTE_PGM_RSRC3_GFX90A:ACCUM_OFFSET: 28
; COMPUTE_PGM_RSRC3_GFX90A:TG_SPLIT: 0
	.section	.text._ZN9rocsparseL18bsrxmvn_4x4_kernelILj128ELj8EfliaafEEvT3_20rocsparse_direction_NS_24const_host_device_scalarIT1_EES1_PKS1_PKT2_SA_S7_PKT4_PKT5_S5_PT6_21rocsparse_index_base_b,"axG",@progbits,_ZN9rocsparseL18bsrxmvn_4x4_kernelILj128ELj8EfliaafEEvT3_20rocsparse_direction_NS_24const_host_device_scalarIT1_EES1_PKS1_PKT2_SA_S7_PKT4_PKT5_S5_PT6_21rocsparse_index_base_b,comdat
	.globl	_ZN9rocsparseL18bsrxmvn_4x4_kernelILj128ELj8EfliaafEEvT3_20rocsparse_direction_NS_24const_host_device_scalarIT1_EES1_PKS1_PKT2_SA_S7_PKT4_PKT5_S5_PT6_21rocsparse_index_base_b ; -- Begin function _ZN9rocsparseL18bsrxmvn_4x4_kernelILj128ELj8EfliaafEEvT3_20rocsparse_direction_NS_24const_host_device_scalarIT1_EES1_PKS1_PKT2_SA_S7_PKT4_PKT5_S5_PT6_21rocsparse_index_base_b
	.p2align	8
	.type	_ZN9rocsparseL18bsrxmvn_4x4_kernelILj128ELj8EfliaafEEvT3_20rocsparse_direction_NS_24const_host_device_scalarIT1_EES1_PKS1_PKT2_SA_S7_PKT4_PKT5_S5_PT6_21rocsparse_index_base_b,@function
_ZN9rocsparseL18bsrxmvn_4x4_kernelILj128ELj8EfliaafEEvT3_20rocsparse_direction_NS_24const_host_device_scalarIT1_EES1_PKS1_PKT2_SA_S7_PKT4_PKT5_S5_PT6_21rocsparse_index_base_b: ; @_ZN9rocsparseL18bsrxmvn_4x4_kernelILj128ELj8EfliaafEEvT3_20rocsparse_direction_NS_24const_host_device_scalarIT1_EES1_PKS1_PKT2_SA_S7_PKT4_PKT5_S5_PT6_21rocsparse_index_base_b
; %bb.0:
	s_load_dwordx2 s[20:21], s[4:5], 0x58
	s_load_dwordx2 s[16:17], s[4:5], 0x8
	;; [unrolled: 1-line block ×3, first 2 shown]
	s_waitcnt lgkmcnt(0)
	s_bitcmp1_b32 s21, 0
	s_cselect_b64 s[2:3], -1, 0
	s_xor_b64 s[0:1], s[2:3], -1
	s_and_b64 vcc, exec, s[2:3]
	s_cbranch_vccnz .LBB81_2
; %bb.1:
	s_load_dword s16, s[16:17], 0x0
.LBB81_2:
	s_andn2_b64 vcc, exec, s[0:1]
	s_cbranch_vccnz .LBB81_4
; %bb.3:
	s_load_dword s18, s[18:19], 0x0
.LBB81_4:
	s_waitcnt lgkmcnt(0)
	v_cmp_neq_f32_e64 s[0:1], s16, 0
	v_cmp_neq_f32_e64 s[2:3], s18, 1.0
	s_or_b64 s[0:1], s[0:1], s[2:3]
	s_andn2_b64 vcc, exec, s[0:1]
	s_cbranch_vccnz .LBB81_10
; %bb.5:
	s_load_dwordx2 s[8:9], s[4:5], 0x18
	s_load_dwordx2 s[0:1], s[4:5], 0x0
	v_lshrrev_b32_e32 v1, 3, v0
	v_lshl_or_b32 v16, s6, 4, v1
	s_mov_b64 s[2:3], 0
	s_waitcnt lgkmcnt(0)
	s_cmp_lg_u64 s[8:9], 0
	s_cbranch_scc0 .LBB81_11
; %bb.6:
	s_load_dword s6, s[4:5], 0x10
                                        ; implicit-def: $vgpr1
	s_waitcnt lgkmcnt(0)
	v_cmp_gt_i32_e32 vcc, s6, v16
	s_and_saveexec_b64 s[6:7], vcc
	s_xor_b64 s[6:7], exec, s[6:7]
	s_cbranch_execz .LBB81_8
; %bb.7:
	v_ashrrev_i32_e32 v17, 31, v16
	v_lshlrev_b64 v[2:3], 2, v[16:17]
	v_mov_b32_e32 v1, s9
	v_add_co_u32_e32 v2, vcc, s8, v2
	v_addc_co_u32_e32 v3, vcc, v1, v3, vcc
	global_load_dword v1, v[2:3], off
	s_mov_b64 s[2:3], exec
	s_waitcnt vmcnt(0)
	v_subrev_u32_e32 v1, s20, v1
.LBB81_8:
	s_or_b64 exec, exec, s[6:7]
	s_branch .LBB81_12
.LBB81_9:
	v_cmp_gt_i32_e32 vcc, s0, v16
	s_andn2_b64 s[2:3], s[2:3], exec
	s_and_b64 s[6:7], vcc, exec
	s_or_b64 s[2:3], s[2:3], s[6:7]
	s_and_saveexec_b64 s[6:7], s[2:3]
	s_cbranch_execnz .LBB81_13
.LBB81_10:
	s_endpgm
.LBB81_11:
                                        ; implicit-def: $vgpr1
	s_cbranch_execnz .LBB81_9
.LBB81_12:
	v_mov_b32_e32 v16, v1
	s_and_saveexec_b64 s[6:7], s[2:3]
	s_cbranch_execz .LBB81_10
.LBB81_13:
	s_load_dwordx8 s[8:15], s[4:5], 0x20
	v_ashrrev_i32_e32 v17, 31, v16
	v_lshlrev_b64 v[2:3], 3, v[16:17]
	v_and_b32_e32 v18, 7, v0
	s_load_dwordx2 s[6:7], s[4:5], 0x40
	s_waitcnt lgkmcnt(0)
	v_mov_b32_e32 v1, s9
	v_add_co_u32_e32 v4, vcc, s8, v2
	v_addc_co_u32_e32 v5, vcc, v1, v3, vcc
	v_add_co_u32_e32 v1, vcc, 8, v4
	global_load_dwordx2 v[30:31], v[4:5], off
	v_addc_co_u32_e32 v4, vcc, 0, v5, vcc
	v_mov_b32_e32 v5, s11
	v_add_co_u32_e32 v2, vcc, s10, v2
	s_cmp_eq_u64 s[10:11], 0
	v_addc_co_u32_e32 v3, vcc, v5, v3, vcc
	s_cselect_b64 vcc, -1, 0
	v_cndmask_b32_e32 v3, v3, v4, vcc
	v_cndmask_b32_e32 v2, v2, v1, vcc
	global_load_dwordx2 v[2:3], v[2:3], off
	v_mov_b32_e32 v4, s15
	s_mov_b32 s17, 0
	v_mov_b32_e32 v27, 0
	s_cmp_eq_u32 s1, 1
	s_waitcnt vmcnt(1)
	v_subrev_co_u32_e32 v0, vcc, s20, v30
	v_subbrev_co_u32_e32 v1, vcc, 0, v31, vcc
	v_add_co_u32_e32 v20, vcc, v0, v18
	v_addc_co_u32_e32 v21, vcc, 0, v1, vcc
	v_lshlrev_b64 v[0:1], 4, v[20:21]
	s_waitcnt vmcnt(0)
	v_subrev_co_u32_e32 v22, vcc, s20, v2
	v_subbrev_co_u32_e32 v23, vcc, 0, v3, vcc
	v_add_co_u32_e32 v24, vcc, s14, v0
	v_addc_co_u32_e32 v25, vcc, v4, v1, vcc
	v_cmp_lt_i64_e64 s[0:1], v[20:21], v[22:23]
	s_cbranch_scc1 .LBB81_25
; %bb.14:
	v_mov_b32_e32 v26, 0
	v_mov_b32_e32 v29, 0
	;; [unrolled: 1-line block ×3, first 2 shown]
	s_and_saveexec_b64 s[8:9], s[0:1]
	s_cbranch_execz .LBB81_24
; %bb.15:
	v_or_b32_e32 v0, 8, v18
	v_mov_b32_e32 v1, s17
	v_subrev_co_u32_e32 v0, vcc, s20, v0
	v_subb_co_u32_e32 v1, vcc, 0, v1, vcc
	v_add_co_u32_e32 v0, vcc, v0, v30
	v_addc_co_u32_e32 v1, vcc, v1, v31, vcc
	v_cmp_gt_i64_e32 vcc, v[0:1], v[22:23]
	v_cndmask_b32_e32 v1, v23, v1, vcc
	v_cndmask_b32_e32 v0, v22, v0, vcc
	v_mov_b32_e32 v4, s17
	v_sub_co_u32_e32 v5, vcc, s20, v18
	v_not_b32_e32 v3, v30
	v_subbrev_co_u32_e32 v4, vcc, 0, v4, vcc
	v_not_b32_e32 v2, v31
	v_add_co_u32_e32 v3, vcc, v5, v3
	v_addc_co_u32_e32 v2, vcc, v4, v2, vcc
	v_add_co_u32_e32 v0, vcc, v3, v0
	v_addc_co_u32_e32 v1, vcc, v2, v1, vcc
	v_lshrrev_b32_e32 v2, 3, v0
	v_add_u32_e32 v2, 1, v2
	v_and_b32_e32 v2, 3, v2
	v_mov_b32_e32 v28, 0
	v_cmp_ne_u32_e32 vcc, 0, v2
	v_mov_b32_e32 v29, v28
	v_mov_b32_e32 v26, v28
	v_mov_b32_e32 v27, v28
	v_pk_mov_b32 v[32:33], v[20:21], v[20:21] op_sel:[0,1]
	v_pk_mov_b32 v[34:35], v[24:25], v[24:25] op_sel:[0,1]
	s_and_saveexec_b64 s[2:3], vcc
	s_cbranch_execz .LBB81_19
; %bb.16:
	v_lshlrev_b64 v[4:5], 2, v[20:21]
	v_mov_b32_e32 v3, 0
	v_mov_b32_e32 v6, s13
	v_add_co_u32_e32 v4, vcc, s12, v4
	v_addc_co_u32_e32 v5, vcc, v6, v5, vcc
	v_lshlrev_b32_e32 v2, 2, v2
	s_mov_b64 s[10:11], 0
	v_mov_b32_e32 v6, s7
	s_movk_i32 s14, 0x80
	v_pk_mov_b32 v[34:35], v[24:25], v[24:25] op_sel:[0,1]
	v_pk_mov_b32 v[32:33], v[20:21], v[20:21] op_sel:[0,1]
	v_mov_b32_e32 v27, v3
	v_mov_b32_e32 v26, v3
	v_mov_b32_e32 v29, v3
	v_mov_b32_e32 v28, v3
.LBB81_17:                              ; =>This Inner Loop Header: Depth=1
	global_load_dword v7, v[4:5], off
	global_load_dwordx4 v[8:11], v[34:35], off
	s_waitcnt vmcnt(1)
	v_subrev_u32_e32 v7, s20, v7
	v_lshlrev_b32_e32 v7, 2, v7
	v_ashrrev_i32_e32 v13, 31, v7
	v_add_co_u32_e32 v12, vcc, s6, v7
	v_addc_co_u32_e32 v13, vcc, v6, v13, vcc
	global_load_dword v7, v[12:13], off
	s_waitcnt vmcnt(1)
	v_lshrrev_b32_e32 v13, 8, v8
	v_bfe_i32 v15, v9, 0, 8
	v_lshrrev_b32_e32 v17, 8, v9
	v_lshrrev_b32_e32 v19, 16, v9
	;; [unrolled: 1-line block ×6, first 2 shown]
	v_add_co_u32_e32 v34, vcc, s14, v34
	v_bfe_i32 v39, v11, 0, 8
	v_lshrrev_b32_e32 v41, 16, v11
	v_lshrrev_b32_e32 v11, 24, v11
	v_bfe_i32 v42, v13, 0, 8
	v_bfe_i32 v13, v17, 0, 8
	;; [unrolled: 1-line block ×7, first 2 shown]
	v_addc_co_u32_e32 v35, vcc, 0, v35, vcc
	v_bfe_i32 v12, v8, 0, 8
	v_lshrrev_b32_e32 v14, 16, v8
	v_lshrrev_b32_e32 v8, 24, v8
	v_bfe_i32 v36, v10, 0, 8
	v_lshrrev_b32_e32 v10, 24, v10
	v_bfe_i32 v40, v41, 0, 8
	v_bfe_i32 v47, v11, 0, 8
	v_cvt_f32_i32_sdwa v11, sext(v39) dst_sel:DWORD dst_unused:UNUSED_PAD src0_sel:WORD_0
	v_cvt_f32_i32_sdwa v37, sext(v19) dst_sel:DWORD dst_unused:UNUSED_PAD src0_sel:WORD_0
	;; [unrolled: 1-line block ×4, first 2 shown]
	v_add_co_u32_e32 v32, vcc, 8, v32
	v_bfe_i32 v43, v8, 0, 8
	v_bfe_i32 v46, v10, 0, 8
	v_cvt_f32_i32_sdwa v8, sext(v12) dst_sel:DWORD dst_unused:UNUSED_PAD src0_sel:WORD_0
	v_cvt_f32_i32_sdwa v9, sext(v15) dst_sel:DWORD dst_unused:UNUSED_PAD src0_sel:WORD_0
	;; [unrolled: 1-line block ×6, first 2 shown]
	v_addc_co_u32_e32 v33, vcc, 0, v33, vcc
	v_bfe_i32 v14, v14, 0, 8
	v_cvt_f32_i32_sdwa v13, sext(v13) dst_sel:DWORD dst_unused:UNUSED_PAD src0_sel:WORD_0
	v_cvt_f32_i32_sdwa v12, sext(v42) dst_sel:DWORD dst_unused:UNUSED_PAD src0_sel:WORD_0
	;; [unrolled: 1-line block ×3, first 2 shown]
	v_add_co_u32_e32 v4, vcc, 32, v4
	v_cvt_f32_i32_sdwa v14, sext(v14) dst_sel:DWORD dst_unused:UNUSED_PAD src0_sel:WORD_0
	v_addc_co_u32_e32 v5, vcc, 0, v5, vcc
	v_cvt_f32_i32_sdwa v36, sext(v43) dst_sel:DWORD dst_unused:UNUSED_PAD src0_sel:WORD_0
	v_cvt_f32_i32_sdwa v43, sext(v47) dst_sel:DWORD dst_unused:UNUSED_PAD src0_sel:WORD_0
	v_add_co_u32_e32 v2, vcc, -4, v2
	v_addc_co_u32_e32 v3, vcc, -1, v3, vcc
	v_cmp_eq_u64_e32 vcc, 0, v[2:3]
	s_or_b64 s[10:11], vcc, s[10:11]
	s_waitcnt vmcnt(0)
	v_bfe_i32 v19, v7, 0, 8
	v_lshrrev_b32_e32 v44, 8, v7
	v_lshrrev_b32_e32 v17, 16, v7
	v_bfe_i32 v45, v44, 0, 8
	v_cvt_f32_i32_sdwa v44, sext(v19) dst_sel:DWORD dst_unused:UNUSED_PAD src0_sel:WORD_0
	v_lshrrev_b32_e32 v7, 24, v7
	v_bfe_i32 v17, v17, 0, 8
	v_cvt_f32_i32_sdwa v46, sext(v45) dst_sel:DWORD dst_unused:UNUSED_PAD src0_sel:WORD_0
	v_bfe_i32 v7, v7, 0, 8
	v_cvt_f32_i32_sdwa v48, sext(v17) dst_sel:DWORD dst_unused:UNUSED_PAD src0_sel:WORD_0
	v_cvt_f32_i32_sdwa v50, sext(v7) dst_sel:DWORD dst_unused:UNUSED_PAD src0_sel:WORD_0
	v_pk_fma_f32 v[8:9], v[8:9], v[44:45], v[28:29] op_sel_hi:[1,0,1]
	v_pk_fma_f32 v[10:11], v[10:11], v[44:45], v[26:27] op_sel_hi:[1,0,1]
	;; [unrolled: 1-line block ×8, first 2 shown]
	s_andn2_b64 exec, exec, s[10:11]
	s_cbranch_execnz .LBB81_17
; %bb.18:
	s_or_b64 exec, exec, s[10:11]
.LBB81_19:
	s_or_b64 exec, exec, s[2:3]
	v_cmp_lt_u64_e32 vcc, 23, v[0:1]
	s_and_saveexec_b64 s[10:11], vcc
	s_cbranch_execz .LBB81_23
; %bb.20:
	v_lshlrev_b64 v[0:1], 2, v[32:33]
	v_mov_b32_e32 v2, s13
	v_add_co_u32_e32 v0, vcc, s12, v0
	v_addc_co_u32_e32 v1, vcc, v1, v2, vcc
	v_add_co_u32_e32 v36, vcc, 64, v0
	v_addc_co_u32_e32 v37, vcc, 0, v1, vcc
	s_mov_b64 s[14:15], 0
	v_mov_b32_e32 v17, s7
.LBB81_21:                              ; =>This Inner Loop Header: Depth=1
	global_load_dword v38, v[36:37], off offset:-64
	global_load_dwordx4 v[0:3], v[34:35], off
	global_load_dword v19, v[36:37], off offset:-32
	global_load_dwordx4 v[8:11], v[34:35], off offset:128
	global_load_dword v39, v[36:37], off
	global_load_dwordx4 v[12:15], v[34:35], off offset:256
	global_load_dword v40, v[36:37], off offset:32
	global_load_dwordx4 v[4:7], v[34:35], off offset:384
	v_add_co_u32_e32 v32, vcc, 32, v32
	v_addc_co_u32_e32 v33, vcc, 0, v33, vcc
	v_add_co_u32_e32 v36, vcc, 0x80, v36
	v_addc_co_u32_e32 v37, vcc, 0, v37, vcc
	;; [unrolled: 2-line block ×3, first 2 shown]
	v_cmp_ge_i64_e64 s[2:3], v[32:33], v[22:23]
	s_or_b64 s[14:15], s[2:3], s[14:15]
	s_waitcnt vmcnt(7)
	v_subrev_u32_e32 v38, s20, v38
	s_waitcnt vmcnt(6)
	v_bfe_i32 v49, v2, 0, 8
	v_lshrrev_b32_e32 v50, 8, v2
	v_lshrrev_b32_e32 v51, 16, v2
	;; [unrolled: 1-line block ×3, first 2 shown]
	v_bfe_i32 v53, v3, 0, 8
	v_lshrrev_b32_e32 v54, 8, v3
	v_lshrrev_b32_e32 v55, 16, v3
	;; [unrolled: 1-line block ×3, first 2 shown]
	s_waitcnt vmcnt(5)
	v_subrev_u32_e32 v2, s20, v19
	s_waitcnt vmcnt(4)
	v_bfe_i32 v60, v9, 0, 8
	v_lshrrev_b32_e32 v61, 8, v9
	v_lshrrev_b32_e32 v62, 16, v9
	;; [unrolled: 1-line block ×3, first 2 shown]
	s_waitcnt vmcnt(3)
	v_subrev_u32_e32 v3, s20, v39
	v_lshlrev_b32_e32 v9, 2, v38
	v_bfe_i32 v64, v10, 0, 8
	v_lshrrev_b32_e32 v65, 8, v10
	v_lshrrev_b32_e32 v70, 16, v10
	v_lshrrev_b32_e32 v71, 24, v10
	v_bfe_i32 v72, v11, 0, 8
	v_lshrrev_b32_e32 v73, 8, v11
	v_lshrrev_b32_e32 v74, 16, v11
	;; [unrolled: 1-line block ×3, first 2 shown]
	v_lshlrev_b32_e32 v10, 2, v2
	v_lshlrev_b32_e32 v11, 2, v3
	v_ashrrev_i32_e32 v3, 31, v9
	v_add_co_u32_e32 v2, vcc, s6, v9
	v_addc_co_u32_e32 v3, vcc, v17, v3, vcc
	global_load_dword v90, v[2:3], off
	v_bfe_i32 v19, v8, 0, 8
	v_lshrrev_b32_e32 v57, 8, v8
	v_lshrrev_b32_e32 v58, 16, v8
	;; [unrolled: 1-line block ×3, first 2 shown]
	s_waitcnt vmcnt(2)
	v_subrev_u32_e32 v8, s20, v40
	v_bfe_i32 v39, v12, 0, 8
	v_lshrrev_b32_e32 v76, 8, v12
	v_lshrrev_b32_e32 v77, 16, v12
	;; [unrolled: 1-line block ×3, first 2 shown]
	v_bfe_i32 v79, v13, 0, 8
	v_lshrrev_b32_e32 v80, 8, v13
	v_lshrrev_b32_e32 v40, 16, v13
	;; [unrolled: 1-line block ×3, first 2 shown]
	v_lshlrev_b32_e32 v12, 2, v8
	v_ashrrev_i32_e32 v13, 31, v10
	v_add_co_u32_e32 v8, vcc, s6, v10
	v_addc_co_u32_e32 v9, vcc, v17, v13, vcc
	global_load_dword v91, v[8:9], off
	v_ashrrev_i32_e32 v38, 31, v11
	v_add_co_u32_e32 v10, vcc, s6, v11
	v_bfe_i32 v41, v0, 0, 8
	v_addc_co_u32_e32 v11, vcc, v17, v38, vcc
	v_lshrrev_b32_e32 v42, 8, v0
	v_lshrrev_b32_e32 v43, 16, v0
	;; [unrolled: 1-line block ×3, first 2 shown]
	v_cvt_f32_i32_sdwa v0, sext(v41) dst_sel:DWORD dst_unused:UNUSED_PAD src0_sel:WORD_0
	v_ashrrev_i32_e32 v41, 31, v12
	v_add_co_u32_e32 v12, vcc, s6, v12
	v_addc_co_u32_e32 v13, vcc, v17, v41, vcc
	global_load_dword v92, v[10:11], off
	global_load_dword v93, v[12:13], off
	v_bfe_i32 v45, v1, 0, 8
	v_lshrrev_b32_e32 v46, 8, v1
	v_lshrrev_b32_e32 v47, 16, v1
	;; [unrolled: 1-line block ×3, first 2 shown]
	v_cvt_f32_i32_sdwa v1, sext(v45) dst_sel:DWORD dst_unused:UNUSED_PAD src0_sel:WORD_0
	v_cvt_f32_i32_sdwa v8, sext(v49) dst_sel:DWORD dst_unused:UNUSED_PAD src0_sel:WORD_0
	;; [unrolled: 1-line block ×3, first 2 shown]
	s_waitcnt vmcnt(4)
	v_bfe_i32 v88, v4, 0, 8
	v_lshrrev_b32_e32 v89, 8, v4
	v_lshrrev_b32_e32 v38, 16, v4
	;; [unrolled: 1-line block ×3, first 2 shown]
	v_bfe_i32 v45, v5, 0, 8
	v_lshrrev_b32_e32 v12, 8, v5
	v_lshrrev_b32_e32 v13, 16, v5
	v_bfe_i32 v4, v42, 0, 8
	v_cvt_f32_i32_sdwa v4, sext(v4) dst_sel:DWORD dst_unused:UNUSED_PAD src0_sel:WORD_0
	v_cvt_f32_i32_sdwa v10, sext(v19) dst_sel:DWORD dst_unused:UNUSED_PAD src0_sel:WORD_0
	v_bfe_i32 v19, v57, 0, 8
	v_cvt_f32_i32_sdwa v11, sext(v60) dst_sel:DWORD dst_unused:UNUSED_PAD src0_sel:WORD_0
	v_cvt_f32_i32_sdwa v60, sext(v19) dst_sel:DWORD dst_unused:UNUSED_PAD src0_sel:WORD_0
	v_bfe_i32 v43, v43, 0, 8
	v_bfe_i32 v47, v47, 0, 8
	;; [unrolled: 1-line block ×6, first 2 shown]
	v_cvt_f32_i32_sdwa v71, sext(v47) dst_sel:DWORD dst_unused:UNUSED_PAD src0_sel:WORD_0
	v_bfe_i32 v51, v51, 0, 8
	v_bfe_i32 v53, v55, 0, 8
	;; [unrolled: 1-line block ×7, first 2 shown]
	v_lshrrev_b32_e32 v42, 24, v6
	v_bfe_i32 v55, v63, 0, 8
	v_bfe_i32 v63, v77, 0, 8
	;; [unrolled: 1-line block ×3, first 2 shown]
	v_cvt_f32_i32_sdwa v13, sext(v76) dst_sel:DWORD dst_unused:UNUSED_PAD src0_sel:WORD_0
	v_cvt_f32_i32_sdwa v77, sext(v56) dst_sel:DWORD dst_unused:UNUSED_PAD src0_sel:WORD_0
	;; [unrolled: 1-line block ×3, first 2 shown]
	v_lshrrev_b32_e32 v83, 8, v14
	v_lshrrev_b32_e32 v84, 16, v14
	s_waitcnt vmcnt(3)
	v_bfe_i32 v2, v90, 0, 8
	v_cvt_f32_i32_sdwa v2, sext(v2) dst_sel:DWORD dst_unused:UNUSED_PAD src0_sel:WORD_0
	v_lshrrev_b32_e32 v19, 16, v90
	v_bfe_i32 v19, v19, 0, 8
	v_lshrrev_b32_e32 v14, 24, v14
	v_pk_fma_f32 v[0:1], v[0:1], v[2:3], v[28:29] op_sel_hi:[1,0,1]
	v_pk_fma_f32 v[2:3], v[8:9], v[2:3], v[26:27] op_sel_hi:[1,0,1]
	v_lshrrev_b32_e32 v8, 8, v90
	v_lshrrev_b32_e32 v26, 24, v5
	v_bfe_i32 v5, v46, 0, 8
	v_bfe_i32 v8, v8, 0, 8
	v_cvt_f32_i32_sdwa v5, sext(v5) dst_sel:DWORD dst_unused:UNUSED_PAD src0_sel:WORD_0
	v_cvt_f32_i32_sdwa v8, sext(v8) dst_sel:DWORD dst_unused:UNUSED_PAD src0_sel:WORD_0
	v_bfe_i32 v27, v6, 0, 8
	v_lshrrev_b32_e32 v28, 8, v6
	v_lshrrev_b32_e32 v29, 16, v6
	v_pk_fma_f32 v[66:67], v[4:5], v[8:9], v[0:1] op_sel_hi:[1,0,1]
	v_bfe_i32 v0, v50, 0, 8
	v_bfe_i32 v1, v54, 0, 8
	v_cvt_f32_i32_sdwa v1, sext(v1) dst_sel:DWORD dst_unused:UNUSED_PAD src0_sel:WORD_0
	v_cvt_f32_i32_sdwa v0, sext(v0) dst_sel:DWORD dst_unused:UNUSED_PAD src0_sel:WORD_0
	;; [unrolled: 1-line block ×3, first 2 shown]
	v_bfe_i32 v79, v70, 0, 8
	v_cvt_f32_i32_sdwa v70, sext(v43) dst_sel:DWORD dst_unused:UNUSED_PAD src0_sel:WORD_0
	v_pk_fma_f32 v[68:69], v[0:1], v[8:9], v[2:3] op_sel_hi:[1,0,1]
	v_cvt_f32_i32_sdwa v8, sext(v64) dst_sel:DWORD dst_unused:UNUSED_PAD src0_sel:WORD_0
	v_bfe_i32 v64, v78, 0, 8
	v_bfe_i32 v78, v65, 0, 8
	v_cvt_f32_i32_sdwa v12, sext(v64) dst_sel:DWORD dst_unused:UNUSED_PAD src0_sel:WORD_0
	v_cvt_f32_i32_sdwa v64, sext(v78) dst_sel:DWORD dst_unused:UNUSED_PAD src0_sel:WORD_0
	;; [unrolled: 1-line block ×3, first 2 shown]
	v_bfe_i32 v2, v7, 0, 8
	v_cvt_f32_i32_sdwa v1, sext(v45) dst_sel:DWORD dst_unused:UNUSED_PAD src0_sel:WORD_0
	v_cvt_f32_i32_sdwa v3, sext(v2) dst_sel:DWORD dst_unused:UNUSED_PAD src0_sel:WORD_0
	;; [unrolled: 1-line block ×3, first 2 shown]
	v_bfe_i32 v27, v61, 0, 8
	v_bfe_i32 v45, v62, 0, 8
	;; [unrolled: 1-line block ×3, first 2 shown]
	v_cvt_f32_i32_sdwa v61, sext(v27) dst_sel:DWORD dst_unused:UNUSED_PAD src0_sel:WORD_0
	v_cvt_f32_i32_sdwa v27, sext(v62) dst_sel:DWORD dst_unused:UNUSED_PAD src0_sel:WORD_0
	;; [unrolled: 1-line block ×3, first 2 shown]
	v_lshrrev_b32_e32 v79, 24, v90
	v_cvt_f32_i32_sdwa v9, sext(v72) dst_sel:DWORD dst_unused:UNUSED_PAD src0_sel:WORD_0
	v_bfe_i32 v65, v73, 0, 8
	v_cvt_f32_i32_sdwa v73, sext(v53) dst_sel:DWORD dst_unused:UNUSED_PAD src0_sel:WORD_0
	v_cvt_f32_i32_sdwa v72, sext(v51) dst_sel:DWORD dst_unused:UNUSED_PAD src0_sel:WORD_0
	v_pk_fma_f32 v[66:67], v[70:71], v[78:79], v[66:67] op_sel_hi:[1,0,1]
	v_bfe_i32 v70, v79, 0, 8
	v_cvt_f32_i32_sdwa v6, sext(v82) dst_sel:DWORD dst_unused:UNUSED_PAD src0_sel:WORD_0
	v_bfe_i32 v80, v74, 0, 8
	v_bfe_i32 v82, v75, 0, 8
	v_cvt_f32_i32_sdwa v75, sext(v48) dst_sel:DWORD dst_unused:UNUSED_PAD src0_sel:WORD_0
	v_cvt_f32_i32_sdwa v74, sext(v44) dst_sel:DWORD dst_unused:UNUSED_PAD src0_sel:WORD_0
	;; [unrolled: 1-line block ×3, first 2 shown]
	s_waitcnt vmcnt(2)
	v_bfe_i32 v19, v91, 0, 8
	v_lshrrev_b32_e32 v71, 8, v91
	v_pk_fma_f32 v[68:69], v[72:73], v[78:79], v[68:69] op_sel_hi:[1,0,1]
	v_pk_fma_f32 v[66:67], v[74:75], v[70:71], v[66:67] op_sel_hi:[1,0,1]
	;; [unrolled: 1-line block ×3, first 2 shown]
	v_cvt_f32_i32_sdwa v70, sext(v19) dst_sel:DWORD dst_unused:UNUSED_PAD src0_sel:WORD_0
	v_bfe_i32 v85, v15, 0, 8
	v_lshrrev_b32_e32 v86, 8, v15
	v_lshrrev_b32_e32 v87, 16, v15
	v_lshrrev_b32_e32 v46, 8, v7
	v_lshrrev_b32_e32 v49, 16, v7
	v_lshrrev_b32_e32 v50, 24, v7
	v_cvt_f32_i32_sdwa v7, sext(v85) dst_sel:DWORD dst_unused:UNUSED_PAD src0_sel:WORD_0
	v_bfe_i32 v85, v86, 0, 8
	v_bfe_i32 v86, v87, 0, 8
	;; [unrolled: 1-line block ×3, first 2 shown]
	v_cvt_f32_i32_sdwa v14, sext(v63) dst_sel:DWORD dst_unused:UNUSED_PAD src0_sel:WORD_0
	v_cvt_f32_i32_sdwa v63, sext(v80) dst_sel:DWORD dst_unused:UNUSED_PAD src0_sel:WORD_0
	v_lshrrev_b32_e32 v80, 16, v91
	v_bfe_i32 v19, v71, 0, 8
	v_bfe_i32 v71, v80, 0, 8
	v_cvt_f32_i32_sdwa v4, sext(v39) dst_sel:DWORD dst_unused:UNUSED_PAD src0_sel:WORD_0
	v_bfe_i32 v39, v58, 0, 8
	v_cvt_f32_i32_sdwa v65, sext(v65) dst_sel:DWORD dst_unused:UNUSED_PAD src0_sel:WORD_0
	v_cvt_f32_i32_sdwa v56, sext(v81) dst_sel:DWORD dst_unused:UNUSED_PAD src0_sel:WORD_0
	v_lshrrev_b32_e32 v81, 24, v91
	s_waitcnt vmcnt(1)
	v_lshrrev_b32_e32 v72, 16, v92
	v_bfe_i32 v73, v92, 0, 8
	s_waitcnt vmcnt(0)
	v_lshrrev_b32_e32 v76, 8, v93
	v_pk_fma_f32 v[10:11], v[10:11], v[70:71], v[66:67] op_sel_hi:[1,0,1]
	v_cvt_f32_i32_sdwa v66, sext(v19) dst_sel:DWORD dst_unused:UNUSED_PAD src0_sel:WORD_0
	v_bfe_i32 v54, v59, 0, 8
	v_cvt_f32_i32_sdwa v59, sext(v45) dst_sel:DWORD dst_unused:UNUSED_PAD src0_sel:WORD_0
	v_cvt_f32_i32_sdwa v58, sext(v39) dst_sel:DWORD dst_unused:UNUSED_PAD src0_sel:WORD_0
	v_bfe_i32 v79, v81, 0, 8
	v_bfe_i32 v80, v72, 0, 8
	v_cvt_f32_i32_sdwa v72, sext(v73) dst_sel:DWORD dst_unused:UNUSED_PAD src0_sel:WORD_0
	v_bfe_i32 v73, v76, 0, 8
	v_cvt_f32_i32_sdwa v76, sext(v71) dst_sel:DWORD dst_unused:UNUSED_PAD src0_sel:WORD_0
	v_bfe_i32 v97, v26, 0, 8
	v_bfe_i32 v98, v28, 0, 8
	v_bfe_i32 v100, v29, 0, 8
	v_cvt_f32_i32_sdwa v29, sext(v55) dst_sel:DWORD dst_unused:UNUSED_PAD src0_sel:WORD_0
	v_cvt_f32_i32_sdwa v28, sext(v54) dst_sel:DWORD dst_unused:UNUSED_PAD src0_sel:WORD_0
	;; [unrolled: 1-line block ×4, first 2 shown]
	v_lshrrev_b32_e32 v78, 8, v92
	v_pk_fma_f32 v[8:9], v[8:9], v[70:71], v[68:69] op_sel_hi:[1,0,1]
	v_cvt_f32_i32_sdwa v68, sext(v79) dst_sel:DWORD dst_unused:UNUSED_PAD src0_sel:WORD_0
	v_bfe_i32 v83, v83, 0, 8
	v_lshrrev_b32_e32 v77, 24, v93
	v_bfe_i32 v78, v78, 0, 8
	v_lshrrev_b32_e32 v15, 24, v15
	v_bfe_i32 v40, v40, 0, 8
	v_bfe_i32 v84, v84, 0, 8
	v_bfe_i32 v101, v49, 0, 8
	v_cvt_f32_i32_sdwa v49, sext(v85) dst_sel:DWORD dst_unused:UNUSED_PAD src0_sel:WORD_0
	v_cvt_f32_i32_sdwa v48, sext(v83) dst_sel:DWORD dst_unused:UNUSED_PAD src0_sel:WORD_0
	v_lshrrev_b32_e32 v82, 24, v92
	v_bfe_i32 v77, v77, 0, 8
	v_cvt_f32_i32_sdwa v70, sext(v78) dst_sel:DWORD dst_unused:UNUSED_PAD src0_sel:WORD_0
	v_pk_fma_f32 v[10:11], v[60:61], v[66:67], v[10:11] op_sel_hi:[1,0,1]
	v_pk_fma_f32 v[8:9], v[64:65], v[66:67], v[8:9] op_sel_hi:[1,0,1]
	v_cvt_f32_i32_sdwa v0, sext(v88) dst_sel:DWORD dst_unused:UNUSED_PAD src0_sel:WORD_0
	v_bfe_i32 v88, v15, 0, 8
	v_bfe_i32 v99, v46, 0, 8
	v_cvt_f32_i32_sdwa v15, sext(v40) dst_sel:DWORD dst_unused:UNUSED_PAD src0_sel:WORD_0
	v_cvt_f32_i32_sdwa v47, sext(v86) dst_sel:DWORD dst_unused:UNUSED_PAD src0_sel:WORD_0
	;; [unrolled: 1-line block ×3, first 2 shown]
	v_bfe_i32 v81, v82, 0, 8
	v_cvt_f32_i32_sdwa v78, sext(v80) dst_sel:DWORD dst_unused:UNUSED_PAD src0_sel:WORD_0
	v_pk_fma_f32 v[10:11], v[58:59], v[76:77], v[10:11] op_sel_hi:[1,0,1]
	v_pk_fma_f32 v[8:9], v[62:63], v[76:77], v[8:9] op_sel_hi:[1,0,1]
	v_cvt_f32_i32_sdwa v44, sext(v87) dst_sel:DWORD dst_unused:UNUSED_PAD src0_sel:WORD_0
	v_cvt_f32_i32_sdwa v45, sext(v88) dst_sel:DWORD dst_unused:UNUSED_PAD src0_sel:WORD_0
	v_lshrrev_b32_e32 v74, 16, v93
	v_bfe_i32 v75, v93, 0, 8
	v_cvt_f32_i32_sdwa v80, sext(v81) dst_sel:DWORD dst_unused:UNUSED_PAD src0_sel:WORD_0
	v_pk_fma_f32 v[10:11], v[28:29], v[68:69], v[10:11] op_sel_hi:[1,0,1]
	v_pk_fma_f32 v[8:9], v[56:57], v[68:69], v[8:9] op_sel_hi:[1,0,1]
	v_bfe_i32 v89, v89, 0, 8
	v_bfe_i32 v82, v74, 0, 8
	v_cvt_f32_i32_sdwa v74, sext(v75) dst_sel:DWORD dst_unused:UNUSED_PAD src0_sel:WORD_0
	v_pk_fma_f32 v[4:5], v[4:5], v[72:73], v[10:11] op_sel_hi:[1,0,1]
	v_pk_fma_f32 v[6:7], v[6:7], v[72:73], v[8:9] op_sel_hi:[1,0,1]
	v_bfe_i32 v38, v38, 0, 8
	v_bfe_i32 v102, v42, 0, 8
	v_cvt_f32_i32_sdwa v43, sext(v94) dst_sel:DWORD dst_unused:UNUSED_PAD src0_sel:WORD_0
	v_cvt_f32_i32_sdwa v42, sext(v89) dst_sel:DWORD dst_unused:UNUSED_PAD src0_sel:WORD_0
	;; [unrolled: 1-line block ×5, first 2 shown]
	v_pk_fma_f32 v[4:5], v[26:27], v[70:71], v[4:5] op_sel_hi:[1,0,1]
	v_pk_fma_f32 v[6:7], v[48:49], v[70:71], v[6:7] op_sel_hi:[1,0,1]
	v_bfe_i32 v96, v41, 0, 8
	v_bfe_i32 v50, v50, 0, 8
	v_cvt_f32_i32_sdwa v41, sext(v95) dst_sel:DWORD dst_unused:UNUSED_PAD src0_sel:WORD_0
	v_cvt_f32_i32_sdwa v40, sext(v38) dst_sel:DWORD dst_unused:UNUSED_PAD src0_sel:WORD_0
	;; [unrolled: 1-line block ×5, first 2 shown]
	v_pk_fma_f32 v[4:5], v[14:15], v[78:79], v[4:5] op_sel_hi:[1,0,1]
	v_pk_fma_f32 v[6:7], v[46:47], v[78:79], v[6:7] op_sel_hi:[1,0,1]
	v_cvt_f32_i32_sdwa v39, sext(v97) dst_sel:DWORD dst_unused:UNUSED_PAD src0_sel:WORD_0
	v_cvt_f32_i32_sdwa v38, sext(v96) dst_sel:DWORD dst_unused:UNUSED_PAD src0_sel:WORD_0
	;; [unrolled: 1-line block ×5, first 2 shown]
	v_pk_fma_f32 v[4:5], v[12:13], v[80:81], v[4:5] op_sel_hi:[1,0,1]
	v_pk_fma_f32 v[6:7], v[44:45], v[80:81], v[6:7] op_sel_hi:[1,0,1]
	;; [unrolled: 1-line block ×10, first 2 shown]
	s_andn2_b64 exec, exec, s[14:15]
	s_cbranch_execnz .LBB81_21
; %bb.22:
	s_or_b64 exec, exec, s[14:15]
.LBB81_23:
	s_or_b64 exec, exec, s[10:11]
.LBB81_24:
	s_or_b64 exec, exec, s[8:9]
	s_cbranch_execz .LBB81_26
	s_branch .LBB81_37
.LBB81_25:
                                        ; implicit-def: $vgpr27
                                        ; implicit-def: $vgpr29
.LBB81_26:
	v_mov_b32_e32 v27, 0
	v_mov_b32_e32 v26, 0
	;; [unrolled: 1-line block ×4, first 2 shown]
	s_and_saveexec_b64 s[2:3], s[0:1]
	s_cbranch_execz .LBB81_36
; %bb.27:
	v_or_b32_e32 v0, 8, v18
	v_mov_b32_e32 v1, s17
	v_subrev_co_u32_e32 v0, vcc, s20, v0
	v_subb_co_u32_e32 v1, vcc, 0, v1, vcc
	v_add_co_u32_e32 v0, vcc, v0, v30
	v_addc_co_u32_e32 v1, vcc, v1, v31, vcc
	v_cmp_gt_i64_e32 vcc, v[0:1], v[22:23]
	v_cndmask_b32_e32 v1, v23, v1, vcc
	v_cndmask_b32_e32 v0, v22, v0, vcc
	v_mov_b32_e32 v4, s17
	v_sub_co_u32_e32 v5, vcc, s20, v18
	v_not_b32_e32 v3, v30
	v_subbrev_co_u32_e32 v4, vcc, 0, v4, vcc
	v_not_b32_e32 v2, v31
	v_add_co_u32_e32 v3, vcc, v5, v3
	v_addc_co_u32_e32 v2, vcc, v4, v2, vcc
	v_add_co_u32_e32 v0, vcc, v3, v0
	v_addc_co_u32_e32 v1, vcc, v2, v1, vcc
	v_lshrrev_b32_e32 v2, 3, v0
	v_add_u32_e32 v2, 1, v2
	v_and_b32_e32 v2, 3, v2
	v_mov_b32_e32 v28, 0
	v_cmp_ne_u32_e32 vcc, 0, v2
	v_mov_b32_e32 v29, v28
	v_mov_b32_e32 v26, v28
	;; [unrolled: 1-line block ×3, first 2 shown]
	s_and_saveexec_b64 s[0:1], vcc
	s_cbranch_execz .LBB81_31
; %bb.28:
	v_lshlrev_b64 v[4:5], 2, v[20:21]
	v_mov_b32_e32 v3, 0
	v_mov_b32_e32 v6, s13
	v_add_co_u32_e32 v4, vcc, s12, v4
	v_addc_co_u32_e32 v5, vcc, v6, v5, vcc
	v_lshlrev_b32_e32 v2, 2, v2
	s_mov_b64 s[8:9], 0
	v_mov_b32_e32 v6, s7
	s_movk_i32 s10, 0x80
	v_mov_b32_e32 v27, v3
	v_mov_b32_e32 v26, v3
	;; [unrolled: 1-line block ×4, first 2 shown]
.LBB81_29:                              ; =>This Inner Loop Header: Depth=1
	global_load_dword v7, v[4:5], off
	global_load_dwordx4 v[8:11], v[24:25], off
	s_waitcnt vmcnt(1)
	v_subrev_u32_e32 v7, s20, v7
	v_lshlrev_b32_e32 v7, 2, v7
	v_ashrrev_i32_e32 v13, 31, v7
	v_add_co_u32_e32 v12, vcc, s6, v7
	v_addc_co_u32_e32 v13, vcc, v6, v13, vcc
	global_load_dword v7, v[12:13], off
	s_waitcnt vmcnt(1)
	v_lshrrev_b32_e32 v15, 8, v10
	v_bfe_i32 v17, v10, 0, 8
	v_lshrrev_b32_e32 v19, 16, v10
	v_lshrrev_b32_e32 v10, 24, v10
	v_add_co_u32_e32 v24, vcc, s10, v24
	v_bfe_i32 v12, v8, 0, 8
	v_lshrrev_b32_e32 v13, 8, v8
	v_lshrrev_b32_e32 v14, 16, v8
	;; [unrolled: 1-line block ×6, first 2 shown]
	v_bfe_i32 v34, v9, 0, 8
	v_lshrrev_b32_e32 v35, 16, v9
	v_lshrrev_b32_e32 v9, 24, v9
	v_bfe_i32 v19, v19, 0, 8
	v_bfe_i32 v38, v10, 0, 8
	v_addc_co_u32_e32 v25, vcc, 0, v25, vcc
	v_bfe_i32 v31, v11, 0, 8
	v_lshrrev_b32_e32 v11, 24, v11
	v_bfe_i32 v13, v13, 0, 8
	v_bfe_i32 v36, v14, 0, 8
	;; [unrolled: 1-line block ×6, first 2 shown]
	v_cvt_f32_i32_sdwa v8, sext(v12) dst_sel:DWORD dst_unused:UNUSED_PAD src0_sel:WORD_0
	v_cvt_f32_i32_sdwa v10, sext(v34) dst_sel:DWORD dst_unused:UNUSED_PAD src0_sel:WORD_0
	;; [unrolled: 1-line block ×3, first 2 shown]
	v_bfe_i32 v17, v35, 0, 8
	v_bfe_i32 v32, v9, 0, 8
	v_cvt_f32_i32_sdwa v35, sext(v38) dst_sel:DWORD dst_unused:UNUSED_PAD src0_sel:WORD_0
	v_cvt_f32_i32_sdwa v34, sext(v19) dst_sel:DWORD dst_unused:UNUSED_PAD src0_sel:WORD_0
	v_add_co_u32_e32 v20, vcc, 8, v20
	v_bfe_i32 v41, v11, 0, 8
	v_bfe_i32 v11, v33, 0, 8
	v_cvt_f32_i32_sdwa v14, sext(v31) dst_sel:DWORD dst_unused:UNUSED_PAD src0_sel:WORD_0
	v_cvt_f32_i32_sdwa v9, sext(v13) dst_sel:DWORD dst_unused:UNUSED_PAD src0_sel:WORD_0
	v_cvt_f32_i32_sdwa v30, sext(v36) dst_sel:DWORD dst_unused:UNUSED_PAD src0_sel:WORD_0
	v_cvt_f32_i32_sdwa v31, sext(v37) dst_sel:DWORD dst_unused:UNUSED_PAD src0_sel:WORD_0
	v_cvt_f32_i32_sdwa v13, sext(v15) dst_sel:DWORD dst_unused:UNUSED_PAD src0_sel:WORD_0
	v_cvt_f32_i32_sdwa v15, sext(v39) dst_sel:DWORD dst_unused:UNUSED_PAD src0_sel:WORD_0
	v_cvt_f32_i32_sdwa v33, sext(v32) dst_sel:DWORD dst_unused:UNUSED_PAD src0_sel:WORD_0
	v_cvt_f32_i32_sdwa v32, sext(v17) dst_sel:DWORD dst_unused:UNUSED_PAD src0_sel:WORD_0
	v_addc_co_u32_e32 v21, vcc, 0, v21, vcc
	v_cvt_f32_i32_sdwa v11, sext(v11) dst_sel:DWORD dst_unused:UNUSED_PAD src0_sel:WORD_0
	v_cvt_f32_i32_sdwa v36, sext(v40) dst_sel:DWORD dst_unused:UNUSED_PAD src0_sel:WORD_0
	v_add_co_u32_e32 v4, vcc, 32, v4
	v_addc_co_u32_e32 v5, vcc, 0, v5, vcc
	v_cvt_f32_i32_sdwa v37, sext(v41) dst_sel:DWORD dst_unused:UNUSED_PAD src0_sel:WORD_0
	v_add_co_u32_e32 v2, vcc, -4, v2
	v_addc_co_u32_e32 v3, vcc, -1, v3, vcc
	v_cmp_eq_u64_e32 vcc, 0, v[2:3]
	s_or_b64 s[8:9], vcc, s[8:9]
	s_waitcnt vmcnt(0)
	v_bfe_i32 v19, v7, 0, 8
	v_lshrrev_b32_e32 v38, 8, v7
	v_lshrrev_b32_e32 v17, 16, v7
	v_bfe_i32 v39, v38, 0, 8
	v_cvt_f32_i32_sdwa v38, sext(v19) dst_sel:DWORD dst_unused:UNUSED_PAD src0_sel:WORD_0
	v_lshrrev_b32_e32 v7, 24, v7
	v_bfe_i32 v17, v17, 0, 8
	v_cvt_f32_i32_sdwa v40, sext(v39) dst_sel:DWORD dst_unused:UNUSED_PAD src0_sel:WORD_0
	v_bfe_i32 v7, v7, 0, 8
	v_cvt_f32_i32_sdwa v42, sext(v17) dst_sel:DWORD dst_unused:UNUSED_PAD src0_sel:WORD_0
	v_cvt_f32_i32_sdwa v44, sext(v7) dst_sel:DWORD dst_unused:UNUSED_PAD src0_sel:WORD_0
	v_pk_fma_f32 v[8:9], v[8:9], v[38:39], v[28:29] op_sel_hi:[1,0,1]
	v_pk_fma_f32 v[26:27], v[30:31], v[38:39], v[26:27] op_sel_hi:[1,0,1]
	;; [unrolled: 1-line block ×8, first 2 shown]
	s_andn2_b64 exec, exec, s[8:9]
	s_cbranch_execnz .LBB81_29
; %bb.30:
	s_or_b64 exec, exec, s[8:9]
.LBB81_31:
	s_or_b64 exec, exec, s[0:1]
	v_cmp_lt_u64_e32 vcc, 23, v[0:1]
	s_and_saveexec_b64 s[8:9], vcc
	s_cbranch_execz .LBB81_35
; %bb.32:
	v_lshlrev_b64 v[0:1], 2, v[20:21]
	v_mov_b32_e32 v2, s13
	v_add_co_u32_e32 v0, vcc, s12, v0
	v_addc_co_u32_e32 v1, vcc, v1, v2, vcc
	v_add_co_u32_e32 v8, vcc, 64, v0
	v_addc_co_u32_e32 v9, vcc, 0, v1, vcc
	s_mov_b64 s[10:11], 0
	v_mov_b32_e32 v10, s7
.LBB81_33:                              ; =>This Inner Loop Header: Depth=1
	global_load_dword v11, v[8:9], off offset:-64
	global_load_dwordx4 v[0:3], v[24:25], off
	global_load_dword v17, v[8:9], off offset:-32
	global_load_dword v19, v[8:9], off
	global_load_dwordx4 v[12:15], v[24:25], off offset:128
	global_load_dword v34, v[8:9], off offset:32
	global_load_dwordx4 v[30:33], v[24:25], off offset:256
	global_load_dwordx4 v[4:7], v[24:25], off offset:384
	s_waitcnt vmcnt(7)
	v_subrev_u32_e32 v11, s20, v11
	s_waitcnt vmcnt(6)
	v_lshrrev_b32_e32 v39, 8, v2
	v_bfe_i32 v40, v2, 0, 8
	v_lshrrev_b32_e32 v41, 16, v2
	v_lshrrev_b32_e32 v42, 24, v2
	v_lshrrev_b32_e32 v43, 8, v3
	v_bfe_i32 v44, v3, 0, 8
	s_waitcnt vmcnt(5)
	v_subrev_u32_e32 v2, s20, v17
	s_waitcnt vmcnt(4)
	v_subrev_u32_e32 v17, s20, v19
	s_waitcnt vmcnt(3)
	v_lshrrev_b32_e32 v19, 8, v12
	v_bfe_i32 v45, v12, 0, 8
	v_lshrrev_b32_e32 v46, 16, v12
	v_lshrrev_b32_e32 v47, 24, v12
	s_waitcnt vmcnt(2)
	v_subrev_u32_e32 v12, s20, v34
	v_lshrrev_b32_e32 v60, 16, v3
	v_lshrrev_b32_e32 v61, 24, v3
	v_lshlrev_b32_e32 v3, 2, v11
	v_lshrrev_b32_e32 v52, 8, v14
	v_bfe_i32 v53, v14, 0, 8
	v_lshrrev_b32_e32 v54, 16, v14
	v_lshrrev_b32_e32 v55, 24, v14
	v_lshlrev_b32_e32 v11, 2, v2
	v_lshlrev_b32_e32 v14, 2, v17
	;; [unrolled: 1-line block ×3, first 2 shown]
	v_ashrrev_i32_e32 v12, 31, v3
	v_add_co_u32_e32 v2, vcc, s6, v3
	v_addc_co_u32_e32 v3, vcc, v10, v12, vcc
	v_lshrrev_b32_e32 v48, 8, v13
	v_bfe_i32 v49, v13, 0, 8
	v_lshrrev_b32_e32 v50, 16, v13
	v_lshrrev_b32_e32 v51, 24, v13
	v_ashrrev_i32_e32 v13, 31, v11
	v_add_co_u32_e32 v12, vcc, s6, v11
	v_addc_co_u32_e32 v13, vcc, v10, v13, vcc
	v_lshrrev_b32_e32 v56, 8, v15
	v_bfe_i32 v57, v15, 0, 8
	v_lshrrev_b32_e32 v58, 16, v15
	v_lshrrev_b32_e32 v59, 24, v15
	v_ashrrev_i32_e32 v15, 31, v14
	v_add_co_u32_e32 v14, vcc, s6, v14
	v_bfe_i32 v35, v0, 0, 8
	v_addc_co_u32_e32 v15, vcc, v10, v15, vcc
	v_lshrrev_b32_e32 v36, 8, v0
	v_lshrrev_b32_e32 v37, 16, v0
	;; [unrolled: 1-line block ×3, first 2 shown]
	v_cvt_f32_i32_sdwa v0, sext(v35) dst_sel:DWORD dst_unused:UNUSED_PAD src0_sel:WORD_0
	v_ashrrev_i32_e32 v35, 31, v17
	v_add_co_u32_e32 v34, vcc, s6, v17
	global_load_dword v17, v[2:3], off
	global_load_dword v72, v[12:13], off
	v_addc_co_u32_e32 v35, vcc, v10, v35, vcc
	global_load_dword v73, v[14:15], off
	global_load_dword v74, v[34:35], off
	v_lshrrev_b32_e32 v62, 8, v1
	v_bfe_i32 v63, v1, 0, 8
	s_waitcnt vmcnt(5)
	v_lshrrev_b32_e32 v64, 8, v30
	v_bfe_i32 v65, v30, 0, 8
	v_lshrrev_b32_e32 v66, 16, v30
	v_lshrrev_b32_e32 v67, 24, v30
	v_lshrrev_b32_e32 v30, 16, v1
	v_lshrrev_b32_e32 v68, 24, v1
	v_bfe_i32 v1, v36, 0, 8
	v_cvt_f32_i32_sdwa v1, sext(v1) dst_sel:DWORD dst_unused:UNUSED_PAD src0_sel:WORD_0
	v_bfe_i32 v13, v38, 0, 8
	v_cvt_f32_i32_sdwa v13, sext(v13) dst_sel:DWORD dst_unused:UNUSED_PAD src0_sel:WORD_0
	s_waitcnt vmcnt(4)
	v_lshrrev_b32_e32 v82, 8, v5
	v_lshrrev_b32_e32 v83, 24, v5
	v_bfe_i32 v84, v6, 0, 8
	v_lshrrev_b32_e32 v85, 16, v6
	v_lshrrev_b32_e32 v86, 24, v6
	;; [unrolled: 1-line block ×3, first 2 shown]
	v_bfe_i32 v91, v4, 0, 8
	v_lshrrev_b32_e32 v92, 16, v4
	v_lshrrev_b32_e32 v93, 24, v4
	v_cvt_f32_i32_sdwa v4, sext(v44) dst_sel:DWORD dst_unused:UNUSED_PAD src0_sel:WORD_0
	v_lshrrev_b32_e32 v87, 8, v7
	v_bfe_i32 v88, v7, 0, 8
	v_lshrrev_b32_e32 v89, 16, v7
	v_lshrrev_b32_e32 v7, 24, v7
	;; [unrolled: 1-line block ×4, first 2 shown]
	v_bfe_i32 v11, v11, 0, 8
	v_lshrrev_b32_e32 v79, 8, v33
	v_lshrrev_b32_e32 v69, 8, v31
	v_bfe_i32 v70, v31, 0, 8
	v_lshrrev_b32_e32 v71, 24, v31
	v_lshrrev_b32_e32 v80, 16, v33
	;; [unrolled: 1-line block ×3, first 2 shown]
	v_bfe_i32 v78, v33, 0, 8
	v_lshrrev_b32_e32 v81, 24, v33
	v_lshrrev_b32_e32 v77, 24, v32
	v_bfe_i32 v75, v32, 0, 8
	v_cvt_f32_i32_sdwa v32, sext(v65) dst_sel:DWORD dst_unused:UNUSED_PAD src0_sel:WORD_0
	v_cvt_f32_i32_sdwa v34, sext(v70) dst_sel:DWORD dst_unused:UNUSED_PAD src0_sel:WORD_0
	v_add_co_u32_e32 v20, vcc, 32, v20
	v_addc_co_u32_e32 v21, vcc, 0, v21, vcc
	v_add_co_u32_e32 v8, vcc, 0x80, v8
	v_addc_co_u32_e32 v9, vcc, 0, v9, vcc
	v_cmp_ge_i64_e64 s[0:1], v[20:21], v[22:23]
	v_add_co_u32_e32 v24, vcc, 0x200, v24
	v_addc_co_u32_e32 v25, vcc, 0, v25, vcc
	s_or_b64 s[10:11], s[0:1], s[10:11]
	s_waitcnt vmcnt(3)
	v_bfe_i32 v2, v17, 0, 8
	v_cvt_f32_i32_sdwa v2, sext(v2) dst_sel:DWORD dst_unused:UNUSED_PAD src0_sel:WORD_0
	v_lshrrev_b32_e32 v14, 8, v17
	v_bfe_i32 v14, v14, 0, 8
	v_cvt_f32_i32_sdwa v14, sext(v14) dst_sel:DWORD dst_unused:UNUSED_PAD src0_sel:WORD_0
	v_pk_fma_f32 v[0:1], v[0:1], v[2:3], v[28:29] op_sel_hi:[1,0,1]
	v_bfe_i32 v3, v37, 0, 8
	v_cvt_f32_i32_sdwa v12, sext(v3) dst_sel:DWORD dst_unused:UNUSED_PAD src0_sel:WORD_0
	v_cvt_f32_i32_sdwa v28, sext(v53) dst_sel:DWORD dst_unused:UNUSED_PAD src0_sel:WORD_0
	v_pk_fma_f32 v[2:3], v[12:13], v[2:3], v[26:27] op_sel_hi:[1,0,1]
	v_bfe_i32 v13, v62, 0, 8
	v_cvt_f32_i32_sdwa v12, sext(v63) dst_sel:DWORD dst_unused:UNUSED_PAD src0_sel:WORD_0
	v_cvt_f32_i32_sdwa v13, sext(v13) dst_sel:DWORD dst_unused:UNUSED_PAD src0_sel:WORD_0
	v_bfe_i32 v62, v5, 0, 8
	v_lshrrev_b32_e32 v63, 8, v6
	v_lshrrev_b32_e32 v6, 24, v17
	v_pk_fma_f32 v[0:1], v[12:13], v[14:15], v[0:1] op_sel_hi:[1,0,1]
	v_bfe_i32 v12, v30, 0, 8
	v_bfe_i32 v13, v68, 0, 8
	v_cvt_f32_i32_sdwa v13, sext(v13) dst_sel:DWORD dst_unused:UNUSED_PAD src0_sel:WORD_0
	v_cvt_f32_i32_sdwa v12, sext(v12) dst_sel:DWORD dst_unused:UNUSED_PAD src0_sel:WORD_0
	v_lshrrev_b32_e32 v68, 16, v5
	v_bfe_i32 v5, v39, 0, 8
	v_bfe_i32 v6, v6, 0, 8
	v_pk_fma_f32 v[2:3], v[12:13], v[14:15], v[2:3] op_sel_hi:[1,0,1]
	v_cvt_f32_i32_sdwa v13, sext(v5) dst_sel:DWORD dst_unused:UNUSED_PAD src0_sel:WORD_0
	v_lshrrev_b32_e32 v5, 16, v17
	v_bfe_i32 v5, v5, 0, 8
	v_cvt_f32_i32_sdwa v12, sext(v40) dst_sel:DWORD dst_unused:UNUSED_PAD src0_sel:WORD_0
	v_cvt_f32_i32_sdwa v14, sext(v5) dst_sel:DWORD dst_unused:UNUSED_PAD src0_sel:WORD_0
	v_bfe_i32 v5, v41, 0, 8
	v_cvt_f32_i32_sdwa v6, sext(v6) dst_sel:DWORD dst_unused:UNUSED_PAD src0_sel:WORD_0
	v_bfe_i32 v17, v48, 0, 8
	v_pk_fma_f32 v[0:1], v[12:13], v[14:15], v[0:1] op_sel_hi:[1,0,1]
	v_bfe_i32 v12, v42, 0, 8
	v_cvt_f32_i32_sdwa v13, sext(v12) dst_sel:DWORD dst_unused:UNUSED_PAD src0_sel:WORD_0
	v_cvt_f32_i32_sdwa v12, sext(v5) dst_sel:DWORD dst_unused:UNUSED_PAD src0_sel:WORD_0
	v_bfe_i32 v5, v43, 0, 8
	v_cvt_f32_i32_sdwa v5, sext(v5) dst_sel:DWORD dst_unused:UNUSED_PAD src0_sel:WORD_0
	v_cvt_f32_i32_sdwa v27, sext(v17) dst_sel:DWORD dst_unused:UNUSED_PAD src0_sel:WORD_0
	v_pk_fma_f32 v[2:3], v[12:13], v[14:15], v[2:3] op_sel_hi:[1,0,1]
	v_bfe_i32 v13, v19, 0, 8
	v_pk_fma_f32 v[0:1], v[4:5], v[6:7], v[0:1] op_sel_hi:[1,0,1]
	v_bfe_i32 v4, v60, 0, 8
	v_bfe_i32 v5, v61, 0, 8
	v_cvt_f32_i32_sdwa v5, sext(v5) dst_sel:DWORD dst_unused:UNUSED_PAD src0_sel:WORD_0
	v_cvt_f32_i32_sdwa v4, sext(v4) dst_sel:DWORD dst_unused:UNUSED_PAD src0_sel:WORD_0
	v_bfe_i32 v7, v7, 0, 8
	v_bfe_i32 v14, v46, 0, 8
	;; [unrolled: 1-line block ×3, first 2 shown]
	v_pk_fma_f32 v[2:3], v[4:5], v[6:7], v[2:3] op_sel_hi:[1,0,1]
	s_waitcnt vmcnt(2)
	v_bfe_i32 v4, v72, 0, 8
	v_cvt_f32_i32_sdwa v12, sext(v45) dst_sel:DWORD dst_unused:UNUSED_PAD src0_sel:WORD_0
	v_cvt_f32_i32_sdwa v13, sext(v13) dst_sel:DWORD dst_unused:UNUSED_PAD src0_sel:WORD_0
	;; [unrolled: 1-line block ×4, first 2 shown]
	v_bfe_i32 v17, v52, 0, 8
	v_cvt_f32_i32_sdwa v4, sext(v4) dst_sel:DWORD dst_unused:UNUSED_PAD src0_sel:WORD_0
	v_cvt_f32_i32_sdwa v29, sext(v17) dst_sel:DWORD dst_unused:UNUSED_PAD src0_sel:WORD_0
	v_bfe_i32 v17, v56, 0, 8
	v_cvt_f32_i32_sdwa v46, sext(v11) dst_sel:DWORD dst_unused:UNUSED_PAD src0_sel:WORD_0
	v_bfe_i32 v11, v76, 0, 8
	;; [unrolled: 2-line block ×5, first 2 shown]
	v_bfe_i32 v19, v51, 0, 8
	v_cvt_f32_i32_sdwa v51, sext(v11) dst_sel:DWORD dst_unused:UNUSED_PAD src0_sel:WORD_0
	v_bfe_i32 v11, v80, 0, 8
	v_lshrrev_b32_e32 v5, 8, v72
	v_cvt_f32_i32_sdwa v35, sext(v17) dst_sel:DWORD dst_unused:UNUSED_PAD src0_sel:WORD_0
	v_bfe_i32 v17, v36, 0, 8
	v_cvt_f32_i32_sdwa v52, sext(v11) dst_sel:DWORD dst_unused:UNUSED_PAD src0_sel:WORD_0
	v_bfe_i32 v11, v90, 0, 8
	v_pk_fma_f32 v[0:1], v[12:13], v[4:5], v[0:1] op_sel_hi:[1,0,1]
	v_pk_fma_f32 v[2:3], v[14:15], v[4:5], v[2:3] op_sel_hi:[1,0,1]
	v_bfe_i32 v4, v5, 0, 8
	v_cvt_f32_i32_sdwa v26, sext(v49) dst_sel:DWORD dst_unused:UNUSED_PAD src0_sel:WORD_0
	v_cvt_f32_i32_sdwa v37, sext(v17) dst_sel:DWORD dst_unused:UNUSED_PAD src0_sel:WORD_0
	v_bfe_i32 v17, v50, 0, 8
	v_cvt_f32_i32_sdwa v39, sext(v19) dst_sel:DWORD dst_unused:UNUSED_PAD src0_sel:WORD_0
	v_bfe_i32 v19, v55, 0, 8
	;; [unrolled: 2-line block ×3, first 2 shown]
	v_cvt_f32_i32_sdwa v4, sext(v4) dst_sel:DWORD dst_unused:UNUSED_PAD src0_sel:WORD_0
	v_cvt_f32_i32_sdwa v30, sext(v57) dst_sel:DWORD dst_unused:UNUSED_PAD src0_sel:WORD_0
	;; [unrolled: 1-line block ×3, first 2 shown]
	v_bfe_i32 v17, v54, 0, 8
	v_cvt_f32_i32_sdwa v57, sext(v11) dst_sel:DWORD dst_unused:UNUSED_PAD src0_sel:WORD_0
	v_bfe_i32 v11, v63, 0, 8
	v_cvt_f32_i32_sdwa v41, sext(v19) dst_sel:DWORD dst_unused:UNUSED_PAD src0_sel:WORD_0
	v_cvt_f32_i32_sdwa v40, sext(v17) dst_sel:DWORD dst_unused:UNUSED_PAD src0_sel:WORD_0
	v_bfe_i32 v17, v58, 0, 8
	v_bfe_i32 v19, v59, 0, 8
	v_cvt_f32_i32_sdwa v59, sext(v11) dst_sel:DWORD dst_unused:UNUSED_PAD src0_sel:WORD_0
	v_bfe_i32 v11, v87, 0, 8
	v_cvt_f32_i32_sdwa v42, sext(v17) dst_sel:DWORD dst_unused:UNUSED_PAD src0_sel:WORD_0
	;; [unrolled: 2-line block ×3, first 2 shown]
	v_bfe_i32 v11, v92, 0, 8
	v_lshrrev_b32_e32 v6, 16, v72
	v_cvt_f32_i32_sdwa v44, sext(v17) dst_sel:DWORD dst_unused:UNUSED_PAD src0_sel:WORD_0
	v_bfe_i32 v17, v71, 0, 8
	v_cvt_f32_i32_sdwa v56, sext(v62) dst_sel:DWORD dst_unused:UNUSED_PAD src0_sel:WORD_0
	v_cvt_f32_i32_sdwa v62, sext(v11) dst_sel:DWORD dst_unused:UNUSED_PAD src0_sel:WORD_0
	v_bfe_i32 v11, v68, 0, 8
	v_cvt_f32_i32_sdwa v69, sext(v7) dst_sel:DWORD dst_unused:UNUSED_PAD src0_sel:WORD_0
	v_lshrrev_b32_e32 v7, 24, v72
	s_waitcnt vmcnt(1)
	v_bfe_i32 v12, v73, 0, 8
	v_pk_fma_f32 v[0:1], v[26:27], v[4:5], v[0:1] op_sel_hi:[1,0,1]
	v_bfe_i32 v26, v6, 0, 8
	v_cvt_f32_i32_sdwa v47, sext(v17) dst_sel:DWORD dst_unused:UNUSED_PAD src0_sel:WORD_0
	v_bfe_i32 v17, v77, 0, 8
	v_cvt_f32_i32_sdwa v64, sext(v11) dst_sel:DWORD dst_unused:UNUSED_PAD src0_sel:WORD_0
	v_bfe_i32 v11, v85, 0, 8
	v_lshrrev_b32_e32 v14, 24, v73
	v_bfe_i32 v7, v7, 0, 8
	v_cvt_f32_i32_sdwa v6, sext(v12) dst_sel:DWORD dst_unused:UNUSED_PAD src0_sel:WORD_0
	v_cvt_f32_i32_sdwa v12, sext(v26) dst_sel:DWORD dst_unused:UNUSED_PAD src0_sel:WORD_0
	;; [unrolled: 1-line block ×3, first 2 shown]
	v_bfe_i32 v19, v67, 0, 8
	v_cvt_f32_i32_sdwa v49, sext(v17) dst_sel:DWORD dst_unused:UNUSED_PAD src0_sel:WORD_0
	v_bfe_i32 v17, v81, 0, 8
	v_cvt_f32_i32_sdwa v66, sext(v11) dst_sel:DWORD dst_unused:UNUSED_PAD src0_sel:WORD_0
	v_bfe_i32 v11, v89, 0, 8
	v_lshrrev_b32_e32 v13, 8, v73
	s_waitcnt vmcnt(0)
	v_lshrrev_b32_e32 v5, 8, v74
	v_bfe_i32 v27, v14, 0, 8
	v_cvt_f32_i32_sdwa v14, sext(v7) dst_sel:DWORD dst_unused:UNUSED_PAD src0_sel:WORD_0
	v_cvt_f32_i32_sdwa v45, sext(v19) dst_sel:DWORD dst_unused:UNUSED_PAD src0_sel:WORD_0
	;; [unrolled: 1-line block ×3, first 2 shown]
	v_bfe_i32 v17, v93, 0, 8
	v_cvt_f32_i32_sdwa v68, sext(v11) dst_sel:DWORD dst_unused:UNUSED_PAD src0_sel:WORD_0
	v_lshrrev_b32_e32 v11, 16, v73
	v_bfe_i32 v13, v13, 0, 8
	v_bfe_i32 v5, v5, 0, 8
	v_cvt_f32_i32_sdwa v63, sext(v17) dst_sel:DWORD dst_unused:UNUSED_PAD src0_sel:WORD_0
	v_bfe_i32 v17, v83, 0, 8
	v_lshrrev_b32_e32 v15, 16, v74
	v_bfe_i32 v11, v11, 0, 8
	v_pk_fma_f32 v[2:3], v[38:39], v[4:5], v[2:3] op_sel_hi:[1,0,1]
	v_cvt_f32_i32_sdwa v26, sext(v13) dst_sel:DWORD dst_unused:UNUSED_PAD src0_sel:WORD_0
	v_cvt_f32_i32_sdwa v36, sext(v75) dst_sel:DWORD dst_unused:UNUSED_PAD src0_sel:WORD_0
	;; [unrolled: 1-line block ×3, first 2 shown]
	v_bfe_i32 v17, v86, 0, 8
	v_bfe_i32 v15, v15, 0, 8
	v_pk_fma_f32 v[0:1], v[28:29], v[12:13], v[0:1] op_sel_hi:[1,0,1]
	v_cvt_f32_i32_sdwa v28, sext(v11) dst_sel:DWORD dst_unused:UNUSED_PAD src0_sel:WORD_0
	v_pk_fma_f32 v[2:3], v[40:41], v[12:13], v[2:3] op_sel_hi:[1,0,1]
	v_cvt_f32_i32_sdwa v50, sext(v78) dst_sel:DWORD dst_unused:UNUSED_PAD src0_sel:WORD_0
	v_cvt_f32_i32_sdwa v67, sext(v17) dst_sel:DWORD dst_unused:UNUSED_PAD src0_sel:WORD_0
	v_bfe_i32 v17, v74, 0, 8
	v_cvt_f32_i32_sdwa v38, sext(v27) dst_sel:DWORD dst_unused:UNUSED_PAD src0_sel:WORD_0
	v_pk_fma_f32 v[0:1], v[30:31], v[14:15], v[0:1] op_sel_hi:[1,0,1]
	v_pk_fma_f32 v[2:3], v[42:43], v[14:15], v[2:3] op_sel_hi:[1,0,1]
	v_cvt_f32_i32_sdwa v54, sext(v91) dst_sel:DWORD dst_unused:UNUSED_PAD src0_sel:WORD_0
	v_cvt_f32_i32_sdwa v4, sext(v17) dst_sel:DWORD dst_unused:UNUSED_PAD src0_sel:WORD_0
	v_pk_fma_f32 v[0:1], v[32:33], v[6:7], v[0:1] op_sel_hi:[1,0,1]
	v_pk_fma_f32 v[2:3], v[44:45], v[6:7], v[2:3] op_sel_hi:[1,0,1]
	v_lshrrev_b32_e32 v19, 24, v74
	v_cvt_f32_i32_sdwa v12, sext(v5) dst_sel:DWORD dst_unused:UNUSED_PAD src0_sel:WORD_0
	v_pk_fma_f32 v[0:1], v[34:35], v[26:27], v[0:1] op_sel_hi:[1,0,1]
	v_pk_fma_f32 v[2:3], v[46:47], v[26:27], v[2:3] op_sel_hi:[1,0,1]
	v_cvt_f32_i32_sdwa v58, sext(v84) dst_sel:DWORD dst_unused:UNUSED_PAD src0_sel:WORD_0
	v_bfe_i32 v19, v19, 0, 8
	v_cvt_f32_i32_sdwa v40, sext(v15) dst_sel:DWORD dst_unused:UNUSED_PAD src0_sel:WORD_0
	v_pk_fma_f32 v[0:1], v[36:37], v[28:29], v[0:1] op_sel_hi:[1,0,1]
	v_pk_fma_f32 v[2:3], v[48:49], v[28:29], v[2:3] op_sel_hi:[1,0,1]
	v_cvt_f32_i32_sdwa v60, sext(v88) dst_sel:DWORD dst_unused:UNUSED_PAD src0_sel:WORD_0
	v_cvt_f32_i32_sdwa v70, sext(v19) dst_sel:DWORD dst_unused:UNUSED_PAD src0_sel:WORD_0
	v_pk_fma_f32 v[0:1], v[50:51], v[38:39], v[0:1] op_sel_hi:[1,0,1]
	v_pk_fma_f32 v[2:3], v[52:53], v[38:39], v[2:3] op_sel_hi:[1,0,1]
	;; [unrolled: 1-line block ×10, first 2 shown]
	s_andn2_b64 exec, exec, s[10:11]
	s_cbranch_execnz .LBB81_33
; %bb.34:
	s_or_b64 exec, exec, s[10:11]
.LBB81_35:
	s_or_b64 exec, exec, s[8:9]
.LBB81_36:
	s_or_b64 exec, exec, s[2:3]
.LBB81_37:
	v_mov_b32_dpp v0, v28 row_shr:1 row_mask:0xf bank_mask:0xf
	v_mov_b32_dpp v1, v29 row_shr:1 row_mask:0xf bank_mask:0xf
	;; [unrolled: 1-line block ×4, first 2 shown]
	v_pk_add_f32 v[0:1], v[28:29], v[0:1]
	v_pk_add_f32 v[4:5], v[26:27], v[4:5]
	v_cmp_eq_u32_e32 vcc, 7, v18
	v_mov_b32_dpp v2, v0 row_shr:2 row_mask:0xf bank_mask:0xf
	v_mov_b32_dpp v3, v1 row_shr:2 row_mask:0xf bank_mask:0xf
	;; [unrolled: 1-line block ×4, first 2 shown]
	v_pk_add_f32 v[0:1], v[0:1], v[2:3]
	v_pk_add_f32 v[4:5], v[4:5], v[6:7]
	s_nop 0
	v_mov_b32_dpp v2, v0 row_shr:4 row_mask:0xf bank_mask:0xe
	v_mov_b32_dpp v3, v1 row_shr:4 row_mask:0xf bank_mask:0xe
	;; [unrolled: 1-line block ×4, first 2 shown]
	s_and_b64 exec, exec, vcc
	s_cbranch_execz .LBB81_10
; %bb.38:
	s_load_dwordx2 s[0:1], s[4:5], 0x50
	v_cmp_eq_f32_e64 s[2:3], s18, 0
	v_pk_add_f32 v[2:3], v[0:1], v[2:3]
	v_pk_add_f32 v[0:1], v[4:5], v[6:7]
	s_and_b64 vcc, exec, s[2:3]
	v_lshlrev_b32_e32 v4, 2, v16
	s_cbranch_vccz .LBB81_40
; %bb.39:
	v_ashrrev_i32_e32 v5, 31, v4
	v_lshlrev_b64 v[6:7], 2, v[4:5]
	s_waitcnt lgkmcnt(0)
	v_mov_b32_e32 v5, s1
	v_add_co_u32_e32 v10, vcc, s0, v6
	v_addc_co_u32_e32 v11, vcc, v5, v7, vcc
	v_pk_mul_f32 v[6:7], s[16:17], v[2:3] op_sel_hi:[0,1]
	v_pk_mul_f32 v[8:9], s[16:17], v[0:1] op_sel_hi:[0,1]
	global_store_dwordx4 v[10:11], v[6:9], off
	s_cbranch_execnz .LBB81_10
	s_branch .LBB81_41
.LBB81_40:
.LBB81_41:
	v_ashrrev_i32_e32 v5, 31, v4
	v_lshlrev_b64 v[4:5], 2, v[4:5]
	s_waitcnt lgkmcnt(0)
	v_mov_b32_e32 v6, s1
	v_add_co_u32_e32 v8, vcc, s0, v4
	v_addc_co_u32_e32 v9, vcc, v6, v5, vcc
	global_load_dwordx4 v[4:7], v[8:9], off
	v_pk_mul_f32 v[2:3], s[16:17], v[2:3] op_sel_hi:[0,1]
	v_pk_mul_f32 v[10:11], s[16:17], v[0:1] op_sel_hi:[0,1]
	s_waitcnt vmcnt(0)
	v_pk_fma_f32 v[0:1], s[18:19], v[4:5], v[2:3] op_sel_hi:[0,1,1]
	v_pk_fma_f32 v[2:3], s[18:19], v[6:7], v[10:11] op_sel_hi:[0,1,1]
	global_store_dwordx4 v[8:9], v[0:3], off
	s_endpgm
	.section	.rodata,"a",@progbits
	.p2align	6, 0x0
	.amdhsa_kernel _ZN9rocsparseL18bsrxmvn_4x4_kernelILj128ELj8EfliaafEEvT3_20rocsparse_direction_NS_24const_host_device_scalarIT1_EES1_PKS1_PKT2_SA_S7_PKT4_PKT5_S5_PT6_21rocsparse_index_base_b
		.amdhsa_group_segment_fixed_size 0
		.amdhsa_private_segment_fixed_size 0
		.amdhsa_kernarg_size 96
		.amdhsa_user_sgpr_count 6
		.amdhsa_user_sgpr_private_segment_buffer 1
		.amdhsa_user_sgpr_dispatch_ptr 0
		.amdhsa_user_sgpr_queue_ptr 0
		.amdhsa_user_sgpr_kernarg_segment_ptr 1
		.amdhsa_user_sgpr_dispatch_id 0
		.amdhsa_user_sgpr_flat_scratch_init 0
		.amdhsa_user_sgpr_kernarg_preload_length 0
		.amdhsa_user_sgpr_kernarg_preload_offset 0
		.amdhsa_user_sgpr_private_segment_size 0
		.amdhsa_uses_dynamic_stack 0
		.amdhsa_system_sgpr_private_segment_wavefront_offset 0
		.amdhsa_system_sgpr_workgroup_id_x 1
		.amdhsa_system_sgpr_workgroup_id_y 0
		.amdhsa_system_sgpr_workgroup_id_z 0
		.amdhsa_system_sgpr_workgroup_info 0
		.amdhsa_system_vgpr_workitem_id 0
		.amdhsa_next_free_vgpr 103
		.amdhsa_next_free_sgpr 22
		.amdhsa_accum_offset 104
		.amdhsa_reserve_vcc 1
		.amdhsa_reserve_flat_scratch 0
		.amdhsa_float_round_mode_32 0
		.amdhsa_float_round_mode_16_64 0
		.amdhsa_float_denorm_mode_32 3
		.amdhsa_float_denorm_mode_16_64 3
		.amdhsa_dx10_clamp 1
		.amdhsa_ieee_mode 1
		.amdhsa_fp16_overflow 0
		.amdhsa_tg_split 0
		.amdhsa_exception_fp_ieee_invalid_op 0
		.amdhsa_exception_fp_denorm_src 0
		.amdhsa_exception_fp_ieee_div_zero 0
		.amdhsa_exception_fp_ieee_overflow 0
		.amdhsa_exception_fp_ieee_underflow 0
		.amdhsa_exception_fp_ieee_inexact 0
		.amdhsa_exception_int_div_zero 0
	.end_amdhsa_kernel
	.section	.text._ZN9rocsparseL18bsrxmvn_4x4_kernelILj128ELj8EfliaafEEvT3_20rocsparse_direction_NS_24const_host_device_scalarIT1_EES1_PKS1_PKT2_SA_S7_PKT4_PKT5_S5_PT6_21rocsparse_index_base_b,"axG",@progbits,_ZN9rocsparseL18bsrxmvn_4x4_kernelILj128ELj8EfliaafEEvT3_20rocsparse_direction_NS_24const_host_device_scalarIT1_EES1_PKS1_PKT2_SA_S7_PKT4_PKT5_S5_PT6_21rocsparse_index_base_b,comdat
.Lfunc_end81:
	.size	_ZN9rocsparseL18bsrxmvn_4x4_kernelILj128ELj8EfliaafEEvT3_20rocsparse_direction_NS_24const_host_device_scalarIT1_EES1_PKS1_PKT2_SA_S7_PKT4_PKT5_S5_PT6_21rocsparse_index_base_b, .Lfunc_end81-_ZN9rocsparseL18bsrxmvn_4x4_kernelILj128ELj8EfliaafEEvT3_20rocsparse_direction_NS_24const_host_device_scalarIT1_EES1_PKS1_PKT2_SA_S7_PKT4_PKT5_S5_PT6_21rocsparse_index_base_b
                                        ; -- End function
	.section	.AMDGPU.csdata,"",@progbits
; Kernel info:
; codeLenInByte = 6532
; NumSgprs: 26
; NumVgprs: 103
; NumAgprs: 0
; TotalNumVgprs: 103
; ScratchSize: 0
; MemoryBound: 0
; FloatMode: 240
; IeeeMode: 1
; LDSByteSize: 0 bytes/workgroup (compile time only)
; SGPRBlocks: 3
; VGPRBlocks: 12
; NumSGPRsForWavesPerEU: 26
; NumVGPRsForWavesPerEU: 103
; AccumOffset: 104
; Occupancy: 4
; WaveLimiterHint : 1
; COMPUTE_PGM_RSRC2:SCRATCH_EN: 0
; COMPUTE_PGM_RSRC2:USER_SGPR: 6
; COMPUTE_PGM_RSRC2:TRAP_HANDLER: 0
; COMPUTE_PGM_RSRC2:TGID_X_EN: 1
; COMPUTE_PGM_RSRC2:TGID_Y_EN: 0
; COMPUTE_PGM_RSRC2:TGID_Z_EN: 0
; COMPUTE_PGM_RSRC2:TIDIG_COMP_CNT: 0
; COMPUTE_PGM_RSRC3_GFX90A:ACCUM_OFFSET: 25
; COMPUTE_PGM_RSRC3_GFX90A:TG_SPLIT: 0
	.section	.text._ZN9rocsparseL18bsrxmvn_4x4_kernelILj128ELj16EfliaafEEvT3_20rocsparse_direction_NS_24const_host_device_scalarIT1_EES1_PKS1_PKT2_SA_S7_PKT4_PKT5_S5_PT6_21rocsparse_index_base_b,"axG",@progbits,_ZN9rocsparseL18bsrxmvn_4x4_kernelILj128ELj16EfliaafEEvT3_20rocsparse_direction_NS_24const_host_device_scalarIT1_EES1_PKS1_PKT2_SA_S7_PKT4_PKT5_S5_PT6_21rocsparse_index_base_b,comdat
	.globl	_ZN9rocsparseL18bsrxmvn_4x4_kernelILj128ELj16EfliaafEEvT3_20rocsparse_direction_NS_24const_host_device_scalarIT1_EES1_PKS1_PKT2_SA_S7_PKT4_PKT5_S5_PT6_21rocsparse_index_base_b ; -- Begin function _ZN9rocsparseL18bsrxmvn_4x4_kernelILj128ELj16EfliaafEEvT3_20rocsparse_direction_NS_24const_host_device_scalarIT1_EES1_PKS1_PKT2_SA_S7_PKT4_PKT5_S5_PT6_21rocsparse_index_base_b
	.p2align	8
	.type	_ZN9rocsparseL18bsrxmvn_4x4_kernelILj128ELj16EfliaafEEvT3_20rocsparse_direction_NS_24const_host_device_scalarIT1_EES1_PKS1_PKT2_SA_S7_PKT4_PKT5_S5_PT6_21rocsparse_index_base_b,@function
_ZN9rocsparseL18bsrxmvn_4x4_kernelILj128ELj16EfliaafEEvT3_20rocsparse_direction_NS_24const_host_device_scalarIT1_EES1_PKS1_PKT2_SA_S7_PKT4_PKT5_S5_PT6_21rocsparse_index_base_b: ; @_ZN9rocsparseL18bsrxmvn_4x4_kernelILj128ELj16EfliaafEEvT3_20rocsparse_direction_NS_24const_host_device_scalarIT1_EES1_PKS1_PKT2_SA_S7_PKT4_PKT5_S5_PT6_21rocsparse_index_base_b
; %bb.0:
	s_load_dwordx2 s[20:21], s[4:5], 0x58
	s_load_dwordx2 s[16:17], s[4:5], 0x8
	;; [unrolled: 1-line block ×3, first 2 shown]
	s_waitcnt lgkmcnt(0)
	s_bitcmp1_b32 s21, 0
	s_cselect_b64 s[2:3], -1, 0
	s_xor_b64 s[0:1], s[2:3], -1
	s_and_b64 vcc, exec, s[2:3]
	s_cbranch_vccnz .LBB82_2
; %bb.1:
	s_load_dword s16, s[16:17], 0x0
.LBB82_2:
	s_andn2_b64 vcc, exec, s[0:1]
	s_cbranch_vccnz .LBB82_4
; %bb.3:
	s_load_dword s18, s[18:19], 0x0
.LBB82_4:
	s_waitcnt lgkmcnt(0)
	v_cmp_neq_f32_e64 s[0:1], s16, 0
	v_cmp_neq_f32_e64 s[2:3], s18, 1.0
	s_or_b64 s[0:1], s[0:1], s[2:3]
	s_andn2_b64 vcc, exec, s[0:1]
	s_cbranch_vccnz .LBB82_10
; %bb.5:
	s_load_dwordx2 s[8:9], s[4:5], 0x18
	s_load_dwordx2 s[0:1], s[4:5], 0x0
	v_lshrrev_b32_e32 v1, 4, v0
	v_lshl_or_b32 v16, s6, 3, v1
	s_mov_b64 s[2:3], 0
	s_waitcnt lgkmcnt(0)
	s_cmp_lg_u64 s[8:9], 0
	s_cbranch_scc0 .LBB82_11
; %bb.6:
	s_load_dword s6, s[4:5], 0x10
                                        ; implicit-def: $vgpr1
	s_waitcnt lgkmcnt(0)
	v_cmp_gt_i32_e32 vcc, s6, v16
	s_and_saveexec_b64 s[6:7], vcc
	s_xor_b64 s[6:7], exec, s[6:7]
	s_cbranch_execz .LBB82_8
; %bb.7:
	v_ashrrev_i32_e32 v17, 31, v16
	v_lshlrev_b64 v[2:3], 2, v[16:17]
	v_mov_b32_e32 v1, s9
	v_add_co_u32_e32 v2, vcc, s8, v2
	v_addc_co_u32_e32 v3, vcc, v1, v3, vcc
	global_load_dword v1, v[2:3], off
	s_mov_b64 s[2:3], exec
	s_waitcnt vmcnt(0)
	v_subrev_u32_e32 v1, s20, v1
.LBB82_8:
	s_or_b64 exec, exec, s[6:7]
	s_branch .LBB82_12
.LBB82_9:
	v_cmp_gt_i32_e32 vcc, s0, v16
	s_andn2_b64 s[2:3], s[2:3], exec
	s_and_b64 s[6:7], vcc, exec
	s_or_b64 s[2:3], s[2:3], s[6:7]
	s_and_saveexec_b64 s[6:7], s[2:3]
	s_cbranch_execnz .LBB82_13
.LBB82_10:
	s_endpgm
.LBB82_11:
                                        ; implicit-def: $vgpr1
	s_cbranch_execnz .LBB82_9
.LBB82_12:
	v_mov_b32_e32 v16, v1
	s_and_saveexec_b64 s[6:7], s[2:3]
	s_cbranch_execz .LBB82_10
.LBB82_13:
	s_load_dwordx8 s[8:15], s[4:5], 0x20
	v_ashrrev_i32_e32 v17, 31, v16
	v_lshlrev_b64 v[2:3], 3, v[16:17]
	v_and_b32_e32 v18, 15, v0
	s_load_dwordx2 s[6:7], s[4:5], 0x40
	s_waitcnt lgkmcnt(0)
	v_mov_b32_e32 v1, s9
	v_add_co_u32_e32 v4, vcc, s8, v2
	v_addc_co_u32_e32 v5, vcc, v1, v3, vcc
	v_add_co_u32_e32 v1, vcc, 8, v4
	global_load_dwordx2 v[30:31], v[4:5], off
	v_addc_co_u32_e32 v4, vcc, 0, v5, vcc
	v_mov_b32_e32 v5, s11
	v_add_co_u32_e32 v2, vcc, s10, v2
	s_cmp_eq_u64 s[10:11], 0
	v_addc_co_u32_e32 v3, vcc, v5, v3, vcc
	s_cselect_b64 vcc, -1, 0
	v_cndmask_b32_e32 v3, v3, v4, vcc
	v_cndmask_b32_e32 v2, v2, v1, vcc
	global_load_dwordx2 v[2:3], v[2:3], off
	v_mov_b32_e32 v4, s15
	s_mov_b32 s17, 0
	v_mov_b32_e32 v27, 0
	s_cmp_eq_u32 s1, 1
	s_waitcnt vmcnt(1)
	v_subrev_co_u32_e32 v0, vcc, s20, v30
	v_subbrev_co_u32_e32 v1, vcc, 0, v31, vcc
	v_add_co_u32_e32 v20, vcc, v0, v18
	v_addc_co_u32_e32 v21, vcc, 0, v1, vcc
	v_lshlrev_b64 v[0:1], 4, v[20:21]
	s_waitcnt vmcnt(0)
	v_subrev_co_u32_e32 v22, vcc, s20, v2
	v_subbrev_co_u32_e32 v23, vcc, 0, v3, vcc
	v_add_co_u32_e32 v24, vcc, s14, v0
	v_addc_co_u32_e32 v25, vcc, v4, v1, vcc
	v_cmp_lt_i64_e64 s[0:1], v[20:21], v[22:23]
	s_cbranch_scc1 .LBB82_25
; %bb.14:
	v_mov_b32_e32 v26, 0
	v_mov_b32_e32 v29, 0
	;; [unrolled: 1-line block ×3, first 2 shown]
	s_and_saveexec_b64 s[8:9], s[0:1]
	s_cbranch_execz .LBB82_24
; %bb.15:
	v_or_b32_e32 v0, 16, v18
	v_mov_b32_e32 v1, s17
	v_subrev_co_u32_e32 v0, vcc, s20, v0
	v_subb_co_u32_e32 v1, vcc, 0, v1, vcc
	v_add_co_u32_e32 v0, vcc, v0, v30
	v_addc_co_u32_e32 v1, vcc, v1, v31, vcc
	v_cmp_gt_i64_e32 vcc, v[0:1], v[22:23]
	v_cndmask_b32_e32 v1, v23, v1, vcc
	v_cndmask_b32_e32 v0, v22, v0, vcc
	v_mov_b32_e32 v4, s17
	v_sub_co_u32_e32 v5, vcc, s20, v18
	v_not_b32_e32 v3, v30
	v_subbrev_co_u32_e32 v4, vcc, 0, v4, vcc
	v_not_b32_e32 v2, v31
	v_add_co_u32_e32 v3, vcc, v5, v3
	v_addc_co_u32_e32 v2, vcc, v4, v2, vcc
	v_add_co_u32_e32 v0, vcc, v3, v0
	v_addc_co_u32_e32 v1, vcc, v2, v1, vcc
	v_lshrrev_b32_e32 v2, 4, v0
	v_add_u32_e32 v2, 1, v2
	v_and_b32_e32 v2, 3, v2
	v_mov_b32_e32 v28, 0
	v_cmp_ne_u32_e32 vcc, 0, v2
	v_mov_b32_e32 v29, v28
	v_mov_b32_e32 v26, v28
	;; [unrolled: 1-line block ×3, first 2 shown]
	v_pk_mov_b32 v[32:33], v[20:21], v[20:21] op_sel:[0,1]
	v_pk_mov_b32 v[34:35], v[24:25], v[24:25] op_sel:[0,1]
	s_and_saveexec_b64 s[2:3], vcc
	s_cbranch_execz .LBB82_19
; %bb.16:
	v_lshlrev_b64 v[4:5], 2, v[20:21]
	v_mov_b32_e32 v3, 0
	v_mov_b32_e32 v6, s13
	v_add_co_u32_e32 v4, vcc, s12, v4
	v_addc_co_u32_e32 v5, vcc, v6, v5, vcc
	v_lshlrev_b32_e32 v2, 2, v2
	s_mov_b64 s[10:11], 0
	v_mov_b32_e32 v6, s7
	s_movk_i32 s14, 0x100
	v_pk_mov_b32 v[34:35], v[24:25], v[24:25] op_sel:[0,1]
	v_pk_mov_b32 v[32:33], v[20:21], v[20:21] op_sel:[0,1]
	v_mov_b32_e32 v27, v3
	v_mov_b32_e32 v26, v3
	v_mov_b32_e32 v29, v3
	v_mov_b32_e32 v28, v3
.LBB82_17:                              ; =>This Inner Loop Header: Depth=1
	global_load_dword v7, v[4:5], off
	global_load_dwordx4 v[8:11], v[34:35], off
	s_waitcnt vmcnt(1)
	v_subrev_u32_e32 v7, s20, v7
	v_lshlrev_b32_e32 v7, 2, v7
	v_ashrrev_i32_e32 v13, 31, v7
	v_add_co_u32_e32 v12, vcc, s6, v7
	v_addc_co_u32_e32 v13, vcc, v6, v13, vcc
	global_load_dword v7, v[12:13], off
	s_waitcnt vmcnt(1)
	v_lshrrev_b32_e32 v19, 16, v9
	v_lshrrev_b32_e32 v40, 8, v11
	v_add_co_u32_e32 v34, vcc, s14, v34
	v_bfe_i32 v15, v9, 0, 8
	v_lshrrev_b32_e32 v17, 8, v9
	v_bfe_i32 v39, v11, 0, 8
	v_lshrrev_b32_e32 v41, 16, v11
	v_lshrrev_b32_e32 v11, 24, v11
	v_bfe_i32 v19, v19, 0, 8
	v_bfe_i32 v40, v40, 0, 8
	v_addc_co_u32_e32 v35, vcc, 0, v35, vcc
	v_bfe_i32 v12, v8, 0, 8
	v_lshrrev_b32_e32 v13, 8, v8
	v_lshrrev_b32_e32 v14, 16, v8
	;; [unrolled: 1-line block ×3, first 2 shown]
	v_bfe_i32 v36, v10, 0, 8
	v_lshrrev_b32_e32 v37, 8, v10
	v_bfe_i32 v17, v17, 0, 8
	v_bfe_i32 v45, v11, 0, 8
	v_cvt_f32_i32_sdwa v47, sext(v15) dst_sel:DWORD dst_unused:UNUSED_PAD src0_sel:WORD_0
	v_cvt_f32_i32_sdwa v11, sext(v19) dst_sel:DWORD dst_unused:UNUSED_PAD src0_sel:WORD_0
	;; [unrolled: 1-line block ×3, first 2 shown]
	v_add_co_u32_e32 v32, vcc, 16, v32
	v_lshrrev_b32_e32 v8, 24, v8
	v_lshrrev_b32_e32 v38, 16, v10
	;; [unrolled: 1-line block ×3, first 2 shown]
	v_bfe_i32 v13, v13, 0, 8
	v_bfe_i32 v14, v14, 0, 8
	;; [unrolled: 1-line block ×4, first 2 shown]
	v_cvt_f32_i32_sdwa v46, sext(v12) dst_sel:DWORD dst_unused:UNUSED_PAD src0_sel:WORD_0
	v_cvt_f32_i32_sdwa v48, sext(v36) dst_sel:DWORD dst_unused:UNUSED_PAD src0_sel:WORD_0
	;; [unrolled: 1-line block ×4, first 2 shown]
	v_addc_co_u32_e32 v33, vcc, 0, v33, vcc
	v_bfe_i32 v42, v8, 0, 8
	v_bfe_i32 v38, v38, 0, 8
	;; [unrolled: 1-line block ×4, first 2 shown]
	v_cvt_f32_i32_sdwa v8, sext(v13) dst_sel:DWORD dst_unused:UNUSED_PAD src0_sel:WORD_0
	v_cvt_f32_i32_sdwa v10, sext(v14) dst_sel:DWORD dst_unused:UNUSED_PAD src0_sel:WORD_0
	;; [unrolled: 1-line block ×3, first 2 shown]
	v_add_co_u32_e32 v4, vcc, 64, v4
	v_cvt_f32_i32_sdwa v12, sext(v42) dst_sel:DWORD dst_unused:UNUSED_PAD src0_sel:WORD_0
	v_cvt_f32_i32_sdwa v37, sext(v41) dst_sel:DWORD dst_unused:UNUSED_PAD src0_sel:WORD_0
	;; [unrolled: 1-line block ×3, first 2 shown]
	v_addc_co_u32_e32 v5, vcc, 0, v5, vcc
	v_cvt_f32_i32_sdwa v13, sext(v43) dst_sel:DWORD dst_unused:UNUSED_PAD src0_sel:WORD_0
	v_cvt_f32_i32_sdwa v39, sext(v45) dst_sel:DWORD dst_unused:UNUSED_PAD src0_sel:WORD_0
	;; [unrolled: 1-line block ×3, first 2 shown]
	v_add_co_u32_e32 v2, vcc, -4, v2
	v_addc_co_u32_e32 v3, vcc, -1, v3, vcc
	v_cmp_eq_u64_e32 vcc, 0, v[2:3]
	s_or_b64 s[10:11], vcc, s[10:11]
	s_waitcnt vmcnt(0)
	v_bfe_i32 v19, v7, 0, 8
	v_lshrrev_b32_e32 v40, 8, v7
	v_lshrrev_b32_e32 v17, 16, v7
	v_bfe_i32 v40, v40, 0, 8
	v_cvt_f32_i32_sdwa v19, sext(v19) dst_sel:DWORD dst_unused:UNUSED_PAD src0_sel:WORD_0
	v_lshrrev_b32_e32 v7, 24, v7
	v_bfe_i32 v17, v17, 0, 8
	v_cvt_f32_i32_sdwa v40, sext(v40) dst_sel:DWORD dst_unused:UNUSED_PAD src0_sel:WORD_0
	v_bfe_i32 v7, v7, 0, 8
	v_cvt_f32_i32_sdwa v42, sext(v17) dst_sel:DWORD dst_unused:UNUSED_PAD src0_sel:WORD_0
	v_cvt_f32_i32_sdwa v44, sext(v7) dst_sel:DWORD dst_unused:UNUSED_PAD src0_sel:WORD_0
	v_fmac_f32_e32 v28, v46, v19
	v_fmac_f32_e32 v29, v47, v19
	;; [unrolled: 1-line block ×4, first 2 shown]
	v_pk_fma_f32 v[8:9], v[8:9], v[40:41], v[28:29] op_sel_hi:[1,0,1]
	v_pk_fma_f32 v[14:15], v[14:15], v[40:41], v[26:27] op_sel_hi:[1,0,1]
	;; [unrolled: 1-line block ×6, first 2 shown]
	s_andn2_b64 exec, exec, s[10:11]
	s_cbranch_execnz .LBB82_17
; %bb.18:
	s_or_b64 exec, exec, s[10:11]
.LBB82_19:
	s_or_b64 exec, exec, s[2:3]
	v_cmp_lt_u64_e32 vcc, 47, v[0:1]
	s_and_saveexec_b64 s[10:11], vcc
	s_cbranch_execz .LBB82_23
; %bb.20:
	v_lshlrev_b64 v[0:1], 2, v[32:33]
	v_mov_b32_e32 v2, s13
	v_add_co_u32_e32 v0, vcc, s12, v0
	v_addc_co_u32_e32 v1, vcc, v1, v2, vcc
	v_add_co_u32_e32 v36, vcc, 0x80, v0
	v_addc_co_u32_e32 v37, vcc, 0, v1, vcc
	s_mov_b64 s[14:15], 0
	v_mov_b32_e32 v17, s7
.LBB82_21:                              ; =>This Inner Loop Header: Depth=1
	global_load_dwordx4 v[0:3], v[34:35], off
	global_load_dwordx4 v[4:7], v[34:35], off offset:256
	global_load_dwordx4 v[8:11], v[34:35], off offset:512
	global_load_dword v19, v[36:37], off offset:-128
	global_load_dwordx4 v[12:15], v[34:35], off offset:768
	global_load_dword v38, v[36:37], off offset:-64
	global_load_dword v39, v[36:37], off
	global_load_dword v40, v[36:37], off offset:64
	v_add_co_u32_e32 v36, vcc, 0x100, v36
	s_mov_b64 s[2:3], vcc
	v_add_co_u32_e32 v32, vcc, 64, v32
	v_addc_co_u32_e32 v33, vcc, 0, v33, vcc
	v_add_co_u32_e32 v34, vcc, 0x400, v34
	v_addc_co_u32_e32 v35, vcc, 0, v35, vcc
	v_addc_co_u32_e64 v37, s[2:3], 0, v37, s[2:3]
	v_cmp_ge_i64_e64 s[2:3], v[32:33], v[22:23]
	s_or_b64 s[14:15], s[2:3], s[14:15]
	s_waitcnt vmcnt(7)
	v_bfe_i32 v41, v0, 0, 8
	v_lshrrev_b32_e32 v42, 8, v0
	v_lshrrev_b32_e32 v43, 16, v0
	;; [unrolled: 1-line block ×3, first 2 shown]
	v_bfe_i32 v45, v1, 0, 8
	v_lshrrev_b32_e32 v0, 8, v1
	v_lshrrev_b32_e32 v46, 16, v1
	;; [unrolled: 1-line block ×3, first 2 shown]
	s_waitcnt vmcnt(4)
	v_subrev_u32_e32 v1, s20, v19
	v_bfe_i32 v48, v2, 0, 8
	v_lshrrev_b32_e32 v49, 8, v2
	v_lshrrev_b32_e32 v50, 16, v2
	v_lshrrev_b32_e32 v51, 24, v2
	v_bfe_i32 v52, v3, 0, 8
	v_lshrrev_b32_e32 v53, 8, v3
	v_lshrrev_b32_e32 v54, 16, v3
	v_lshrrev_b32_e32 v55, 24, v3
	;; [unrolled: 4-line block ×3, first 2 shown]
	s_waitcnt vmcnt(2)
	v_subrev_u32_e32 v2, s20, v38
	s_waitcnt vmcnt(1)
	v_subrev_u32_e32 v3, s20, v39
	v_lshlrev_b32_e32 v7, 2, v1
	v_bfe_i32 v72, v8, 0, 8
	v_lshrrev_b32_e32 v73, 8, v8
	v_lshrrev_b32_e32 v74, 16, v8
	;; [unrolled: 1-line block ×3, first 2 shown]
	v_bfe_i32 v76, v9, 0, 8
	v_lshrrev_b32_e32 v77, 8, v9
	v_lshrrev_b32_e32 v78, 16, v9
	;; [unrolled: 1-line block ×3, first 2 shown]
	v_lshlrev_b32_e32 v8, 2, v2
	v_lshlrev_b32_e32 v9, 2, v3
	v_ashrrev_i32_e32 v3, 31, v7
	v_add_co_u32_e32 v2, vcc, s6, v7
	v_addc_co_u32_e32 v3, vcc, v17, v3, vcc
	global_load_dword v88, v[2:3], off
	v_bfe_i32 v56, v4, 0, 8
	v_lshrrev_b32_e32 v57, 8, v4
	v_lshrrev_b32_e32 v58, 16, v4
	v_lshrrev_b32_e32 v59, 24, v4
	v_bfe_i32 v60, v5, 0, 8
	v_lshrrev_b32_e32 v61, 8, v5
	v_lshrrev_b32_e32 v62, 16, v5
	;; [unrolled: 1-line block ×3, first 2 shown]
	s_waitcnt vmcnt(1)
	v_subrev_u32_e32 v4, s20, v40
	v_bfe_i32 v5, v42, 0, 8
	v_bfe_i32 v64, v6, 0, 8
	v_lshrrev_b32_e32 v65, 8, v6
	v_lshrrev_b32_e32 v66, 16, v6
	v_lshrrev_b32_e32 v67, 24, v6
	v_bfe_i32 v80, v10, 0, 8
	v_lshrrev_b32_e32 v81, 8, v10
	v_lshrrev_b32_e32 v82, 16, v10
	v_lshrrev_b32_e32 v83, 24, v10
	v_bfe_i32 v10, v11, 0, 8
	v_lshrrev_b32_e32 v84, 8, v11
	v_lshrrev_b32_e32 v85, 16, v11
	v_lshrrev_b32_e32 v86, 24, v11
	v_bfe_i32 v6, v0, 0, 8
	v_lshlrev_b32_e32 v11, 2, v4
	v_cvt_f32_i32_sdwa v0, sext(v5) dst_sel:DWORD dst_unused:UNUSED_PAD src0_sel:WORD_0
	v_ashrrev_i32_e32 v5, 31, v8
	v_add_co_u32_e32 v4, vcc, s6, v8
	v_addc_co_u32_e32 v5, vcc, v17, v5, vcc
	global_load_dword v89, v[4:5], off
	v_cvt_f32_i32_sdwa v1, sext(v6) dst_sel:DWORD dst_unused:UNUSED_PAD src0_sel:WORD_0
	v_ashrrev_i32_e32 v38, 31, v9
	v_add_co_u32_e32 v6, vcc, s6, v9
	v_addc_co_u32_e32 v7, vcc, v17, v38, vcc
	global_load_dword v90, v[6:7], off
	v_ashrrev_i32_e32 v39, 31, v11
	v_add_co_u32_e32 v8, vcc, s6, v11
	v_addc_co_u32_e32 v9, vcc, v17, v39, vcc
	global_load_dword v91, v[8:9], off
	v_cvt_f32_i32_sdwa v2, sext(v41) dst_sel:DWORD dst_unused:UNUSED_PAD src0_sel:WORD_0
	v_bfe_i32 v5, v53, 0, 8
	v_cvt_f32_i32_sdwa v5, sext(v5) dst_sel:DWORD dst_unused:UNUSED_PAD src0_sel:WORD_0
	v_bfe_i32 v19, v12, 0, 8
	v_bfe_i32 v40, v13, 0, 8
	v_lshrrev_b32_e32 v87, 8, v12
	v_lshrrev_b32_e32 v38, 16, v12
	;; [unrolled: 1-line block ×5, first 2 shown]
	v_cvt_f32_i32_sdwa v12, sext(v19) dst_sel:DWORD dst_unused:UNUSED_PAD src0_sel:WORD_0
	v_bfe_i32 v19, v57, 0, 8
	v_cvt_f32_i32_sdwa v6, sext(v72) dst_sel:DWORD dst_unused:UNUSED_PAD src0_sel:WORD_0
	v_bfe_i32 v72, v81, 0, 8
	v_bfe_i32 v81, v41, 0, 8
	;; [unrolled: 1-line block ×5, first 2 shown]
	v_lshrrev_b32_e32 v53, 24, v15
	v_cvt_f32_i32_sdwa v8, sext(v64) dst_sel:DWORD dst_unused:UNUSED_PAD src0_sel:WORD_0
	v_bfe_i32 v64, v79, 0, 8
	v_bfe_i32 v67, v67, 0, 8
	;; [unrolled: 1-line block ×5, first 2 shown]
	v_cvt_f32_i32_sdwa v7, sext(v76) dst_sel:DWORD dst_unused:UNUSED_PAD src0_sel:WORD_0
	v_bfe_i32 v76, v83, 0, 8
	v_bfe_i32 v44, v44, 0, 8
	;; [unrolled: 1-line block ×3, first 2 shown]
	v_cvt_f32_i32_sdwa v9, sext(v68) dst_sel:DWORD dst_unused:UNUSED_PAD src0_sel:WORD_0
	v_bfe_i32 v57, v59, 0, 8
	v_bfe_i32 v59, v73, 0, 8
	;; [unrolled: 1-line block ×5, first 2 shown]
	s_waitcnt vmcnt(3)
	v_bfe_i32 v3, v88, 0, 8
	v_cvt_f32_i32_sdwa v3, sext(v3) dst_sel:DWORD dst_unused:UNUSED_PAD src0_sel:WORD_0
	v_cvt_f32_i32_sdwa v11, sext(v10) dst_sel:DWORD dst_unused:UNUSED_PAD src0_sel:WORD_0
	;; [unrolled: 1-line block ×3, first 2 shown]
	v_bfe_i32 v80, v38, 0, 8
	v_fmac_f32_e32 v28, v2, v3
	v_cvt_f32_i32_sdwa v2, sext(v45) dst_sel:DWORD dst_unused:UNUSED_PAD src0_sel:WORD_0
	v_lshrrev_b32_e32 v45, 24, v13
	v_cvt_f32_i32_sdwa v13, sext(v40) dst_sel:DWORD dst_unused:UNUSED_PAD src0_sel:WORD_0
	v_bfe_i32 v40, v61, 0, 8
	v_fmac_f32_e32 v29, v2, v3
	v_cvt_f32_i32_sdwa v2, sext(v48) dst_sel:DWORD dst_unused:UNUSED_PAD src0_sel:WORD_0
	v_cvt_f32_i32_sdwa v41, sext(v40) dst_sel:DWORD dst_unused:UNUSED_PAD src0_sel:WORD_0
	;; [unrolled: 1-line block ×3, first 2 shown]
	v_lshrrev_b32_e32 v19, 16, v88
	v_fmac_f32_e32 v26, v2, v3
	v_cvt_f32_i32_sdwa v2, sext(v52) dst_sel:DWORD dst_unused:UNUSED_PAD src0_sel:WORD_0
	v_bfe_i32 v19, v19, 0, 8
	v_lshrrev_b32_e32 v52, 16, v15
	v_bfe_i32 v48, v14, 0, 8
	v_fmac_f32_e32 v27, v2, v3
	v_lshrrev_b32_e32 v2, 8, v88
	v_bfe_i32 v2, v2, 0, 8
	v_cvt_f32_i32_sdwa v2, sext(v2) dst_sel:DWORD dst_unused:UNUSED_PAD src0_sel:WORD_0
	v_bfe_i32 v83, v45, 0, 8
	v_bfe_i32 v61, v74, 0, 8
	;; [unrolled: 1-line block ×3, first 2 shown]
	v_pk_fma_f32 v[0:1], v[0:1], v[2:3], v[28:29] op_sel_hi:[1,0,1]
	v_bfe_i32 v3, v49, 0, 8
	v_cvt_f32_i32_sdwa v4, sext(v3) dst_sel:DWORD dst_unused:UNUSED_PAD src0_sel:WORD_0
	v_lshrrev_b32_e32 v49, 8, v15
	v_lshrrev_b32_e32 v28, 8, v14
	;; [unrolled: 1-line block ×3, first 2 shown]
	v_pk_fma_f32 v[2:3], v[4:5], v[2:3], v[26:27] op_sel_hi:[1,0,1]
	v_lshrrev_b32_e32 v26, 24, v14
	v_bfe_i32 v27, v15, 0, 8
	v_cvt_f32_i32_sdwa v4, sext(v56) dst_sel:DWORD dst_unused:UNUSED_PAD src0_sel:WORD_0
	v_bfe_i32 v56, v62, 0, 8
	v_bfe_i32 v62, v78, 0, 8
	;; [unrolled: 1-line block ×3, first 2 shown]
	v_cvt_f32_i32_sdwa v15, sext(v27) dst_sel:DWORD dst_unused:UNUSED_PAD src0_sel:WORD_0
	v_bfe_i32 v92, v26, 0, 8
	v_cvt_f32_i32_sdwa v27, sext(v46) dst_sel:DWORD dst_unused:UNUSED_PAD src0_sel:WORD_0
	v_cvt_f32_i32_sdwa v26, sext(v43) dst_sel:DWORD dst_unused:UNUSED_PAD src0_sel:WORD_0
	v_cvt_f32_i32_sdwa v43, sext(v56) dst_sel:DWORD dst_unused:UNUSED_PAD src0_sel:WORD_0
	v_cvt_f32_i32_sdwa v56, sext(v66) dst_sel:DWORD dst_unused:UNUSED_PAD src0_sel:WORD_0
	v_cvt_f32_i32_sdwa v66, sext(v78) dst_sel:DWORD dst_unused:UNUSED_PAD src0_sel:WORD_0
	v_cvt_f32_i32_sdwa v78, sext(v19) dst_sel:DWORD dst_unused:UNUSED_PAD src0_sel:WORD_0
	v_cvt_f32_i32_sdwa v14, sext(v48) dst_sel:DWORD dst_unused:UNUSED_PAD src0_sel:WORD_0
	v_bfe_i32 v48, v58, 0, 8
	v_bfe_i32 v58, v63, 0, 8
	v_cvt_f32_i32_sdwa v45, sext(v58) dst_sel:DWORD dst_unused:UNUSED_PAD src0_sel:WORD_0
	v_cvt_f32_i32_sdwa v58, sext(v67) dst_sel:DWORD dst_unused:UNUSED_PAD src0_sel:WORD_0
	;; [unrolled: 1-line block ×3, first 2 shown]
	v_lshrrev_b32_e32 v79, 24, v88
	v_cvt_f32_i32_sdwa v5, sext(v60) dst_sel:DWORD dst_unused:UNUSED_PAD src0_sel:WORD_0
	v_bfe_i32 v60, v77, 0, 8
	v_bfe_i32 v77, v86, 0, 8
	;; [unrolled: 1-line block ×4, first 2 shown]
	v_cvt_f32_i32_sdwa v29, sext(v54) dst_sel:DWORD dst_unused:UNUSED_PAD src0_sel:WORD_0
	v_cvt_f32_i32_sdwa v28, sext(v50) dst_sel:DWORD dst_unused:UNUSED_PAD src0_sel:WORD_0
	v_pk_fma_f32 v[0:1], v[26:27], v[78:79], v[0:1] op_sel_hi:[1,0,1]
	v_bfe_i32 v26, v79, 0, 8
	v_bfe_i32 v82, v39, 0, 8
	v_bfe_i32 v87, v52, 0, 8
	v_bfe_i32 v93, v53, 0, 8
	v_cvt_f32_i32_sdwa v39, sext(v47) dst_sel:DWORD dst_unused:UNUSED_PAD src0_sel:WORD_0
	v_cvt_f32_i32_sdwa v38, sext(v44) dst_sel:DWORD dst_unused:UNUSED_PAD src0_sel:WORD_0
	;; [unrolled: 1-line block ×5, first 2 shown]
	s_waitcnt vmcnt(2)
	v_bfe_i32 v19, v89, 0, 8
	v_lshrrev_b32_e32 v27, 8, v89
	v_pk_fma_f32 v[2:3], v[28:29], v[78:79], v[2:3] op_sel_hi:[1,0,1]
	v_pk_fma_f32 v[0:1], v[38:39], v[26:27], v[0:1] op_sel_hi:[1,0,1]
	;; [unrolled: 1-line block ×3, first 2 shown]
	v_cvt_f32_i32_sdwa v26, sext(v19) dst_sel:DWORD dst_unused:UNUSED_PAD src0_sel:WORD_0
	v_cvt_f32_i32_sdwa v68, sext(v80) dst_sel:DWORD dst_unused:UNUSED_PAD src0_sel:WORD_0
	v_lshrrev_b32_e32 v80, 16, v89
	v_bfe_i32 v65, v65, 0, 8
	v_bfe_i32 v69, v69, 0, 8
	;; [unrolled: 1-line block ×5, first 2 shown]
	v_cvt_f32_i32_sdwa v55, sext(v69) dst_sel:DWORD dst_unused:UNUSED_PAD src0_sel:WORD_0
	v_cvt_f32_i32_sdwa v54, sext(v65) dst_sel:DWORD dst_unused:UNUSED_PAD src0_sel:WORD_0
	;; [unrolled: 1-line block ×3, first 2 shown]
	v_lshrrev_b32_e32 v81, 24, v89
	s_waitcnt vmcnt(1)
	v_lshrrev_b32_e32 v28, 16, v90
	v_bfe_i32 v29, v90, 0, 8
	s_waitcnt vmcnt(0)
	v_lshrrev_b32_e32 v52, 8, v91
	v_pk_fma_f32 v[0:1], v[4:5], v[26:27], v[0:1] op_sel_hi:[1,0,1]
	v_cvt_f32_i32_sdwa v4, sext(v19) dst_sel:DWORD dst_unused:UNUSED_PAD src0_sel:WORD_0
	v_bfe_i32 v71, v71, 0, 8
	v_cvt_f32_i32_sdwa v42, sext(v48) dst_sel:DWORD dst_unused:UNUSED_PAD src0_sel:WORD_0
	v_cvt_f32_i32_sdwa v44, sext(v57) dst_sel:DWORD dst_unused:UNUSED_PAD src0_sel:WORD_0
	;; [unrolled: 1-line block ×3, first 2 shown]
	v_bfe_i32 v79, v81, 0, 8
	v_bfe_i32 v80, v28, 0, 8
	v_cvt_f32_i32_sdwa v28, sext(v29) dst_sel:DWORD dst_unused:UNUSED_PAD src0_sel:WORD_0
	v_bfe_i32 v29, v52, 0, 8
	v_cvt_f32_i32_sdwa v52, sext(v27) dst_sel:DWORD dst_unused:UNUSED_PAD src0_sel:WORD_0
	v_cvt_f32_i32_sdwa v46, sext(v59) dst_sel:DWORD dst_unused:UNUSED_PAD src0_sel:WORD_0
	;; [unrolled: 1-line block ×3, first 2 shown]
	v_lshrrev_b32_e32 v78, 8, v90
	v_pk_fma_f32 v[2:3], v[8:9], v[26:27], v[2:3] op_sel_hi:[1,0,1]
	v_cvt_f32_i32_sdwa v8, sext(v79) dst_sel:DWORD dst_unused:UNUSED_PAD src0_sel:WORD_0
	v_lshrrev_b32_e32 v53, 24, v91
	v_bfe_i32 v78, v78, 0, 8
	v_bfe_i32 v63, v75, 0, 8
	;; [unrolled: 1-line block ×3, first 2 shown]
	v_cvt_f32_i32_sdwa v47, sext(v60) dst_sel:DWORD dst_unused:UNUSED_PAD src0_sel:WORD_0
	v_cvt_f32_i32_sdwa v48, sext(v61) dst_sel:DWORD dst_unused:UNUSED_PAD src0_sel:WORD_0
	;; [unrolled: 1-line block ×5, first 2 shown]
	v_lshrrev_b32_e32 v82, 24, v90
	v_bfe_i32 v53, v53, 0, 8
	v_cvt_f32_i32_sdwa v26, sext(v78) dst_sel:DWORD dst_unused:UNUSED_PAD src0_sel:WORD_0
	v_pk_fma_f32 v[0:1], v[40:41], v[4:5], v[0:1] op_sel_hi:[1,0,1]
	v_pk_fma_f32 v[2:3], v[54:55], v[4:5], v[2:3] op_sel_hi:[1,0,1]
	v_bfe_i32 v85, v49, 0, 8
	v_cvt_f32_i32_sdwa v49, sext(v62) dst_sel:DWORD dst_unused:UNUSED_PAD src0_sel:WORD_0
	v_cvt_f32_i32_sdwa v50, sext(v63) dst_sel:DWORD dst_unused:UNUSED_PAD src0_sel:WORD_0
	;; [unrolled: 1-line block ×4, first 2 shown]
	v_bfe_i32 v81, v82, 0, 8
	v_cvt_f32_i32_sdwa v78, sext(v80) dst_sel:DWORD dst_unused:UNUSED_PAD src0_sel:WORD_0
	v_pk_fma_f32 v[0:1], v[42:43], v[52:53], v[0:1] op_sel_hi:[1,0,1]
	v_pk_fma_f32 v[2:3], v[56:57], v[52:53], v[2:3] op_sel_hi:[1,0,1]
	v_cvt_f32_i32_sdwa v51, sext(v64) dst_sel:DWORD dst_unused:UNUSED_PAD src0_sel:WORD_0
	v_cvt_f32_i32_sdwa v65, sext(v77) dst_sel:DWORD dst_unused:UNUSED_PAD src0_sel:WORD_0
	;; [unrolled: 1-line block ×3, first 2 shown]
	v_lshrrev_b32_e32 v38, 16, v91
	v_bfe_i32 v39, v91, 0, 8
	v_cvt_f32_i32_sdwa v80, sext(v81) dst_sel:DWORD dst_unused:UNUSED_PAD src0_sel:WORD_0
	v_pk_fma_f32 v[0:1], v[44:45], v[8:9], v[0:1] op_sel_hi:[1,0,1]
	v_pk_fma_f32 v[2:3], v[58:59], v[8:9], v[2:3] op_sel_hi:[1,0,1]
	v_bfe_i32 v82, v38, 0, 8
	v_cvt_f32_i32_sdwa v38, sext(v39) dst_sel:DWORD dst_unused:UNUSED_PAD src0_sel:WORD_0
	v_pk_fma_f32 v[0:1], v[6:7], v[28:29], v[0:1] op_sel_hi:[1,0,1]
	v_pk_fma_f32 v[2:3], v[10:11], v[28:29], v[2:3] op_sel_hi:[1,0,1]
	v_cvt_f32_i32_sdwa v73, sext(v85) dst_sel:DWORD dst_unused:UNUSED_PAD src0_sel:WORD_0
	v_cvt_f32_i32_sdwa v72, sext(v84) dst_sel:DWORD dst_unused:UNUSED_PAD src0_sel:WORD_0
	v_cvt_f32_i32_sdwa v40, sext(v29) dst_sel:DWORD dst_unused:UNUSED_PAD src0_sel:WORD_0
	v_pk_fma_f32 v[0:1], v[46:47], v[26:27], v[0:1] op_sel_hi:[1,0,1]
	v_pk_fma_f32 v[2:3], v[60:61], v[26:27], v[2:3] op_sel_hi:[1,0,1]
	v_cvt_f32_i32_sdwa v75, sext(v87) dst_sel:DWORD dst_unused:UNUSED_PAD src0_sel:WORD_0
	v_cvt_f32_i32_sdwa v74, sext(v86) dst_sel:DWORD dst_unused:UNUSED_PAD src0_sel:WORD_0
	;; [unrolled: 5-line block ×3, first 2 shown]
	v_cvt_f32_i32_sdwa v76, sext(v92) dst_sel:DWORD dst_unused:UNUSED_PAD src0_sel:WORD_0
	v_cvt_f32_i32_sdwa v4, sext(v53) dst_sel:DWORD dst_unused:UNUSED_PAD src0_sel:WORD_0
	v_pk_fma_f32 v[0:1], v[50:51], v[80:81], v[0:1] op_sel_hi:[1,0,1]
	v_pk_fma_f32 v[2:3], v[64:65], v[80:81], v[2:3] op_sel_hi:[1,0,1]
	;; [unrolled: 1-line block ×10, first 2 shown]
	s_andn2_b64 exec, exec, s[14:15]
	s_cbranch_execnz .LBB82_21
; %bb.22:
	s_or_b64 exec, exec, s[14:15]
.LBB82_23:
	s_or_b64 exec, exec, s[10:11]
.LBB82_24:
	s_or_b64 exec, exec, s[8:9]
	s_cbranch_execz .LBB82_26
	s_branch .LBB82_37
.LBB82_25:
                                        ; implicit-def: $vgpr27
                                        ; implicit-def: $vgpr29
.LBB82_26:
	s_mov_b32 s8, 0
	v_mov_b32_e32 v27, 0
	v_mov_b32_e32 v26, 0
	;; [unrolled: 1-line block ×4, first 2 shown]
	s_and_saveexec_b64 s[2:3], s[0:1]
	s_cbranch_execz .LBB82_36
; %bb.27:
	v_or_b32_e32 v0, 16, v18
	v_mov_b32_e32 v1, s17
	v_subrev_co_u32_e32 v0, vcc, s20, v0
	v_subb_co_u32_e32 v1, vcc, 0, v1, vcc
	v_add_co_u32_e32 v0, vcc, v0, v30
	v_addc_co_u32_e32 v1, vcc, v1, v31, vcc
	v_cmp_gt_i64_e32 vcc, v[0:1], v[22:23]
	v_cndmask_b32_e32 v1, v23, v1, vcc
	v_cndmask_b32_e32 v0, v22, v0, vcc
	v_mov_b32_e32 v4, s17
	v_sub_co_u32_e32 v5, vcc, s20, v18
	v_not_b32_e32 v3, v30
	v_subbrev_co_u32_e32 v4, vcc, 0, v4, vcc
	v_not_b32_e32 v2, v31
	v_add_co_u32_e32 v3, vcc, v5, v3
	v_addc_co_u32_e32 v2, vcc, v4, v2, vcc
	v_add_co_u32_e32 v0, vcc, v3, v0
	v_addc_co_u32_e32 v1, vcc, v2, v1, vcc
	v_lshrrev_b32_e32 v2, 4, v0
	v_add_u32_e32 v2, 1, v2
	v_and_b32_e32 v2, 3, v2
	s_mov_b32 s9, s8
	v_cmp_ne_u32_e32 vcc, 0, v2
	v_pk_mov_b32 v[28:29], s[8:9], s[8:9] op_sel:[0,1]
	v_pk_mov_b32 v[26:27], s[8:9], s[8:9] op_sel:[0,1]
	s_and_saveexec_b64 s[0:1], vcc
	s_cbranch_execz .LBB82_31
; %bb.28:
	v_lshlrev_b64 v[4:5], 2, v[20:21]
	v_mov_b32_e32 v3, 0
	v_mov_b32_e32 v6, s13
	v_add_co_u32_e32 v4, vcc, s12, v4
	v_addc_co_u32_e32 v5, vcc, v6, v5, vcc
	v_lshlrev_b32_e32 v2, 2, v2
	s_mov_b64 s[8:9], 0
	v_mov_b32_e32 v6, s7
	s_movk_i32 s10, 0x100
	v_mov_b32_e32 v26, v3
	v_mov_b32_e32 v27, v3
	;; [unrolled: 1-line block ×4, first 2 shown]
.LBB82_29:                              ; =>This Inner Loop Header: Depth=1
	global_load_dword v7, v[4:5], off
	global_load_dwordx4 v[8:11], v[24:25], off
	s_waitcnt vmcnt(1)
	v_subrev_u32_e32 v7, s20, v7
	v_lshlrev_b32_e32 v7, 2, v7
	v_ashrrev_i32_e32 v13, 31, v7
	v_add_co_u32_e32 v12, vcc, s6, v7
	v_addc_co_u32_e32 v13, vcc, v6, v13, vcc
	global_load_dword v7, v[12:13], off
	s_waitcnt vmcnt(1)
	v_lshrrev_b32_e32 v14, 16, v8
	v_lshrrev_b32_e32 v19, 16, v9
	v_add_co_u32_e32 v24, vcc, s10, v24
	v_lshrrev_b32_e32 v12, 8, v8
	v_bfe_i32 v13, v8, 0, 8
	v_lshrrev_b32_e32 v8, 24, v8
	v_lshrrev_b32_e32 v17, 8, v9
	;; [unrolled: 1-line block ×4, first 2 shown]
	v_bfe_i32 v38, v14, 0, 8
	v_bfe_i32 v19, v19, 0, 8
	v_addc_co_u32_e32 v25, vcc, 0, v25, vcc
	v_bfe_i32 v15, v9, 0, 8
	v_lshrrev_b32_e32 v9, 24, v9
	v_bfe_i32 v31, v11, 0, 8
	v_lshrrev_b32_e32 v11, 24, v11
	v_bfe_i32 v37, v12, 0, 8
	v_bfe_i32 v39, v8, 0, 8
	;; [unrolled: 1-line block ×5, first 2 shown]
	v_cvt_f32_i32_sdwa v30, sext(v38) dst_sel:DWORD dst_unused:UNUSED_PAD src0_sel:WORD_0
	v_cvt_f32_i32_sdwa v32, sext(v19) dst_sel:DWORD dst_unused:UNUSED_PAD src0_sel:WORD_0
	v_add_co_u32_e32 v20, vcc, 16, v20
	v_lshrrev_b32_e32 v33, 8, v10
	v_bfe_i32 v34, v10, 0, 8
	v_lshrrev_b32_e32 v35, 16, v10
	v_lshrrev_b32_e32 v36, 24, v10
	v_bfe_i32 v40, v9, 0, 8
	v_bfe_i32 v43, v11, 0, 8
	v_cvt_f32_i32_sdwa v8, sext(v13) dst_sel:DWORD dst_unused:UNUSED_PAD src0_sel:WORD_0
	v_cvt_f32_i32_sdwa v14, sext(v31) dst_sel:DWORD dst_unused:UNUSED_PAD src0_sel:WORD_0
	;; [unrolled: 1-line block ×5, first 2 shown]
	v_addc_co_u32_e32 v21, vcc, 0, v21, vcc
	v_cvt_f32_i32_sdwa v10, sext(v15) dst_sel:DWORD dst_unused:UNUSED_PAD src0_sel:WORD_0
	v_bfe_i32 v13, v33, 0, 8
	v_cvt_f32_i32_sdwa v12, sext(v34) dst_sel:DWORD dst_unused:UNUSED_PAD src0_sel:WORD_0
	v_bfe_i32 v34, v35, 0, 8
	v_bfe_i32 v35, v36, 0, 8
	v_cvt_f32_i32_sdwa v33, sext(v40) dst_sel:DWORD dst_unused:UNUSED_PAD src0_sel:WORD_0
	v_add_co_u32_e32 v4, vcc, 64, v4
	v_cvt_f32_i32_sdwa v13, sext(v13) dst_sel:DWORD dst_unused:UNUSED_PAD src0_sel:WORD_0
	v_cvt_f32_i32_sdwa v35, sext(v35) dst_sel:DWORD dst_unused:UNUSED_PAD src0_sel:WORD_0
	;; [unrolled: 1-line block ×4, first 2 shown]
	v_addc_co_u32_e32 v5, vcc, 0, v5, vcc
	v_cvt_f32_i32_sdwa v15, sext(v41) dst_sel:DWORD dst_unused:UNUSED_PAD src0_sel:WORD_0
	v_cvt_f32_i32_sdwa v37, sext(v43) dst_sel:DWORD dst_unused:UNUSED_PAD src0_sel:WORD_0
	v_add_co_u32_e32 v2, vcc, -4, v2
	v_addc_co_u32_e32 v3, vcc, -1, v3, vcc
	v_cmp_eq_u64_e32 vcc, 0, v[2:3]
	s_or_b64 s[8:9], vcc, s[8:9]
	s_waitcnt vmcnt(0)
	v_bfe_i32 v19, v7, 0, 8
	v_lshrrev_b32_e32 v38, 8, v7
	v_lshrrev_b32_e32 v17, 16, v7
	v_bfe_i32 v39, v38, 0, 8
	v_cvt_f32_i32_sdwa v38, sext(v19) dst_sel:DWORD dst_unused:UNUSED_PAD src0_sel:WORD_0
	v_lshrrev_b32_e32 v7, 24, v7
	v_bfe_i32 v17, v17, 0, 8
	v_cvt_f32_i32_sdwa v40, sext(v39) dst_sel:DWORD dst_unused:UNUSED_PAD src0_sel:WORD_0
	v_bfe_i32 v7, v7, 0, 8
	v_cvt_f32_i32_sdwa v42, sext(v17) dst_sel:DWORD dst_unused:UNUSED_PAD src0_sel:WORD_0
	v_cvt_f32_i32_sdwa v44, sext(v7) dst_sel:DWORD dst_unused:UNUSED_PAD src0_sel:WORD_0
	v_pk_fma_f32 v[8:9], v[8:9], v[38:39], v[28:29] op_sel_hi:[1,0,1]
	v_pk_fma_f32 v[26:27], v[30:31], v[38:39], v[26:27] op_sel_hi:[1,0,1]
	;; [unrolled: 1-line block ×8, first 2 shown]
	s_andn2_b64 exec, exec, s[8:9]
	s_cbranch_execnz .LBB82_29
; %bb.30:
	s_or_b64 exec, exec, s[8:9]
.LBB82_31:
	s_or_b64 exec, exec, s[0:1]
	v_cmp_lt_u64_e32 vcc, 47, v[0:1]
	s_and_saveexec_b64 s[8:9], vcc
	s_cbranch_execz .LBB82_35
; %bb.32:
	v_lshlrev_b64 v[0:1], 2, v[20:21]
	v_mov_b32_e32 v2, s13
	v_add_co_u32_e32 v0, vcc, s12, v0
	v_addc_co_u32_e32 v1, vcc, v1, v2, vcc
	v_add_co_u32_e32 v30, vcc, 0x80, v0
	v_addc_co_u32_e32 v31, vcc, 0, v1, vcc
	s_mov_b64 s[10:11], 0
	v_mov_b32_e32 v17, s7
	s_movk_i32 s7, 0x400
.LBB82_33:                              ; =>This Inner Loop Header: Depth=1
	global_load_dword v19, v[30:31], off offset:-128
	global_load_dwordx4 v[0:3], v[24:25], off
	global_load_dword v32, v[30:31], off offset:-64
	global_load_dword v33, v[30:31], off
	global_load_dwordx4 v[4:7], v[24:25], off offset:256
	global_load_dword v34, v[30:31], off offset:64
	global_load_dwordx4 v[12:15], v[24:25], off offset:512
	global_load_dwordx4 v[8:11], v[24:25], off offset:768
	v_add_co_u32_e32 v24, vcc, s7, v24
	v_addc_co_u32_e32 v25, vcc, 0, v25, vcc
	v_add_co_u32_e32 v30, vcc, 0x100, v30
	v_addc_co_u32_e32 v31, vcc, 0, v31, vcc
	v_add_co_u32_e64 v20, s[0:1], 64, v20
	v_addc_co_u32_e64 v21, s[0:1], 0, v21, s[0:1]
	v_cmp_ge_i64_e64 s[0:1], v[20:21], v[22:23]
	s_or_b64 s[10:11], s[0:1], s[10:11]
	s_waitcnt vmcnt(7)
	v_subrev_u32_e32 v19, s20, v19
	s_waitcnt vmcnt(6)
	v_lshrrev_b32_e32 v35, 8, v0
	v_bfe_i32 v39, v1, 0, 8
	v_lshrrev_b32_e32 v40, 8, v1
	v_lshrrev_b32_e32 v41, 16, v1
	;; [unrolled: 1-line block ×3, first 2 shown]
	s_waitcnt vmcnt(5)
	v_subrev_u32_e32 v1, s20, v32
	s_waitcnt vmcnt(4)
	v_subrev_u32_e32 v32, s20, v33
	s_waitcnt vmcnt(3)
	v_lshrrev_b32_e32 v33, 8, v4
	v_bfe_i32 v45, v4, 0, 8
	v_lshrrev_b32_e32 v46, 16, v4
	v_lshrrev_b32_e32 v47, 24, v4
	s_waitcnt vmcnt(2)
	v_subrev_u32_e32 v4, s20, v34
	v_lshrrev_b32_e32 v61, 8, v2
	v_bfe_i32 v62, v2, 0, 8
	v_lshrrev_b32_e32 v71, 16, v2
	v_lshrrev_b32_e32 v72, 24, v2
	v_lshlrev_b32_e32 v2, 2, v19
	v_lshrrev_b32_e32 v43, 8, v3
	v_bfe_i32 v44, v3, 0, 8
	v_lshrrev_b32_e32 v34, 16, v3
	v_lshrrev_b32_e32 v60, 24, v3
	s_waitcnt vmcnt(1)
	v_lshrrev_b32_e32 v63, 8, v12
	v_bfe_i32 v64, v12, 0, 8
	v_lshrrev_b32_e32 v65, 16, v12
	v_lshrrev_b32_e32 v66, 24, v12
	v_bfe_i32 v3, v35, 0, 8
	v_lshlrev_b32_e32 v12, 2, v4
	v_ashrrev_i32_e32 v4, 31, v2
	v_add_co_u32_e32 v2, vcc, s6, v2
	v_lshrrev_b32_e32 v48, 8, v5
	v_bfe_i32 v49, v5, 0, 8
	v_lshrrev_b32_e32 v50, 16, v5
	v_lshrrev_b32_e32 v51, 24, v5
	v_lshlrev_b32_e32 v5, 2, v1
	v_cvt_f32_i32_sdwa v1, sext(v3) dst_sel:DWORD dst_unused:UNUSED_PAD src0_sel:WORD_0
	v_addc_co_u32_e32 v3, vcc, v17, v4, vcc
	global_load_dword v83, v[2:3], off
	v_lshrrev_b32_e32 v56, 8, v7
	v_bfe_i32 v57, v7, 0, 8
	v_lshrrev_b32_e32 v58, 16, v7
	v_lshrrev_b32_e32 v59, 24, v7
	v_ashrrev_i32_e32 v7, 31, v5
	v_add_co_u32_e32 v4, vcc, s6, v5
	v_addc_co_u32_e32 v5, vcc, v17, v7, vcc
	global_load_dword v85, v[4:5], off
	v_lshrrev_b32_e32 v52, 8, v6
	v_bfe_i32 v53, v6, 0, 8
	v_lshrrev_b32_e32 v54, 16, v6
	v_lshrrev_b32_e32 v55, 24, v6
	v_lshlrev_b32_e32 v6, 2, v32
	v_lshrrev_b32_e32 v67, 8, v13
	v_bfe_i32 v68, v13, 0, 8
	v_lshrrev_b32_e32 v69, 16, v13
	v_lshrrev_b32_e32 v70, 24, v13
	v_ashrrev_i32_e32 v13, 31, v6
	v_add_co_u32_e32 v6, vcc, s6, v6
	v_addc_co_u32_e32 v7, vcc, v17, v13, vcc
	v_lshrrev_b32_e32 v73, 8, v14
	v_bfe_i32 v74, v14, 0, 8
	v_lshrrev_b32_e32 v75, 16, v14
	v_lshrrev_b32_e32 v76, 24, v14
	v_ashrrev_i32_e32 v14, 31, v12
	v_add_co_u32_e32 v12, vcc, s6, v12
	v_addc_co_u32_e32 v13, vcc, v17, v14, vcc
	global_load_dword v87, v[6:7], off
	global_load_dword v88, v[12:13], off
	v_bfe_i32 v36, v0, 0, 8
	v_lshrrev_b32_e32 v37, 16, v0
	v_lshrrev_b32_e32 v38, 24, v0
	v_cvt_f32_i32_sdwa v0, sext(v36) dst_sel:DWORD dst_unused:UNUSED_PAD src0_sel:WORD_0
	v_bfe_i32 v4, v38, 0, 8
	v_cvt_f32_i32_sdwa v5, sext(v4) dst_sel:DWORD dst_unused:UNUSED_PAD src0_sel:WORD_0
	s_waitcnt vmcnt(4)
	v_lshrrev_b32_e32 v19, 16, v8
	v_lshrrev_b32_e32 v82, 8, v8
	;; [unrolled: 1-line block ×4, first 2 shown]
	v_bfe_i32 v19, v19, 0, 8
	v_bfe_i32 v13, v43, 0, 8
	;; [unrolled: 1-line block ×3, first 2 shown]
	v_lshrrev_b32_e32 v77, 8, v15
	v_lshrrev_b32_e32 v90, 16, v10
	;; [unrolled: 1-line block ×5, first 2 shown]
	v_bfe_i32 v35, v52, 0, 8
	v_bfe_i32 v52, v65, 0, 8
	;; [unrolled: 1-line block ×3, first 2 shown]
	v_lshrrev_b32_e32 v84, 24, v8
	v_cvt_f32_i32_sdwa v8, sext(v45) dst_sel:DWORD dst_unused:UNUSED_PAD src0_sel:WORD_0
	v_cvt_f32_i32_sdwa v12, sext(v49) dst_sel:DWORD dst_unused:UNUSED_PAD src0_sel:WORD_0
	;; [unrolled: 1-line block ×3, first 2 shown]
	v_bfe_i32 v45, v77, 0, 8
	v_bfe_i32 v49, v55, 0, 8
	;; [unrolled: 1-line block ×6, first 2 shown]
	v_lshrrev_b32_e32 v79, 16, v15
	v_lshrrev_b32_e32 v80, 24, v15
	v_bfe_i32 v89, v10, 0, 8
	v_lshrrev_b32_e32 v91, 24, v10
	v_bfe_i32 v93, v11, 0, 8
	;; [unrolled: 2-line block ×3, first 2 shown]
	v_bfe_i32 v15, v60, 0, 8
	v_cvt_f32_i32_sdwa v15, sext(v15) dst_sel:DWORD dst_unused:UNUSED_PAD src0_sel:WORD_0
	v_cvt_f32_i32_sdwa v14, sext(v14) dst_sel:DWORD dst_unused:UNUSED_PAD src0_sel:WORD_0
	;; [unrolled: 1-line block ×6, first 2 shown]
	s_waitcnt vmcnt(3)
	v_bfe_i32 v2, v83, 0, 8
	v_cvt_f32_i32_sdwa v2, sext(v2) dst_sel:DWORD dst_unused:UNUSED_PAD src0_sel:WORD_0
	v_lshrrev_b32_e32 v6, 8, v83
	v_bfe_i32 v6, v6, 0, 8
	v_cvt_f32_i32_sdwa v6, sext(v6) dst_sel:DWORD dst_unused:UNUSED_PAD src0_sel:WORD_0
	v_pk_fma_f32 v[0:1], v[0:1], v[2:3], v[28:29] op_sel_hi:[1,0,1]
	v_bfe_i32 v3, v37, 0, 8
	v_cvt_f32_i32_sdwa v4, sext(v3) dst_sel:DWORD dst_unused:UNUSED_PAD src0_sel:WORD_0
	v_lshrrev_b32_e32 v73, 24, v83
	v_bfe_i32 v28, v46, 0, 8
	s_waitcnt vmcnt(2)
	v_bfe_i32 v74, v85, 0, 8
	v_pk_fma_f32 v[2:3], v[4:5], v[2:3], v[26:27] op_sel_hi:[1,0,1]
	v_bfe_i32 v5, v40, 0, 8
	v_cvt_f32_i32_sdwa v4, sext(v39) dst_sel:DWORD dst_unused:UNUSED_PAD src0_sel:WORD_0
	v_cvt_f32_i32_sdwa v5, sext(v5) dst_sel:DWORD dst_unused:UNUSED_PAD src0_sel:WORD_0
	v_lshrrev_b32_e32 v39, 8, v9
	v_cvt_f32_i32_sdwa v26, sext(v53) dst_sel:DWORD dst_unused:UNUSED_PAD src0_sel:WORD_0
	v_bfe_i32 v53, v66, 0, 8
	v_pk_fma_f32 v[0:1], v[4:5], v[6:7], v[0:1] op_sel_hi:[1,0,1]
	v_bfe_i32 v4, v41, 0, 8
	v_bfe_i32 v5, v42, 0, 8
	v_cvt_f32_i32_sdwa v4, sext(v4) dst_sel:DWORD dst_unused:UNUSED_PAD src0_sel:WORD_0
	v_cvt_f32_i32_sdwa v5, sext(v5) dst_sel:DWORD dst_unused:UNUSED_PAD src0_sel:WORD_0
	v_bfe_i32 v66, v86, 0, 8
	v_bfe_i32 v65, v39, 0, 8
	v_cvt_f32_i32_sdwa v39, sext(v43) dst_sel:DWORD dst_unused:UNUSED_PAD src0_sel:WORD_0
	v_pk_fma_f32 v[2:3], v[4:5], v[6:7], v[2:3] op_sel_hi:[1,0,1]
	v_bfe_i32 v5, v61, 0, 8
	v_cvt_f32_i32_sdwa v4, sext(v62) dst_sel:DWORD dst_unused:UNUSED_PAD src0_sel:WORD_0
	v_bfe_i32 v61, v82, 0, 8
	v_cvt_f32_i32_sdwa v62, sext(v19) dst_sel:DWORD dst_unused:UNUSED_PAD src0_sel:WORD_0
	;; [unrolled: 2-line block ×3, first 2 shown]
	v_cvt_f32_i32_sdwa v61, sext(v66) dst_sel:DWORD dst_unused:UNUSED_PAD src0_sel:WORD_0
	v_cvt_f32_i32_sdwa v66, sext(v19) dst_sel:DWORD dst_unused:UNUSED_PAD src0_sel:WORD_0
	v_lshrrev_b32_e32 v19, 16, v83
	v_bfe_i32 v41, v9, 0, 8
	v_bfe_i32 v9, v72, 0, 8
	;; [unrolled: 1-line block ×6, first 2 shown]
	v_cvt_f32_i32_sdwa v6, sext(v44) dst_sel:DWORD dst_unused:UNUSED_PAD src0_sel:WORD_0
	v_cvt_f32_i32_sdwa v5, sext(v5) dst_sel:DWORD dst_unused:UNUSED_PAD src0_sel:WORD_0
	;; [unrolled: 1-line block ×10, first 2 shown]
	v_bfe_i32 v7, v71, 0, 8
	v_cvt_f32_i32_sdwa v11, sext(v9) dst_sel:DWORD dst_unused:UNUSED_PAD src0_sel:WORD_0
	v_cvt_f32_i32_sdwa v10, sext(v7) dst_sel:DWORD dst_unused:UNUSED_PAD src0_sel:WORD_0
	v_pk_fma_f32 v[0:1], v[4:5], v[72:73], v[0:1] op_sel_hi:[1,0,1]
	v_bfe_i32 v4, v73, 0, 8
	v_cvt_f32_i32_sdwa v7, sext(v13) dst_sel:DWORD dst_unused:UNUSED_PAD src0_sel:WORD_0
	v_cvt_f32_i32_sdwa v4, sext(v4) dst_sel:DWORD dst_unused:UNUSED_PAD src0_sel:WORD_0
	v_bfe_i32 v27, v33, 0, 8
	v_lshrrev_b32_e32 v5, 8, v85
	v_pk_fma_f32 v[2:3], v[10:11], v[72:73], v[2:3] op_sel_hi:[1,0,1]
	v_cvt_f32_i32_sdwa v9, sext(v27) dst_sel:DWORD dst_unused:UNUSED_PAD src0_sel:WORD_0
	v_pk_fma_f32 v[0:1], v[6:7], v[4:5], v[0:1] op_sel_hi:[1,0,1]
	v_pk_fma_f32 v[2:3], v[14:15], v[4:5], v[2:3] op_sel_hi:[1,0,1]
	v_cvt_f32_i32_sdwa v4, sext(v74) dst_sel:DWORD dst_unused:UNUSED_PAD src0_sel:WORD_0
	v_bfe_i32 v29, v47, 0, 8
	v_cvt_f32_i32_sdwa v29, sext(v29) dst_sel:DWORD dst_unused:UNUSED_PAD src0_sel:WORD_0
	v_cvt_f32_i32_sdwa v28, sext(v28) dst_sel:DWORD dst_unused:UNUSED_PAD src0_sel:WORD_0
	v_bfe_i32 v33, v48, 0, 8
	v_bfe_i32 v46, v50, 0, 8
	v_bfe_i32 v47, v51, 0, 8
	v_lshrrev_b32_e32 v19, 16, v85
	v_bfe_i32 v5, v5, 0, 8
	v_bfe_i32 v37, v56, 0, 8
	v_cvt_f32_i32_sdwa v13, sext(v33) dst_sel:DWORD dst_unused:UNUSED_PAD src0_sel:WORD_0
	v_bfe_i32 v48, v54, 0, 8
	v_bfe_i32 v56, v75, 0, 8
	v_cvt_f32_i32_sdwa v47, sext(v47) dst_sel:DWORD dst_unused:UNUSED_PAD src0_sel:WORD_0
	v_cvt_f32_i32_sdwa v46, sext(v46) dst_sel:DWORD dst_unused:UNUSED_PAD src0_sel:WORD_0
	v_lshrrev_b32_e32 v75, 24, v85
	s_waitcnt vmcnt(1)
	v_bfe_i32 v11, v87, 0, 8
	s_waitcnt vmcnt(0)
	v_lshrrev_b32_e32 v14, 8, v88
	v_bfe_i32 v19, v19, 0, 8
	v_pk_fma_f32 v[0:1], v[8:9], v[4:5], v[0:1] op_sel_hi:[1,0,1]
	v_cvt_f32_i32_sdwa v8, sext(v5) dst_sel:DWORD dst_unused:UNUSED_PAD src0_sel:WORD_0
	v_cvt_f32_i32_sdwa v27, sext(v35) dst_sel:DWORD dst_unused:UNUSED_PAD src0_sel:WORD_0
	v_bfe_i32 v50, v58, 0, 8
	v_bfe_i32 v51, v59, 0, 8
	v_cvt_f32_i32_sdwa v48, sext(v48) dst_sel:DWORD dst_unused:UNUSED_PAD src0_sel:WORD_0
	v_bfe_i32 v74, v75, 0, 8
	v_cvt_f32_i32_sdwa v6, sext(v11) dst_sel:DWORD dst_unused:UNUSED_PAD src0_sel:WORD_0
	;; [unrolled: 2-line block ×4, first 2 shown]
	v_cvt_f32_i32_sdwa v51, sext(v51) dst_sel:DWORD dst_unused:UNUSED_PAD src0_sel:WORD_0
	v_cvt_f32_i32_sdwa v50, sext(v50) dst_sel:DWORD dst_unused:UNUSED_PAD src0_sel:WORD_0
	v_lshrrev_b32_e32 v72, 8, v87
	v_pk_fma_f32 v[2:3], v[28:29], v[4:5], v[2:3] op_sel_hi:[1,0,1]
	v_cvt_f32_i32_sdwa v4, sext(v74) dst_sel:DWORD dst_unused:UNUSED_PAD src0_sel:WORD_0
	v_cvt_f32_i32_sdwa v35, sext(v40) dst_sel:DWORD dst_unused:UNUSED_PAD src0_sel:WORD_0
	v_bfe_i32 v54, v69, 0, 8
	v_cvt_f32_i32_sdwa v53, sext(v53) dst_sel:DWORD dst_unused:UNUSED_PAD src0_sel:WORD_0
	v_cvt_f32_i32_sdwa v52, sext(v52) dst_sel:DWORD dst_unused:UNUSED_PAD src0_sel:WORD_0
	v_lshrrev_b32_e32 v10, 16, v87
	v_lshrrev_b32_e32 v15, 24, v88
	v_bfe_i32 v72, v72, 0, 8
	v_bfe_i32 v57, v76, 0, 8
	v_cvt_f32_i32_sdwa v37, sext(v42) dst_sel:DWORD dst_unused:UNUSED_PAD src0_sel:WORD_0
	v_cvt_f32_i32_sdwa v55, sext(v55) dst_sel:DWORD dst_unused:UNUSED_PAD src0_sel:WORD_0
	v_cvt_f32_i32_sdwa v54, sext(v54) dst_sel:DWORD dst_unused:UNUSED_PAD src0_sel:WORD_0
	v_lshrrev_b32_e32 v76, 24, v87
	v_bfe_i32 v75, v10, 0, 8
	v_bfe_i32 v15, v15, 0, 8
	v_cvt_f32_i32_sdwa v28, sext(v72) dst_sel:DWORD dst_unused:UNUSED_PAD src0_sel:WORD_0
	v_pk_fma_f32 v[0:1], v[12:13], v[8:9], v[0:1] op_sel_hi:[1,0,1]
	v_pk_fma_f32 v[2:3], v[46:47], v[8:9], v[2:3] op_sel_hi:[1,0,1]
	v_bfe_i32 v58, v79, 0, 8
	v_bfe_i32 v59, v80, 0, 8
	v_cvt_f32_i32_sdwa v57, sext(v57) dst_sel:DWORD dst_unused:UNUSED_PAD src0_sel:WORD_0
	v_cvt_f32_i32_sdwa v56, sext(v56) dst_sel:DWORD dst_unused:UNUSED_PAD src0_sel:WORD_0
	v_lshrrev_b32_e32 v7, 16, v88
	v_bfe_i32 v76, v76, 0, 8
	v_cvt_f32_i32_sdwa v72, sext(v75) dst_sel:DWORD dst_unused:UNUSED_PAD src0_sel:WORD_0
	v_pk_fma_f32 v[0:1], v[26:27], v[14:15], v[0:1] op_sel_hi:[1,0,1]
	v_pk_fma_f32 v[2:3], v[48:49], v[14:15], v[2:3] op_sel_hi:[1,0,1]
	v_cvt_f32_i32_sdwa v40, sext(v78) dst_sel:DWORD dst_unused:UNUSED_PAD src0_sel:WORD_0
	v_bfe_i32 v63, v84, 0, 8
	v_cvt_f32_i32_sdwa v59, sext(v59) dst_sel:DWORD dst_unused:UNUSED_PAD src0_sel:WORD_0
	v_cvt_f32_i32_sdwa v58, sext(v58) dst_sel:DWORD dst_unused:UNUSED_PAD src0_sel:WORD_0
	v_bfe_i32 v73, v88, 0, 8
	v_bfe_i32 v7, v7, 0, 8
	v_cvt_f32_i32_sdwa v74, sext(v76) dst_sel:DWORD dst_unused:UNUSED_PAD src0_sel:WORD_0
	v_pk_fma_f32 v[0:1], v[32:33], v[4:5], v[0:1] op_sel_hi:[1,0,1]
	v_pk_fma_f32 v[2:3], v[50:51], v[4:5], v[2:3] op_sel_hi:[1,0,1]
	v_cvt_f32_i32_sdwa v42, sext(v81) dst_sel:DWORD dst_unused:UNUSED_PAD src0_sel:WORD_0
	v_cvt_f32_i32_sdwa v63, sext(v63) dst_sel:DWORD dst_unused:UNUSED_PAD src0_sel:WORD_0
	;; [unrolled: 1-line block ×3, first 2 shown]
	v_pk_fma_f32 v[0:1], v[34:35], v[6:7], v[0:1] op_sel_hi:[1,0,1]
	v_pk_fma_f32 v[2:3], v[52:53], v[6:7], v[2:3] op_sel_hi:[1,0,1]
	v_bfe_i32 v69, v91, 0, 8
	v_cvt_f32_i32_sdwa v12, sext(v11) dst_sel:DWORD dst_unused:UNUSED_PAD src0_sel:WORD_0
	v_pk_fma_f32 v[0:1], v[36:37], v[28:29], v[0:1] op_sel_hi:[1,0,1]
	v_pk_fma_f32 v[2:3], v[54:55], v[28:29], v[2:3] op_sel_hi:[1,0,1]
	v_cvt_f32_i32_sdwa v60, sext(v89) dst_sel:DWORD dst_unused:UNUSED_PAD src0_sel:WORD_0
	v_bfe_i32 v71, v95, 0, 8
	v_cvt_f32_i32_sdwa v69, sext(v69) dst_sel:DWORD dst_unused:UNUSED_PAD src0_sel:WORD_0
	v_cvt_f32_i32_sdwa v76, sext(v7) dst_sel:DWORD dst_unused:UNUSED_PAD src0_sel:WORD_0
	v_pk_fma_f32 v[0:1], v[38:39], v[72:73], v[0:1] op_sel_hi:[1,0,1]
	v_pk_fma_f32 v[2:3], v[56:57], v[72:73], v[2:3] op_sel_hi:[1,0,1]
	v_cvt_f32_i32_sdwa v64, sext(v93) dst_sel:DWORD dst_unused:UNUSED_PAD src0_sel:WORD_0
	v_cvt_f32_i32_sdwa v71, sext(v71) dst_sel:DWORD dst_unused:UNUSED_PAD src0_sel:WORD_0
	;; [unrolled: 1-line block ×3, first 2 shown]
	v_pk_fma_f32 v[0:1], v[40:41], v[74:75], v[0:1] op_sel_hi:[1,0,1]
	v_pk_fma_f32 v[2:3], v[58:59], v[74:75], v[2:3] op_sel_hi:[1,0,1]
	v_pk_fma_f32 v[0:1], v[42:43], v[10:11], v[0:1] op_sel_hi:[1,0,1]
	v_pk_fma_f32 v[2:3], v[62:63], v[10:11], v[2:3] op_sel_hi:[1,0,1]
	v_pk_fma_f32 v[0:1], v[44:45], v[12:13], v[0:1] op_sel_hi:[1,0,1]
	v_pk_fma_f32 v[2:3], v[66:67], v[12:13], v[2:3] op_sel_hi:[1,0,1]
	v_pk_fma_f32 v[0:1], v[60:61], v[76:77], v[0:1] op_sel_hi:[1,0,1]
	v_pk_fma_f32 v[2:3], v[68:69], v[76:77], v[2:3] op_sel_hi:[1,0,1]
	v_pk_fma_f32 v[28:29], v[64:65], v[8:9], v[0:1] op_sel_hi:[1,0,1]
	v_pk_fma_f32 v[26:27], v[70:71], v[8:9], v[2:3] op_sel_hi:[1,0,1]
	s_andn2_b64 exec, exec, s[10:11]
	s_cbranch_execnz .LBB82_33
; %bb.34:
	s_or_b64 exec, exec, s[10:11]
.LBB82_35:
	s_or_b64 exec, exec, s[8:9]
.LBB82_36:
	s_or_b64 exec, exec, s[2:3]
.LBB82_37:
	v_mov_b32_dpp v0, v28 row_shr:1 row_mask:0xf bank_mask:0xf
	v_mov_b32_dpp v1, v29 row_shr:1 row_mask:0xf bank_mask:0xf
	;; [unrolled: 1-line block ×4, first 2 shown]
	v_pk_add_f32 v[0:1], v[28:29], v[0:1]
	v_pk_add_f32 v[4:5], v[26:27], v[4:5]
	v_cmp_eq_u32_e32 vcc, 15, v18
	v_mov_b32_dpp v2, v0 row_shr:2 row_mask:0xf bank_mask:0xf
	v_mov_b32_dpp v3, v1 row_shr:2 row_mask:0xf bank_mask:0xf
	;; [unrolled: 1-line block ×4, first 2 shown]
	v_pk_add_f32 v[0:1], v[0:1], v[2:3]
	v_pk_add_f32 v[4:5], v[4:5], v[6:7]
	s_nop 0
	v_mov_b32_dpp v2, v0 row_shr:4 row_mask:0xf bank_mask:0xe
	v_mov_b32_dpp v3, v1 row_shr:4 row_mask:0xf bank_mask:0xe
	v_mov_b32_dpp v6, v4 row_shr:4 row_mask:0xf bank_mask:0xe
	v_mov_b32_dpp v7, v5 row_shr:4 row_mask:0xf bank_mask:0xe
	v_pk_add_f32 v[0:1], v[0:1], v[2:3]
	v_pk_add_f32 v[4:5], v[4:5], v[6:7]
	s_nop 0
	v_mov_b32_dpp v2, v0 row_shr:8 row_mask:0xf bank_mask:0xc
	v_mov_b32_dpp v3, v1 row_shr:8 row_mask:0xf bank_mask:0xc
	;; [unrolled: 1-line block ×4, first 2 shown]
	s_and_b64 exec, exec, vcc
	s_cbranch_execz .LBB82_10
; %bb.38:
	s_load_dwordx2 s[0:1], s[4:5], 0x50
	v_cmp_eq_f32_e64 s[2:3], s18, 0
	v_pk_add_f32 v[2:3], v[0:1], v[2:3]
	v_pk_add_f32 v[0:1], v[4:5], v[6:7]
	s_and_b64 vcc, exec, s[2:3]
	v_lshlrev_b32_e32 v4, 2, v16
	s_cbranch_vccz .LBB82_40
; %bb.39:
	v_ashrrev_i32_e32 v5, 31, v4
	v_lshlrev_b64 v[6:7], 2, v[4:5]
	s_waitcnt lgkmcnt(0)
	v_mov_b32_e32 v5, s1
	v_add_co_u32_e32 v10, vcc, s0, v6
	v_addc_co_u32_e32 v11, vcc, v5, v7, vcc
	v_pk_mul_f32 v[6:7], s[16:17], v[2:3] op_sel_hi:[0,1]
	v_pk_mul_f32 v[8:9], s[16:17], v[0:1] op_sel_hi:[0,1]
	global_store_dwordx4 v[10:11], v[6:9], off
	s_cbranch_execnz .LBB82_10
	s_branch .LBB82_41
.LBB82_40:
.LBB82_41:
	v_ashrrev_i32_e32 v5, 31, v4
	v_lshlrev_b64 v[4:5], 2, v[4:5]
	s_waitcnt lgkmcnt(0)
	v_mov_b32_e32 v6, s1
	v_add_co_u32_e32 v8, vcc, s0, v4
	v_addc_co_u32_e32 v9, vcc, v6, v5, vcc
	global_load_dwordx4 v[4:7], v[8:9], off
	v_pk_mul_f32 v[2:3], s[16:17], v[2:3] op_sel_hi:[0,1]
	v_pk_mul_f32 v[10:11], s[16:17], v[0:1] op_sel_hi:[0,1]
	s_waitcnt vmcnt(0)
	v_pk_fma_f32 v[0:1], s[18:19], v[4:5], v[2:3] op_sel_hi:[0,1,1]
	v_pk_fma_f32 v[2:3], s[18:19], v[6:7], v[10:11] op_sel_hi:[0,1,1]
	global_store_dwordx4 v[8:9], v[0:3], off
	s_endpgm
	.section	.rodata,"a",@progbits
	.p2align	6, 0x0
	.amdhsa_kernel _ZN9rocsparseL18bsrxmvn_4x4_kernelILj128ELj16EfliaafEEvT3_20rocsparse_direction_NS_24const_host_device_scalarIT1_EES1_PKS1_PKT2_SA_S7_PKT4_PKT5_S5_PT6_21rocsparse_index_base_b
		.amdhsa_group_segment_fixed_size 0
		.amdhsa_private_segment_fixed_size 0
		.amdhsa_kernarg_size 96
		.amdhsa_user_sgpr_count 6
		.amdhsa_user_sgpr_private_segment_buffer 1
		.amdhsa_user_sgpr_dispatch_ptr 0
		.amdhsa_user_sgpr_queue_ptr 0
		.amdhsa_user_sgpr_kernarg_segment_ptr 1
		.amdhsa_user_sgpr_dispatch_id 0
		.amdhsa_user_sgpr_flat_scratch_init 0
		.amdhsa_user_sgpr_kernarg_preload_length 0
		.amdhsa_user_sgpr_kernarg_preload_offset 0
		.amdhsa_user_sgpr_private_segment_size 0
		.amdhsa_uses_dynamic_stack 0
		.amdhsa_system_sgpr_private_segment_wavefront_offset 0
		.amdhsa_system_sgpr_workgroup_id_x 1
		.amdhsa_system_sgpr_workgroup_id_y 0
		.amdhsa_system_sgpr_workgroup_id_z 0
		.amdhsa_system_sgpr_workgroup_info 0
		.amdhsa_system_vgpr_workitem_id 0
		.amdhsa_next_free_vgpr 98
		.amdhsa_next_free_sgpr 22
		.amdhsa_accum_offset 100
		.amdhsa_reserve_vcc 1
		.amdhsa_reserve_flat_scratch 0
		.amdhsa_float_round_mode_32 0
		.amdhsa_float_round_mode_16_64 0
		.amdhsa_float_denorm_mode_32 3
		.amdhsa_float_denorm_mode_16_64 3
		.amdhsa_dx10_clamp 1
		.amdhsa_ieee_mode 1
		.amdhsa_fp16_overflow 0
		.amdhsa_tg_split 0
		.amdhsa_exception_fp_ieee_invalid_op 0
		.amdhsa_exception_fp_denorm_src 0
		.amdhsa_exception_fp_ieee_div_zero 0
		.amdhsa_exception_fp_ieee_overflow 0
		.amdhsa_exception_fp_ieee_underflow 0
		.amdhsa_exception_fp_ieee_inexact 0
		.amdhsa_exception_int_div_zero 0
	.end_amdhsa_kernel
	.section	.text._ZN9rocsparseL18bsrxmvn_4x4_kernelILj128ELj16EfliaafEEvT3_20rocsparse_direction_NS_24const_host_device_scalarIT1_EES1_PKS1_PKT2_SA_S7_PKT4_PKT5_S5_PT6_21rocsparse_index_base_b,"axG",@progbits,_ZN9rocsparseL18bsrxmvn_4x4_kernelILj128ELj16EfliaafEEvT3_20rocsparse_direction_NS_24const_host_device_scalarIT1_EES1_PKS1_PKT2_SA_S7_PKT4_PKT5_S5_PT6_21rocsparse_index_base_b,comdat
.Lfunc_end82:
	.size	_ZN9rocsparseL18bsrxmvn_4x4_kernelILj128ELj16EfliaafEEvT3_20rocsparse_direction_NS_24const_host_device_scalarIT1_EES1_PKS1_PKT2_SA_S7_PKT4_PKT5_S5_PT6_21rocsparse_index_base_b, .Lfunc_end82-_ZN9rocsparseL18bsrxmvn_4x4_kernelILj128ELj16EfliaafEEvT3_20rocsparse_direction_NS_24const_host_device_scalarIT1_EES1_PKS1_PKT2_SA_S7_PKT4_PKT5_S5_PT6_21rocsparse_index_base_b
                                        ; -- End function
	.section	.AMDGPU.csdata,"",@progbits
; Kernel info:
; codeLenInByte = 6608
; NumSgprs: 26
; NumVgprs: 98
; NumAgprs: 0
; TotalNumVgprs: 98
; ScratchSize: 0
; MemoryBound: 0
; FloatMode: 240
; IeeeMode: 1
; LDSByteSize: 0 bytes/workgroup (compile time only)
; SGPRBlocks: 3
; VGPRBlocks: 12
; NumSGPRsForWavesPerEU: 26
; NumVGPRsForWavesPerEU: 98
; AccumOffset: 100
; Occupancy: 4
; WaveLimiterHint : 1
; COMPUTE_PGM_RSRC2:SCRATCH_EN: 0
; COMPUTE_PGM_RSRC2:USER_SGPR: 6
; COMPUTE_PGM_RSRC2:TRAP_HANDLER: 0
; COMPUTE_PGM_RSRC2:TGID_X_EN: 1
; COMPUTE_PGM_RSRC2:TGID_Y_EN: 0
; COMPUTE_PGM_RSRC2:TGID_Z_EN: 0
; COMPUTE_PGM_RSRC2:TIDIG_COMP_CNT: 0
; COMPUTE_PGM_RSRC3_GFX90A:ACCUM_OFFSET: 24
; COMPUTE_PGM_RSRC3_GFX90A:TG_SPLIT: 0
	.section	.text._ZN9rocsparseL18bsrxmvn_4x4_kernelILj128ELj32EfliaafEEvT3_20rocsparse_direction_NS_24const_host_device_scalarIT1_EES1_PKS1_PKT2_SA_S7_PKT4_PKT5_S5_PT6_21rocsparse_index_base_b,"axG",@progbits,_ZN9rocsparseL18bsrxmvn_4x4_kernelILj128ELj32EfliaafEEvT3_20rocsparse_direction_NS_24const_host_device_scalarIT1_EES1_PKS1_PKT2_SA_S7_PKT4_PKT5_S5_PT6_21rocsparse_index_base_b,comdat
	.globl	_ZN9rocsparseL18bsrxmvn_4x4_kernelILj128ELj32EfliaafEEvT3_20rocsparse_direction_NS_24const_host_device_scalarIT1_EES1_PKS1_PKT2_SA_S7_PKT4_PKT5_S5_PT6_21rocsparse_index_base_b ; -- Begin function _ZN9rocsparseL18bsrxmvn_4x4_kernelILj128ELj32EfliaafEEvT3_20rocsparse_direction_NS_24const_host_device_scalarIT1_EES1_PKS1_PKT2_SA_S7_PKT4_PKT5_S5_PT6_21rocsparse_index_base_b
	.p2align	8
	.type	_ZN9rocsparseL18bsrxmvn_4x4_kernelILj128ELj32EfliaafEEvT3_20rocsparse_direction_NS_24const_host_device_scalarIT1_EES1_PKS1_PKT2_SA_S7_PKT4_PKT5_S5_PT6_21rocsparse_index_base_b,@function
_ZN9rocsparseL18bsrxmvn_4x4_kernelILj128ELj32EfliaafEEvT3_20rocsparse_direction_NS_24const_host_device_scalarIT1_EES1_PKS1_PKT2_SA_S7_PKT4_PKT5_S5_PT6_21rocsparse_index_base_b: ; @_ZN9rocsparseL18bsrxmvn_4x4_kernelILj128ELj32EfliaafEEvT3_20rocsparse_direction_NS_24const_host_device_scalarIT1_EES1_PKS1_PKT2_SA_S7_PKT4_PKT5_S5_PT6_21rocsparse_index_base_b
; %bb.0:
	s_load_dwordx2 s[20:21], s[4:5], 0x58
	s_load_dwordx2 s[16:17], s[4:5], 0x8
	;; [unrolled: 1-line block ×3, first 2 shown]
	s_waitcnt lgkmcnt(0)
	s_bitcmp1_b32 s21, 0
	s_cselect_b64 s[2:3], -1, 0
	s_xor_b64 s[0:1], s[2:3], -1
	s_and_b64 vcc, exec, s[2:3]
	s_cbranch_vccnz .LBB83_2
; %bb.1:
	s_load_dword s16, s[16:17], 0x0
.LBB83_2:
	s_andn2_b64 vcc, exec, s[0:1]
	s_cbranch_vccnz .LBB83_4
; %bb.3:
	s_load_dword s18, s[18:19], 0x0
.LBB83_4:
	s_waitcnt lgkmcnt(0)
	v_cmp_neq_f32_e64 s[0:1], s16, 0
	v_cmp_neq_f32_e64 s[2:3], s18, 1.0
	s_or_b64 s[0:1], s[0:1], s[2:3]
	s_andn2_b64 vcc, exec, s[0:1]
	s_cbranch_vccnz .LBB83_10
; %bb.5:
	s_load_dwordx2 s[8:9], s[4:5], 0x18
	s_load_dwordx2 s[0:1], s[4:5], 0x0
	v_lshrrev_b32_e32 v1, 5, v0
	v_lshl_or_b32 v16, s6, 2, v1
	s_mov_b64 s[2:3], 0
	s_waitcnt lgkmcnt(0)
	s_cmp_lg_u64 s[8:9], 0
	s_cbranch_scc0 .LBB83_11
; %bb.6:
	s_load_dword s6, s[4:5], 0x10
                                        ; implicit-def: $vgpr1
	s_waitcnt lgkmcnt(0)
	v_cmp_gt_i32_e32 vcc, s6, v16
	s_and_saveexec_b64 s[6:7], vcc
	s_xor_b64 s[6:7], exec, s[6:7]
	s_cbranch_execz .LBB83_8
; %bb.7:
	v_ashrrev_i32_e32 v17, 31, v16
	v_lshlrev_b64 v[2:3], 2, v[16:17]
	v_mov_b32_e32 v1, s9
	v_add_co_u32_e32 v2, vcc, s8, v2
	v_addc_co_u32_e32 v3, vcc, v1, v3, vcc
	global_load_dword v1, v[2:3], off
	s_mov_b64 s[2:3], exec
	s_waitcnt vmcnt(0)
	v_subrev_u32_e32 v1, s20, v1
.LBB83_8:
	s_or_b64 exec, exec, s[6:7]
	s_branch .LBB83_12
.LBB83_9:
	v_cmp_gt_i32_e32 vcc, s0, v16
	s_andn2_b64 s[2:3], s[2:3], exec
	s_and_b64 s[6:7], vcc, exec
	s_or_b64 s[2:3], s[2:3], s[6:7]
	s_and_saveexec_b64 s[6:7], s[2:3]
	s_cbranch_execnz .LBB83_13
.LBB83_10:
	s_endpgm
.LBB83_11:
                                        ; implicit-def: $vgpr1
	s_cbranch_execnz .LBB83_9
.LBB83_12:
	v_mov_b32_e32 v16, v1
	s_and_saveexec_b64 s[6:7], s[2:3]
	s_cbranch_execz .LBB83_10
.LBB83_13:
	s_load_dwordx8 s[8:15], s[4:5], 0x20
	v_ashrrev_i32_e32 v17, 31, v16
	v_lshlrev_b64 v[2:3], 3, v[16:17]
	v_and_b32_e32 v18, 31, v0
	s_mov_b32 s17, 0
	s_waitcnt lgkmcnt(0)
	v_mov_b32_e32 v1, s9
	v_add_co_u32_e32 v6, vcc, s8, v2
	v_addc_co_u32_e32 v7, vcc, v1, v3, vcc
	v_add_co_u32_e32 v1, vcc, 8, v6
	global_load_dwordx2 v[4:5], v[6:7], off
	v_addc_co_u32_e32 v6, vcc, 0, v7, vcc
	v_mov_b32_e32 v7, s11
	v_add_co_u32_e32 v2, vcc, s10, v2
	s_cmp_eq_u64 s[10:11], 0
	v_addc_co_u32_e32 v3, vcc, v7, v3, vcc
	s_cselect_b64 vcc, -1, 0
	v_cndmask_b32_e32 v3, v3, v6, vcc
	v_cndmask_b32_e32 v2, v2, v1, vcc
	global_load_dwordx2 v[2:3], v[2:3], off
	s_load_dwordx2 s[8:9], s[4:5], 0x40
	v_mov_b32_e32 v6, s15
	v_mov_b32_e32 v27, 0
	s_cmp_eq_u32 s1, 1
	s_waitcnt vmcnt(1)
	v_subrev_co_u32_e32 v0, vcc, s20, v4
	v_subbrev_co_u32_e32 v1, vcc, 0, v5, vcc
	v_add_co_u32_e32 v20, vcc, v0, v18
	v_addc_co_u32_e32 v21, vcc, 0, v1, vcc
	v_lshlrev_b64 v[0:1], 4, v[20:21]
	s_waitcnt vmcnt(0)
	v_subrev_co_u32_e32 v22, vcc, s20, v2
	v_subbrev_co_u32_e32 v23, vcc, 0, v3, vcc
	v_add_co_u32_e32 v24, vcc, s14, v0
	v_addc_co_u32_e32 v25, vcc, v6, v1, vcc
	v_cmp_lt_i64_e64 s[0:1], v[20:21], v[22:23]
	s_cbranch_scc1 .LBB83_25
; %bb.14:
	v_mov_b32_e32 v26, 0
	v_mov_b32_e32 v29, 0
	;; [unrolled: 1-line block ×3, first 2 shown]
	s_and_saveexec_b64 s[10:11], s[0:1]
	s_cbranch_execz .LBB83_24
; %bb.15:
	v_or_b32_e32 v0, 32, v18
	v_mov_b32_e32 v1, s17
	v_subrev_co_u32_e32 v0, vcc, s20, v0
	v_subb_co_u32_e32 v1, vcc, 0, v1, vcc
	v_add_co_u32_e32 v0, vcc, v0, v4
	v_addc_co_u32_e32 v1, vcc, v1, v5, vcc
	v_cmp_gt_i64_e32 vcc, v[0:1], v[22:23]
	v_cndmask_b32_e32 v1, v23, v1, vcc
	v_cndmask_b32_e32 v0, v22, v0, vcc
	v_mov_b32_e32 v6, s17
	v_sub_co_u32_e32 v7, vcc, s20, v18
	v_not_b32_e32 v3, v4
	v_subbrev_co_u32_e32 v6, vcc, 0, v6, vcc
	v_not_b32_e32 v2, v5
	v_add_co_u32_e32 v3, vcc, v7, v3
	v_addc_co_u32_e32 v2, vcc, v6, v2, vcc
	v_add_co_u32_e32 v0, vcc, v3, v0
	v_addc_co_u32_e32 v1, vcc, v2, v1, vcc
	v_lshrrev_b32_e32 v2, 5, v0
	v_add_u32_e32 v2, 1, v2
	v_and_b32_e32 v2, 3, v2
	v_mov_b32_e32 v28, 0
	v_cmp_ne_u32_e32 vcc, 0, v2
	v_mov_b32_e32 v29, v28
	v_mov_b32_e32 v26, v28
	;; [unrolled: 1-line block ×3, first 2 shown]
	v_pk_mov_b32 v[6:7], v[20:21], v[20:21] op_sel:[0,1]
	v_pk_mov_b32 v[8:9], v[24:25], v[24:25] op_sel:[0,1]
	s_and_saveexec_b64 s[6:7], vcc
	s_cbranch_execz .LBB83_19
; %bb.16:
	v_lshlrev_b64 v[6:7], 2, v[20:21]
	v_mov_b32_e32 v3, 0
	v_mov_b32_e32 v8, s13
	v_add_co_u32_e32 v10, vcc, s12, v6
	v_addc_co_u32_e32 v11, vcc, v8, v7, vcc
	v_lshlrev_b32_e32 v2, 2, v2
	s_mov_b64 s[14:15], 0
	s_waitcnt lgkmcnt(0)
	v_mov_b32_e32 v12, s9
	s_movk_i32 s19, 0x200
	v_pk_mov_b32 v[8:9], v[24:25], v[24:25] op_sel:[0,1]
	v_pk_mov_b32 v[6:7], v[20:21], v[20:21] op_sel:[0,1]
	v_mov_b32_e32 v27, v3
	v_mov_b32_e32 v26, v3
	;; [unrolled: 1-line block ×4, first 2 shown]
.LBB83_17:                              ; =>This Inner Loop Header: Depth=1
	global_load_dword v13, v[10:11], off
	global_load_dwordx4 v[30:33], v[8:9], off
	v_add_co_u32_e64 v6, s[2:3], 32, v6
	v_addc_co_u32_e64 v7, s[2:3], 0, v7, s[2:3]
	v_add_co_u32_e64 v2, s[2:3], -4, v2
	v_addc_co_u32_e64 v3, s[2:3], -1, v3, s[2:3]
	v_cmp_eq_u64_e64 s[2:3], 0, v[2:3]
	s_or_b64 s[14:15], s[2:3], s[14:15]
	s_waitcnt vmcnt(1)
	v_subrev_u32_e32 v13, s20, v13
	v_lshlrev_b32_e32 v13, 2, v13
	v_ashrrev_i32_e32 v15, 31, v13
	v_add_co_u32_e32 v14, vcc, s8, v13
	v_addc_co_u32_e32 v15, vcc, v12, v15, vcc
	global_load_dword v13, v[14:15], off
	s_waitcnt vmcnt(1)
	v_lshrrev_b32_e32 v19, 24, v30
	v_lshrrev_b32_e32 v37, 8, v32
	;; [unrolled: 1-line block ×4, first 2 shown]
	v_bfe_i32 v14, v30, 0, 8
	v_lshrrev_b32_e32 v15, 8, v30
	v_lshrrev_b32_e32 v17, 16, v30
	v_bfe_i32 v30, v31, 0, 8
	v_bfe_i32 v36, v32, 0, 8
	v_lshrrev_b32_e32 v32, 24, v32
	v_lshrrev_b32_e32 v41, 16, v33
	v_bfe_i32 v19, v19, 0, 8
	v_bfe_i32 v37, v37, 0, 8
	v_bfe_i32 v38, v38, 0, 8
	v_bfe_i32 v40, v40, 0, 8
	v_lshrrev_b32_e32 v34, 8, v31
	v_bfe_i32 v39, v33, 0, 8
	v_lshrrev_b32_e32 v33, 24, v33
	v_bfe_i32 v42, v32, 0, 8
	v_bfe_i32 v41, v41, 0, 8
	v_cvt_f32_i32_sdwa v45, sext(v30) dst_sel:DWORD dst_unused:UNUSED_PAD src0_sel:WORD_0
	v_cvt_f32_i32_sdwa v30, sext(v19) dst_sel:DWORD dst_unused:UNUSED_PAD src0_sel:WORD_0
	;; [unrolled: 1-line block ×5, first 2 shown]
	v_lshrrev_b32_e32 v35, 16, v31
	v_bfe_i32 v15, v15, 0, 8
	v_bfe_i32 v17, v17, 0, 8
	;; [unrolled: 1-line block ×4, first 2 shown]
	v_cvt_f32_i32_sdwa v44, sext(v14) dst_sel:DWORD dst_unused:UNUSED_PAD src0_sel:WORD_0
	v_cvt_f32_i32_sdwa v46, sext(v36) dst_sel:DWORD dst_unused:UNUSED_PAD src0_sel:WORD_0
	;; [unrolled: 1-line block ×4, first 2 shown]
	v_lshrrev_b32_e32 v31, 24, v31
	v_bfe_i32 v35, v35, 0, 8
	v_cvt_f32_i32_sdwa v47, sext(v15) dst_sel:DWORD dst_unused:UNUSED_PAD src0_sel:WORD_0
	v_cvt_f32_i32_sdwa v14, sext(v17) dst_sel:DWORD dst_unused:UNUSED_PAD src0_sel:WORD_0
	;; [unrolled: 1-line block ×3, first 2 shown]
	v_bfe_i32 v31, v31, 0, 8
	v_cvt_f32_i32_sdwa v15, sext(v35) dst_sel:DWORD dst_unused:UNUSED_PAD src0_sel:WORD_0
	v_cvt_f32_i32_sdwa v31, sext(v31) dst_sel:DWORD dst_unused:UNUSED_PAD src0_sel:WORD_0
	;; [unrolled: 1-line block ×4, first 2 shown]
	v_add_co_u32_e32 v8, vcc, s19, v8
	v_addc_co_u32_e32 v9, vcc, 0, v9, vcc
	v_add_co_u32_e32 v10, vcc, 0x80, v10
	v_addc_co_u32_e32 v11, vcc, 0, v11, vcc
	s_waitcnt vmcnt(0)
	v_bfe_i32 v38, v13, 0, 8
	v_lshrrev_b32_e32 v40, 8, v13
	v_lshrrev_b32_e32 v36, 16, v13
	v_bfe_i32 v40, v40, 0, 8
	v_cvt_f32_i32_sdwa v41, sext(v38) dst_sel:DWORD dst_unused:UNUSED_PAD src0_sel:WORD_0
	v_lshrrev_b32_e32 v13, 24, v13
	v_bfe_i32 v36, v36, 0, 8
	v_cvt_f32_i32_sdwa v40, sext(v40) dst_sel:DWORD dst_unused:UNUSED_PAD src0_sel:WORD_0
	v_bfe_i32 v13, v13, 0, 8
	v_cvt_f32_i32_sdwa v36, sext(v36) dst_sel:DWORD dst_unused:UNUSED_PAD src0_sel:WORD_0
	v_cvt_f32_i32_sdwa v38, sext(v13) dst_sel:DWORD dst_unused:UNUSED_PAD src0_sel:WORD_0
	v_fmac_f32_e32 v28, v44, v41
	v_fmac_f32_e32 v29, v45, v41
	v_fmac_f32_e32 v26, v46, v41
	v_fmac_f32_e32 v27, v39, v41
	v_fmac_f32_e32 v28, v47, v40
	v_fmac_f32_e32 v29, v17, v40
	v_fmac_f32_e32 v26, v19, v40
	v_fmac_f32_e32 v27, v37, v40
	v_pk_fma_f32 v[14:15], v[14:15], v[36:37], v[28:29] op_sel_hi:[1,0,1]
	v_pk_fma_f32 v[26:27], v[32:33], v[36:37], v[26:27] op_sel_hi:[1,0,1]
	;; [unrolled: 1-line block ×4, first 2 shown]
	s_andn2_b64 exec, exec, s[14:15]
	s_cbranch_execnz .LBB83_17
; %bb.18:
	s_or_b64 exec, exec, s[14:15]
.LBB83_19:
	s_or_b64 exec, exec, s[6:7]
	s_mov_b64 s[2:3], 0x5f
	v_cmp_lt_u64_e32 vcc, s[2:3], v[0:1]
	s_and_saveexec_b64 s[14:15], vcc
	s_cbranch_execz .LBB83_23
; %bb.20:
	v_lshlrev_b64 v[0:1], 2, v[6:7]
	v_mov_b32_e32 v2, s13
	v_add_co_u32_e32 v0, vcc, s12, v0
	v_addc_co_u32_e32 v1, vcc, v1, v2, vcc
	v_add_co_u32_e32 v10, vcc, 0x100, v0
	v_addc_co_u32_e32 v11, vcc, 0, v1, vcc
	s_mov_b64 s[22:23], 0
	s_waitcnt lgkmcnt(0)
	v_mov_b32_e32 v12, s9
	s_movk_i32 s19, 0x80
.LBB83_21:                              ; =>This Inner Loop Header: Depth=1
	global_load_dwordx4 v[30:33], v[8:9], off
	global_load_dwordx4 v[34:37], v[8:9], off offset:512
	global_load_dwordx4 v[72:75], v[8:9], off offset:1024
	;; [unrolled: 1-line block ×3, first 2 shown]
	s_waitcnt vmcnt(3)
	v_bfe_i32 v61, v30, 0, 8
	v_lshrrev_b32_e32 v17, 8, v30
	v_lshrrev_b32_e32 v46, 16, v30
	v_lshrrev_b32_e32 v43, 24, v30
	v_bfe_i32 v62, v31, 0, 8
	v_lshrrev_b32_e32 v15, 8, v31
	v_lshrrev_b32_e32 v50, 16, v31
	v_lshrrev_b32_e32 v44, 24, v31
	;; [unrolled: 4-line block ×4, first 2 shown]
	s_waitcnt vmcnt(2)
	v_bfe_i32 v65, v34, 0, 8
	v_lshrrev_b32_e32 v51, 8, v34
	v_lshrrev_b32_e32 v47, 16, v34
	v_lshrrev_b32_e32 v45, 24, v34
	v_bfe_i32 v67, v35, 0, 8
	v_lshrrev_b32_e32 v56, 8, v35
	v_lshrrev_b32_e32 v52, 16, v35
	v_lshrrev_b32_e32 v48, 24, v35
	;; [unrolled: 4-line block ×4, first 2 shown]
	s_waitcnt vmcnt(1)
	v_bfe_i32 v71, v73, 0, 8
	v_lshrrev_b32_e32 v60, 8, v73
	v_lshrrev_b32_e32 v59, 16, v73
	;; [unrolled: 1-line block ×3, first 2 shown]
	v_bfe_i32 v70, v74, 0, 8
	v_lshrrev_b32_e32 v40, 8, v74
	v_lshrrev_b32_e32 v37, 16, v74
	;; [unrolled: 1-line block ×3, first 2 shown]
	s_waitcnt vmcnt(0)
	v_bfe_i32 v73, v0, 0, 8
	v_lshrrev_b32_e32 v78, 8, v0
	v_lshrrev_b32_e32 v79, 16, v0
	v_lshrrev_b32_e32 v80, 24, v0
	v_bfe_i32 v85, v2, 0, 8
	v_lshrrev_b32_e32 v86, 8, v2
	v_lshrrev_b32_e32 v87, 16, v2
	;; [unrolled: 1-line block ×3, first 2 shown]
	global_load_dword v0, v[10:11], off offset:-256
	global_load_dword v2, v[10:11], off offset:-128
	global_load_dword v74, v[10:11], off
	global_load_dword v76, v[10:11], off offset:128
	v_bfe_i32 v81, v1, 0, 8
	v_lshrrev_b32_e32 v82, 8, v1
	v_lshrrev_b32_e32 v83, 16, v1
	v_lshrrev_b32_e32 v84, 24, v1
	v_bfe_i32 v89, v3, 0, 8
	v_lshrrev_b32_e32 v90, 8, v3
	v_lshrrev_b32_e32 v91, 16, v3
	v_lshrrev_b32_e32 v92, 24, v3
	;; [unrolled: 4-line block ×4, first 2 shown]
	v_bfe_i32 v50, v50, 0, 8
	v_bfe_i32 v43, v43, 0, 8
	;; [unrolled: 1-line block ×7, first 2 shown]
	v_cvt_f32_i32_sdwa v13, sext(v13) dst_sel:DWORD dst_unused:UNUSED_PAD src0_sel:WORD_0
	v_bfe_i32 v14, v14, 0, 8
	v_cvt_f32_i32_sdwa v14, sext(v14) dst_sel:DWORD dst_unused:UNUSED_PAD src0_sel:WORD_0
	v_bfe_i32 v17, v17, 0, 8
	;; [unrolled: 2-line block ×3, first 2 shown]
	v_cvt_f32_i32_sdwa v15, sext(v15) dst_sel:DWORD dst_unused:UNUSED_PAD src0_sel:WORD_0
	s_waitcnt vmcnt(3)
	v_subrev_u32_e32 v0, s20, v0
	v_lshlrev_b32_e32 v0, 2, v0
	v_ashrrev_i32_e32 v1, 31, v0
	v_add_co_u32_e32 v0, vcc, s8, v0
	s_waitcnt vmcnt(2)
	v_subrev_u32_e32 v2, s20, v2
	v_addc_co_u32_e32 v1, vcc, v12, v1, vcc
	v_lshlrev_b32_e32 v2, 2, v2
	v_ashrrev_i32_e32 v3, 31, v2
	v_add_co_u32_e32 v2, vcc, s8, v2
	s_waitcnt vmcnt(1)
	v_subrev_u32_e32 v74, s20, v74
	v_addc_co_u32_e32 v3, vcc, v12, v3, vcc
	;; [unrolled: 6-line block ×3, first 2 shown]
	v_lshlrev_b32_e32 v76, 2, v76
	v_ashrrev_i32_e32 v77, 31, v76
	v_add_co_u32_e32 v76, vcc, s8, v76
	v_addc_co_u32_e32 v77, vcc, v12, v77, vcc
	global_load_dword v93, v[0:1], off
	global_load_dword v94, v[2:3], off
	global_load_dword v95, v[74:75], off
	global_load_dword v96, v[76:77], off
	v_cvt_f32_i32_sdwa v0, sext(v61) dst_sel:DWORD dst_unused:UNUSED_PAD src0_sel:WORD_0
	v_cvt_f32_i32_sdwa v3, sext(v71) dst_sel:DWORD dst_unused:UNUSED_PAD src0_sel:WORD_0
	;; [unrolled: 1-line block ×3, first 2 shown]
	v_bfe_i32 v50, v57, 0, 8
	v_cvt_f32_i32_sdwa v75, sext(v44) dst_sel:DWORD dst_unused:UNUSED_PAD src0_sel:WORD_0
	v_cvt_f32_i32_sdwa v74, sext(v43) dst_sel:DWORD dst_unused:UNUSED_PAD src0_sel:WORD_0
	v_bfe_i32 v43, v51, 0, 8
	v_bfe_i32 v44, v56, 0, 8
	v_cvt_f32_i32_sdwa v51, sext(v44) dst_sel:DWORD dst_unused:UNUSED_PAD src0_sel:WORD_0
	v_bfe_i32 v44, v52, 0, 8
	v_cvt_f32_i32_sdwa v77, sext(v30) dst_sel:DWORD dst_unused:UNUSED_PAD src0_sel:WORD_0
	v_cvt_f32_i32_sdwa v76, sext(v19) dst_sel:DWORD dst_unused:UNUSED_PAD src0_sel:WORD_0
	v_bfe_i32 v19, v35, 0, 8
	v_bfe_i32 v30, v39, 0, 8
	;; [unrolled: 1-line block ×3, first 2 shown]
	v_cvt_f32_i32_sdwa v2, sext(v69) dst_sel:DWORD dst_unused:UNUSED_PAD src0_sel:WORD_0
	v_cvt_f32_i32_sdwa v69, sext(v89) dst_sel:DWORD dst_unused:UNUSED_PAD src0_sel:WORD_0
	v_bfe_i32 v39, v90, 0, 8
	v_cvt_f32_i32_sdwa v39, sext(v39) dst_sel:DWORD dst_unused:UNUSED_PAD src0_sel:WORD_0
	v_add_co_u32_e32 v6, vcc, s19, v6
	s_mov_b64 s[2:3], vcc
	v_add_co_u32_e32 v10, vcc, 0x200, v10
	s_mov_b64 s[6:7], vcc
	v_addc_co_u32_e64 v7, vcc, 0, v7, s[2:3]
	v_addc_co_u32_e64 v11, s[2:3], 0, v11, s[6:7]
	v_add_co_u32_e32 v8, vcc, 0x800, v8
	v_cmp_ge_i64_e64 s[2:3], v[6:7], v[22:23]
	v_addc_co_u32_e32 v9, vcc, 0, v9, vcc
	s_or_b64 s[22:23], s[2:3], s[22:23]
	s_waitcnt vmcnt(3)
	v_bfe_i32 v1, v93, 0, 8
	v_cvt_f32_i32_sdwa v1, sext(v1) dst_sel:DWORD dst_unused:UNUSED_PAD src0_sel:WORD_0
	v_fmac_f32_e32 v28, v0, v1
	v_cvt_f32_i32_sdwa v0, sext(v62) dst_sel:DWORD dst_unused:UNUSED_PAD src0_sel:WORD_0
	v_cvt_f32_i32_sdwa v62, sext(v73) dst_sel:DWORD dst_unused:UNUSED_PAD src0_sel:WORD_0
	;; [unrolled: 1-line block ×4, first 2 shown]
	v_fmac_f32_e32 v29, v0, v1
	v_cvt_f32_i32_sdwa v0, sext(v63) dst_sel:DWORD dst_unused:UNUSED_PAD src0_sel:WORD_0
	v_bfe_i32 v43, v47, 0, 8
	v_cvt_f32_i32_sdwa v47, sext(v44) dst_sel:DWORD dst_unused:UNUSED_PAD src0_sel:WORD_0
	v_bfe_i32 v44, v48, 0, 8
	v_fmac_f32_e32 v26, v0, v1
	v_cvt_f32_i32_sdwa v0, sext(v64) dst_sel:DWORD dst_unused:UNUSED_PAD src0_sel:WORD_0
	v_cvt_f32_i32_sdwa v64, sext(v66) dst_sel:DWORD dst_unused:UNUSED_PAD src0_sel:WORD_0
	;; [unrolled: 1-line block ×4, first 2 shown]
	v_bfe_i32 v46, v53, 0, 8
	v_fmac_f32_e32 v27, v0, v1
	v_cvt_f32_i32_sdwa v1, sext(v67) dst_sel:DWORD dst_unused:UNUSED_PAD src0_sel:WORD_0
	v_cvt_f32_i32_sdwa v67, sext(v72) dst_sel:DWORD dst_unused:UNUSED_PAD src0_sel:WORD_0
	;; [unrolled: 1-line block ×4, first 2 shown]
	v_bfe_i32 v43, v45, 0, 8
	v_cvt_f32_i32_sdwa v45, sext(v44) dst_sel:DWORD dst_unused:UNUSED_PAD src0_sel:WORD_0
	v_cvt_f32_i32_sdwa v44, sext(v43) dst_sel:DWORD dst_unused:UNUSED_PAD src0_sel:WORD_0
	v_bfe_i32 v43, v58, 0, 8
	v_bfe_i32 v48, v60, 0, 8
	v_cvt_f32_i32_sdwa v53, sext(v48) dst_sel:DWORD dst_unused:UNUSED_PAD src0_sel:WORD_0
	v_cvt_f32_i32_sdwa v52, sext(v43) dst_sel:DWORD dst_unused:UNUSED_PAD src0_sel:WORD_0
	v_bfe_i32 v43, v54, 0, 8
	;; [unrolled: 4-line block ×4, first 2 shown]
	v_cvt_f32_i32_sdwa v54, sext(v43) dst_sel:DWORD dst_unused:UNUSED_PAD src0_sel:WORD_0
	v_bfe_i32 v43, v79, 0, 8
	v_bfe_i32 v58, v83, 0, 8
	v_cvt_f32_i32_sdwa v79, sext(v30) dst_sel:DWORD dst_unused:UNUSED_PAD src0_sel:WORD_0
	v_cvt_f32_i32_sdwa v78, sext(v19) dst_sel:DWORD dst_unused:UNUSED_PAD src0_sel:WORD_0
	v_bfe_i32 v19, v32, 0, 8
	v_bfe_i32 v30, v36, 0, 8
	v_cvt_f32_i32_sdwa v63, sext(v81) dst_sel:DWORD dst_unused:UNUSED_PAD src0_sel:WORD_0
	v_cvt_f32_i32_sdwa v59, sext(v58) dst_sel:DWORD dst_unused:UNUSED_PAD src0_sel:WORD_0
	v_cvt_f32_i32_sdwa v58, sext(v43) dst_sel:DWORD dst_unused:UNUSED_PAD src0_sel:WORD_0
	v_bfe_i32 v43, v80, 0, 8
	v_cvt_f32_i32_sdwa v81, sext(v30) dst_sel:DWORD dst_unused:UNUSED_PAD src0_sel:WORD_0
	v_cvt_f32_i32_sdwa v80, sext(v19) dst_sel:DWORD dst_unused:UNUSED_PAD src0_sel:WORD_0
	v_bfe_i32 v19, v31, 0, 8
	v_bfe_i32 v30, v33, 0, 8
	v_cvt_f32_i32_sdwa v31, sext(v30) dst_sel:DWORD dst_unused:UNUSED_PAD src0_sel:WORD_0
	v_cvt_f32_i32_sdwa v30, sext(v19) dst_sel:DWORD dst_unused:UNUSED_PAD src0_sel:WORD_0
	v_bfe_i32 v19, v40, 0, 8
	;; [unrolled: 4-line block ×3, first 2 shown]
	v_cvt_f32_i32_sdwa v36, sext(v19) dst_sel:DWORD dst_unused:UNUSED_PAD src0_sel:WORD_0
	v_bfe_i32 v19, v34, 0, 8
	v_bfe_i32 v34, v38, 0, 8
	v_cvt_f32_i32_sdwa v37, sext(v35) dst_sel:DWORD dst_unused:UNUSED_PAD src0_sel:WORD_0
	v_cvt_f32_i32_sdwa v35, sext(v34) dst_sel:DWORD dst_unused:UNUSED_PAD src0_sel:WORD_0
	;; [unrolled: 1-line block ×3, first 2 shown]
	v_bfe_i32 v19, v86, 0, 8
	v_cvt_f32_i32_sdwa v38, sext(v19) dst_sel:DWORD dst_unused:UNUSED_PAD src0_sel:WORD_0
	v_bfe_i32 v19, v87, 0, 8
	v_bfe_i32 v40, v91, 0, 8
	;; [unrolled: 1-line block ×3, first 2 shown]
	v_cvt_f32_i32_sdwa v41, sext(v40) dst_sel:DWORD dst_unused:UNUSED_PAD src0_sel:WORD_0
	v_cvt_f32_i32_sdwa v40, sext(v19) dst_sel:DWORD dst_unused:UNUSED_PAD src0_sel:WORD_0
	v_bfe_i32 v19, v88, 0, 8
	v_bfe_i32 v42, v92, 0, 8
	v_cvt_f32_i32_sdwa v61, sext(v60) dst_sel:DWORD dst_unused:UNUSED_PAD src0_sel:WORD_0
	v_cvt_f32_i32_sdwa v60, sext(v43) dst_sel:DWORD dst_unused:UNUSED_PAD src0_sel:WORD_0
	v_cvt_f32_i32_sdwa v43, sext(v42) dst_sel:DWORD dst_unused:UNUSED_PAD src0_sel:WORD_0
	v_cvt_f32_i32_sdwa v42, sext(v19) dst_sel:DWORD dst_unused:UNUSED_PAD src0_sel:WORD_0
	v_lshrrev_b32_e32 v19, 8, v93
	v_bfe_i32 v19, v19, 0, 8
	v_cvt_f32_i32_sdwa v19, sext(v19) dst_sel:DWORD dst_unused:UNUSED_PAD src0_sel:WORD_0
	v_cvt_f32_i32_sdwa v0, sext(v65) dst_sel:DWORD dst_unused:UNUSED_PAD src0_sel:WORD_0
	;; [unrolled: 1-line block ×3, first 2 shown]
	v_bfe_i32 v55, v82, 0, 8
	v_fmac_f32_e32 v26, v13, v19
	v_lshrrev_b32_e32 v13, 16, v93
	v_bfe_i32 v13, v13, 0, 8
	v_fmac_f32_e32 v27, v14, v19
	v_cvt_f32_i32_sdwa v14, sext(v13) dst_sel:DWORD dst_unused:UNUSED_PAD src0_sel:WORD_0
	v_fmac_f32_e32 v28, v17, v19
	v_lshrrev_b32_e32 v17, 24, v93
	v_fmac_f32_e32 v29, v15, v19
	v_bfe_i32 v17, v17, 0, 8
	v_pk_fma_f32 v[28:29], v[70:71], v[14:15], v[28:29] op_sel_hi:[1,0,1]
	v_pk_fma_f32 v[14:15], v[72:73], v[14:15], v[26:27] op_sel_hi:[1,0,1]
	v_cvt_f32_i32_sdwa v26, sext(v17) dst_sel:DWORD dst_unused:UNUSED_PAD src0_sel:WORD_0
	s_waitcnt vmcnt(2)
	v_bfe_i32 v13, v94, 0, 8
	s_waitcnt vmcnt(1)
	v_lshrrev_b32_e32 v27, 16, v95
	v_lshrrev_b32_e32 v70, 8, v94
	v_pk_fma_f32 v[28:29], v[74:75], v[26:27], v[28:29] op_sel_hi:[1,0,1]
	v_pk_fma_f32 v[14:15], v[76:77], v[26:27], v[14:15] op_sel_hi:[1,0,1]
	v_cvt_f32_i32_sdwa v26, sext(v13) dst_sel:DWORD dst_unused:UNUSED_PAD src0_sel:WORD_0
	v_lshrrev_b32_e32 v19, 16, v94
	v_bfe_i32 v13, v70, 0, 8
	v_bfe_i32 v27, v27, 0, 8
	v_lshrrev_b32_e32 v71, 24, v94
	v_bfe_i32 v72, v95, 0, 8
	s_waitcnt vmcnt(0)
	v_bfe_i32 v74, v96, 0, 8
	v_bfe_i32 v19, v19, 0, 8
	v_pk_fma_f32 v[0:1], v[0:1], v[26:27], v[28:29] op_sel_hi:[1,0,1]
	v_cvt_f32_i32_sdwa v28, sext(v13) dst_sel:DWORD dst_unused:UNUSED_PAD src0_sel:WORD_0
	v_bfe_i32 v71, v71, 0, 8
	v_cvt_f32_i32_sdwa v70, sext(v72) dst_sel:DWORD dst_unused:UNUSED_PAD src0_sel:WORD_0
	v_cvt_f32_i32_sdwa v72, sext(v74) dst_sel:DWORD dst_unused:UNUSED_PAD src0_sel:WORD_0
	;; [unrolled: 1-line block ×3, first 2 shown]
	v_lshrrev_b32_e32 v73, 8, v95
	v_pk_fma_f32 v[14:15], v[64:65], v[26:27], v[14:15] op_sel_hi:[1,0,1]
	v_cvt_f32_i32_sdwa v26, sext(v71) dst_sel:DWORD dst_unused:UNUSED_PAD src0_sel:WORD_0
	v_lshrrev_b32_e32 v75, 8, v96
	v_bfe_i32 v73, v73, 0, 8
	v_lshrrev_b32_e32 v82, 24, v95
	v_lshrrev_b32_e32 v76, 24, v96
	v_bfe_i32 v75, v75, 0, 8
	v_cvt_f32_i32_sdwa v64, sext(v73) dst_sel:DWORD dst_unused:UNUSED_PAD src0_sel:WORD_0
	v_pk_fma_f32 v[0:1], v[50:51], v[28:29], v[0:1] op_sel_hi:[1,0,1]
	v_pk_fma_f32 v[14:15], v[78:79], v[28:29], v[14:15] op_sel_hi:[1,0,1]
	v_bfe_i32 v77, v82, 0, 8
	v_bfe_i32 v83, v76, 0, 8
	v_cvt_f32_i32_sdwa v76, sext(v27) dst_sel:DWORD dst_unused:UNUSED_PAD src0_sel:WORD_0
	v_pk_fma_f32 v[0:1], v[46:47], v[74:75], v[0:1] op_sel_hi:[1,0,1]
	v_pk_fma_f32 v[14:15], v[80:81], v[74:75], v[14:15] op_sel_hi:[1,0,1]
	v_cvt_f32_i32_sdwa v82, sext(v77) dst_sel:DWORD dst_unused:UNUSED_PAD src0_sel:WORD_0
	v_pk_fma_f32 v[0:1], v[44:45], v[26:27], v[0:1] op_sel_hi:[1,0,1]
	v_pk_fma_f32 v[14:15], v[30:31], v[26:27], v[14:15] op_sel_hi:[1,0,1]
	v_cvt_f32_i32_sdwa v68, sext(v85) dst_sel:DWORD dst_unused:UNUSED_PAD src0_sel:WORD_0
	v_lshrrev_b32_e32 v17, 16, v96
	v_pk_fma_f32 v[0:1], v[2:3], v[70:71], v[0:1] op_sel_hi:[1,0,1]
	v_pk_fma_f32 v[2:3], v[66:67], v[70:71], v[14:15] op_sel_hi:[1,0,1]
	v_cvt_f32_i32_sdwa v55, sext(v55) dst_sel:DWORD dst_unused:UNUSED_PAD src0_sel:WORD_0
	v_bfe_i32 v17, v17, 0, 8
	v_cvt_f32_i32_sdwa v50, sext(v75) dst_sel:DWORD dst_unused:UNUSED_PAD src0_sel:WORD_0
	v_pk_fma_f32 v[0:1], v[52:53], v[64:65], v[0:1] op_sel_hi:[1,0,1]
	v_pk_fma_f32 v[2:3], v[32:33], v[64:65], v[2:3] op_sel_hi:[1,0,1]
	v_cvt_f32_i32_sdwa v84, sext(v17) dst_sel:DWORD dst_unused:UNUSED_PAD src0_sel:WORD_0
	v_pk_fma_f32 v[0:1], v[56:57], v[76:77], v[0:1] op_sel_hi:[1,0,1]
	v_pk_fma_f32 v[2:3], v[36:37], v[76:77], v[2:3] op_sel_hi:[1,0,1]
	;; [unrolled: 3-line block ×3, first 2 shown]
	v_pk_fma_f32 v[0:1], v[62:63], v[72:73], v[0:1] op_sel_hi:[1,0,1]
	v_pk_fma_f32 v[2:3], v[68:69], v[72:73], v[2:3] op_sel_hi:[1,0,1]
	;; [unrolled: 1-line block ×8, first 2 shown]
	s_andn2_b64 exec, exec, s[22:23]
	s_cbranch_execnz .LBB83_21
; %bb.22:
	s_or_b64 exec, exec, s[22:23]
.LBB83_23:
	s_or_b64 exec, exec, s[14:15]
.LBB83_24:
	s_or_b64 exec, exec, s[10:11]
	s_cbranch_execz .LBB83_26
	s_branch .LBB83_37
.LBB83_25:
                                        ; implicit-def: $vgpr27
                                        ; implicit-def: $vgpr29
.LBB83_26:
	s_mov_b32 s6, 0
	v_mov_b32_e32 v27, 0
	v_mov_b32_e32 v26, 0
	;; [unrolled: 1-line block ×4, first 2 shown]
	s_and_saveexec_b64 s[2:3], s[0:1]
	s_cbranch_execz .LBB83_36
; %bb.27:
	v_or_b32_e32 v0, 32, v18
	v_mov_b32_e32 v1, s17
	v_subrev_co_u32_e32 v0, vcc, s20, v0
	v_subb_co_u32_e32 v1, vcc, 0, v1, vcc
	v_add_co_u32_e32 v0, vcc, v0, v4
	v_addc_co_u32_e32 v1, vcc, v1, v5, vcc
	v_cmp_gt_i64_e32 vcc, v[0:1], v[22:23]
	v_cndmask_b32_e32 v1, v23, v1, vcc
	v_cndmask_b32_e32 v0, v22, v0, vcc
	v_not_b32_e32 v2, v5
	v_not_b32_e32 v3, v4
	v_mov_b32_e32 v4, s17
	v_sub_co_u32_e32 v5, vcc, s20, v18
	v_subbrev_co_u32_e32 v4, vcc, 0, v4, vcc
	v_add_co_u32_e32 v3, vcc, v5, v3
	v_addc_co_u32_e32 v2, vcc, v4, v2, vcc
	v_add_co_u32_e32 v0, vcc, v3, v0
	v_addc_co_u32_e32 v1, vcc, v2, v1, vcc
	v_lshrrev_b32_e32 v2, 5, v0
	v_add_u32_e32 v2, 1, v2
	v_and_b32_e32 v2, 3, v2
	s_mov_b32 s7, s6
	v_cmp_ne_u32_e32 vcc, 0, v2
	v_pk_mov_b32 v[28:29], s[6:7], s[6:7] op_sel:[0,1]
	v_pk_mov_b32 v[26:27], s[6:7], s[6:7] op_sel:[0,1]
	s_and_saveexec_b64 s[6:7], vcc
	s_cbranch_execz .LBB83_31
; %bb.28:
	v_lshlrev_b64 v[4:5], 2, v[20:21]
	v_mov_b32_e32 v3, 0
	v_mov_b32_e32 v6, s13
	v_add_co_u32_e32 v4, vcc, s12, v4
	v_addc_co_u32_e32 v5, vcc, v6, v5, vcc
	v_lshlrev_b32_e32 v2, 2, v2
	s_mov_b64 s[10:11], 0
	s_waitcnt lgkmcnt(0)
	v_mov_b32_e32 v6, s9
	s_movk_i32 s14, 0x200
	v_mov_b32_e32 v26, v3
	v_mov_b32_e32 v27, v3
	;; [unrolled: 1-line block ×4, first 2 shown]
.LBB83_29:                              ; =>This Inner Loop Header: Depth=1
	global_load_dword v7, v[4:5], off
	global_load_dwordx4 v[8:11], v[24:25], off
	v_add_co_u32_e64 v20, s[0:1], 32, v20
	v_addc_co_u32_e64 v21, s[0:1], 0, v21, s[0:1]
	v_add_co_u32_e64 v2, s[0:1], -4, v2
	v_addc_co_u32_e64 v3, s[0:1], -1, v3, s[0:1]
	v_cmp_eq_u64_e64 s[0:1], 0, v[2:3]
	s_or_b64 s[10:11], s[0:1], s[10:11]
	s_waitcnt vmcnt(1)
	v_subrev_u32_e32 v7, s20, v7
	v_lshlrev_b32_e32 v7, 2, v7
	v_ashrrev_i32_e32 v13, 31, v7
	v_add_co_u32_e32 v12, vcc, s8, v7
	v_addc_co_u32_e32 v13, vcc, v6, v13, vcc
	global_load_dword v7, v[12:13], off
	s_waitcnt vmcnt(1)
	v_lshrrev_b32_e32 v12, 8, v8
	v_bfe_i32 v13, v8, 0, 8
	v_lshrrev_b32_e32 v14, 16, v8
	v_lshrrev_b32_e32 v8, 24, v8
	v_lshrrev_b32_e32 v19, 16, v9
	v_lshrrev_b32_e32 v15, 8, v9
	v_bfe_i32 v17, v9, 0, 8
	v_lshrrev_b32_e32 v9, 24, v9
	v_bfe_i32 v30, v10, 0, 8
	v_lshrrev_b32_e32 v31, 8, v10
	v_lshrrev_b32_e32 v32, 16, v10
	;; [unrolled: 1-line block ×4, first 2 shown]
	v_bfe_i32 v38, v8, 0, 8
	v_bfe_i32 v19, v19, 0, 8
	;; [unrolled: 1-line block ×3, first 2 shown]
	v_lshrrev_b32_e32 v35, 16, v11
	v_lshrrev_b32_e32 v11, 24, v11
	v_bfe_i32 v36, v12, 0, 8
	v_bfe_i32 v37, v14, 0, 8
	;; [unrolled: 1-line block ×7, first 2 shown]
	v_cvt_f32_i32_sdwa v10, sext(v17) dst_sel:DWORD dst_unused:UNUSED_PAD src0_sel:WORD_0
	v_bfe_i32 v17, v33, 0, 8
	v_cvt_f32_i32_sdwa v31, sext(v38) dst_sel:DWORD dst_unused:UNUSED_PAD src0_sel:WORD_0
	v_cvt_f32_i32_sdwa v32, sext(v19) dst_sel:DWORD dst_unused:UNUSED_PAD src0_sel:WORD_0
	v_cvt_f32_i32_sdwa v8, sext(v13) dst_sel:DWORD dst_unused:UNUSED_PAD src0_sel:WORD_0
	v_cvt_f32_i32_sdwa v12, sext(v30) dst_sel:DWORD dst_unused:UNUSED_PAD src0_sel:WORD_0
	v_bfe_i32 v44, v11, 0, 8
	v_cvt_f32_i32_sdwa v9, sext(v36) dst_sel:DWORD dst_unused:UNUSED_PAD src0_sel:WORD_0
	v_cvt_f32_i32_sdwa v11, sext(v15) dst_sel:DWORD dst_unused:UNUSED_PAD src0_sel:WORD_0
	;; [unrolled: 1-line block ×7, first 2 shown]
	v_bfe_i32 v43, v35, 0, 8
	v_cvt_f32_i32_sdwa v34, sext(v41) dst_sel:DWORD dst_unused:UNUSED_PAD src0_sel:WORD_0
	v_cvt_f32_i32_sdwa v35, sext(v42) dst_sel:DWORD dst_unused:UNUSED_PAD src0_sel:WORD_0
	;; [unrolled: 1-line block ×4, first 2 shown]
	v_add_co_u32_e32 v24, vcc, s14, v24
	v_addc_co_u32_e32 v25, vcc, 0, v25, vcc
	v_add_co_u32_e32 v4, vcc, 0x80, v4
	v_addc_co_u32_e32 v5, vcc, 0, v5, vcc
	s_waitcnt vmcnt(0)
	v_bfe_i32 v19, v7, 0, 8
	v_lshrrev_b32_e32 v38, 8, v7
	v_lshrrev_b32_e32 v17, 16, v7
	v_bfe_i32 v39, v38, 0, 8
	v_cvt_f32_i32_sdwa v38, sext(v19) dst_sel:DWORD dst_unused:UNUSED_PAD src0_sel:WORD_0
	v_lshrrev_b32_e32 v7, 24, v7
	v_bfe_i32 v17, v17, 0, 8
	v_cvt_f32_i32_sdwa v40, sext(v39) dst_sel:DWORD dst_unused:UNUSED_PAD src0_sel:WORD_0
	v_bfe_i32 v7, v7, 0, 8
	v_cvt_f32_i32_sdwa v42, sext(v17) dst_sel:DWORD dst_unused:UNUSED_PAD src0_sel:WORD_0
	v_cvt_f32_i32_sdwa v44, sext(v7) dst_sel:DWORD dst_unused:UNUSED_PAD src0_sel:WORD_0
	v_pk_fma_f32 v[8:9], v[8:9], v[38:39], v[28:29] op_sel_hi:[1,0,1]
	v_pk_fma_f32 v[26:27], v[30:31], v[38:39], v[26:27] op_sel_hi:[1,0,1]
	;; [unrolled: 1-line block ×8, first 2 shown]
	s_andn2_b64 exec, exec, s[10:11]
	s_cbranch_execnz .LBB83_29
; %bb.30:
	s_or_b64 exec, exec, s[10:11]
.LBB83_31:
	s_or_b64 exec, exec, s[6:7]
	s_mov_b64 s[0:1], 0x5f
	v_cmp_lt_u64_e32 vcc, s[0:1], v[0:1]
	s_and_saveexec_b64 s[0:1], vcc
	s_cbranch_execz .LBB83_35
; %bb.32:
	v_lshlrev_b64 v[0:1], 2, v[20:21]
	v_mov_b32_e32 v2, s13
	v_add_co_u32_e32 v0, vcc, s12, v0
	v_addc_co_u32_e32 v1, vcc, v1, v2, vcc
	v_add_co_u32_e32 v30, vcc, 0x100, v0
	v_addc_co_u32_e32 v31, vcc, 0, v1, vcc
	s_mov_b64 s[6:7], 0
	s_waitcnt lgkmcnt(0)
	v_mov_b32_e32 v17, s9
	s_movk_i32 s9, 0x800
.LBB83_33:                              ; =>This Inner Loop Header: Depth=1
	global_load_dword v19, v[30:31], off offset:-256
	global_load_dwordx4 v[0:3], v[24:25], off
	global_load_dword v32, v[30:31], off offset:-128
	global_load_dword v33, v[30:31], off
	global_load_dword v34, v[30:31], off offset:128
	global_load_dwordx4 v[4:7], v[24:25], off offset:512
	global_load_dwordx4 v[12:15], v[24:25], off offset:1024
	global_load_dwordx4 v[8:11], v[24:25], off offset:1536
	v_add_co_u32_e32 v24, vcc, s9, v24
	v_addc_co_u32_e32 v25, vcc, 0, v25, vcc
	v_add_co_u32_e32 v20, vcc, 0x80, v20
	v_addc_co_u32_e32 v21, vcc, 0, v21, vcc
	;; [unrolled: 2-line block ×3, first 2 shown]
	v_cmp_ge_i64_e32 vcc, v[20:21], v[22:23]
	s_or_b64 s[6:7], vcc, s[6:7]
	s_waitcnt vmcnt(7)
	v_subrev_u32_e32 v19, s20, v19
	s_waitcnt vmcnt(6)
	v_lshrrev_b32_e32 v35, 8, v0
	v_bfe_i32 v43, v2, 0, 8
	v_lshrrev_b32_e32 v44, 8, v2
	v_lshrrev_b32_e32 v60, 16, v2
	;; [unrolled: 1-line block ×3, first 2 shown]
	v_lshlrev_b32_e32 v2, 2, v19
	v_lshrrev_b32_e32 v39, 8, v1
	v_bfe_i32 v40, v1, 0, 8
	v_lshrrev_b32_e32 v41, 16, v1
	v_lshrrev_b32_e32 v42, 24, v1
	s_waitcnt vmcnt(5)
	v_subrev_u32_e32 v1, s20, v32
	s_waitcnt vmcnt(2)
	v_lshrrev_b32_e32 v48, 8, v5
	v_bfe_i32 v49, v5, 0, 8
	v_lshrrev_b32_e32 v50, 16, v5
	v_lshrrev_b32_e32 v51, 24, v5
	s_waitcnt vmcnt(1)
	v_lshrrev_b32_e32 v70, 8, v14
	v_bfe_i32 v71, v14, 0, 8
	v_lshrrev_b32_e32 v72, 16, v14
	v_lshrrev_b32_e32 v73, 24, v14
	v_lshrrev_b32_e32 v74, 8, v15
	v_bfe_i32 v75, v15, 0, 8
	v_lshrrev_b32_e32 v76, 16, v15
	v_lshrrev_b32_e32 v77, 24, v15
	;; [unrolled: 4-line block ×3, first 2 shown]
	v_bfe_i32 v3, v35, 0, 8
	v_ashrrev_i32_e32 v5, 31, v2
	v_add_co_u32_e32 v2, vcc, s8, v2
	v_subrev_u32_e32 v32, s20, v33
	v_subrev_u32_e32 v33, s20, v34
	v_lshrrev_b32_e32 v34, 8, v4
	v_bfe_i32 v45, v4, 0, 8
	v_lshrrev_b32_e32 v46, 16, v4
	v_lshrrev_b32_e32 v47, 24, v4
	v_lshlrev_b32_e32 v4, 2, v1
	v_cvt_f32_i32_sdwa v1, sext(v3) dst_sel:DWORD dst_unused:UNUSED_PAD src0_sel:WORD_0
	v_addc_co_u32_e32 v3, vcc, v17, v5, vcc
	global_load_dword v82, v[2:3], off
	v_lshrrev_b32_e32 v56, 8, v7
	v_bfe_i32 v57, v7, 0, 8
	v_lshrrev_b32_e32 v58, 16, v7
	v_lshrrev_b32_e32 v59, 24, v7
	v_ashrrev_i32_e32 v7, 31, v4
	v_add_co_u32_e32 v4, vcc, s8, v4
	v_addc_co_u32_e32 v5, vcc, v17, v7, vcc
	global_load_dword v84, v[4:5], off
	v_lshrrev_b32_e32 v52, 8, v6
	v_bfe_i32 v53, v6, 0, 8
	v_lshrrev_b32_e32 v54, 16, v6
	v_lshrrev_b32_e32 v55, 24, v6
	v_lshlrev_b32_e32 v6, 2, v32
	v_lshrrev_b32_e32 v66, 8, v13
	v_bfe_i32 v67, v13, 0, 8
	v_lshrrev_b32_e32 v68, 16, v13
	v_lshrrev_b32_e32 v69, 24, v13
	v_ashrrev_i32_e32 v13, 31, v6
	v_add_co_u32_e32 v6, vcc, s8, v6
	v_lshrrev_b32_e32 v62, 8, v12
	v_bfe_i32 v63, v12, 0, 8
	v_lshrrev_b32_e32 v64, 16, v12
	v_lshrrev_b32_e32 v65, 24, v12
	v_lshlrev_b32_e32 v12, 2, v33
	v_addc_co_u32_e32 v7, vcc, v17, v13, vcc
	v_ashrrev_i32_e32 v19, 31, v12
	v_add_co_u32_e32 v12, vcc, s8, v12
	v_addc_co_u32_e32 v13, vcc, v17, v19, vcc
	global_load_dword v86, v[6:7], off
	global_load_dword v87, v[12:13], off
	v_bfe_i32 v36, v0, 0, 8
	v_lshrrev_b32_e32 v37, 16, v0
	v_lshrrev_b32_e32 v38, 24, v0
	v_cvt_f32_i32_sdwa v0, sext(v36) dst_sel:DWORD dst_unused:UNUSED_PAD src0_sel:WORD_0
	v_bfe_i32 v4, v38, 0, 8
	v_cvt_f32_i32_sdwa v5, sext(v4) dst_sel:DWORD dst_unused:UNUSED_PAD src0_sel:WORD_0
	s_waitcnt vmcnt(4)
	v_lshrrev_b32_e32 v19, 16, v8
	v_lshrrev_b32_e32 v83, 24, v8
	;; [unrolled: 1-line block ×4, first 2 shown]
	v_bfe_i32 v19, v19, 0, 8
	v_bfe_i32 v85, v9, 0, 8
	v_lshrrev_b32_e32 v88, 8, v9
	v_lshrrev_b32_e32 v89, 16, v9
	;; [unrolled: 1-line block ×3, first 2 shown]
	v_bfe_i32 v9, v61, 0, 8
	v_bfe_i32 v35, v52, 0, 8
	v_lshrrev_b32_e32 v91, 8, v11
	v_bfe_i32 v92, v11, 0, 8
	v_lshrrev_b32_e32 v93, 16, v11
	v_lshrrev_b32_e32 v94, 24, v11
	;; [unrolled: 1-line block ×3, first 2 shown]
	v_cvt_f32_i32_sdwa v11, sext(v9) dst_sel:DWORD dst_unused:UNUSED_PAD src0_sel:WORD_0
	v_bfe_i32 v81, v8, 0, 8
	v_cvt_f32_i32_sdwa v8, sext(v45) dst_sel:DWORD dst_unused:UNUSED_PAD src0_sel:WORD_0
	v_cvt_f32_i32_sdwa v12, sext(v49) dst_sel:DWORD dst_unused:UNUSED_PAD src0_sel:WORD_0
	;; [unrolled: 1-line block ×3, first 2 shown]
	v_bfe_i32 v45, v74, 0, 8
	v_bfe_i32 v49, v51, 0, 8
	;; [unrolled: 1-line block ×13, first 2 shown]
	v_cvt_f32_i32_sdwa v14, sext(v14) dst_sel:DWORD dst_unused:UNUSED_PAD src0_sel:WORD_0
	v_bfe_i32 v33, v48, 0, 8
	v_bfe_i32 v48, v50, 0, 8
	;; [unrolled: 1-line block ×3, first 2 shown]
	s_waitcnt vmcnt(3)
	v_bfe_i32 v2, v82, 0, 8
	v_cvt_f32_i32_sdwa v2, sext(v2) dst_sel:DWORD dst_unused:UNUSED_PAD src0_sel:WORD_0
	v_lshrrev_b32_e32 v6, 8, v82
	v_bfe_i32 v6, v6, 0, 8
	v_cvt_f32_i32_sdwa v6, sext(v6) dst_sel:DWORD dst_unused:UNUSED_PAD src0_sel:WORD_0
	v_pk_fma_f32 v[0:1], v[0:1], v[2:3], v[28:29] op_sel_hi:[1,0,1]
	v_bfe_i32 v3, v37, 0, 8
	v_cvt_f32_i32_sdwa v4, sext(v3) dst_sel:DWORD dst_unused:UNUSED_PAD src0_sel:WORD_0
	v_bfe_i32 v29, v47, 0, 8
	v_bfe_i32 v37, v56, 0, 8
	;; [unrolled: 1-line block ×3, first 2 shown]
	v_pk_fma_f32 v[2:3], v[4:5], v[2:3], v[26:27] op_sel_hi:[1,0,1]
	v_bfe_i32 v5, v39, 0, 8
	v_cvt_f32_i32_sdwa v4, sext(v40) dst_sel:DWORD dst_unused:UNUSED_PAD src0_sel:WORD_0
	v_cvt_f32_i32_sdwa v5, sext(v5) dst_sel:DWORD dst_unused:UNUSED_PAD src0_sel:WORD_0
	v_bfe_i32 v39, v62, 0, 8
	v_bfe_i32 v62, v83, 0, 8
	v_bfe_i32 v27, v34, 0, 8
	v_pk_fma_f32 v[0:1], v[4:5], v[6:7], v[0:1] op_sel_hi:[1,0,1]
	v_bfe_i32 v4, v41, 0, 8
	v_bfe_i32 v5, v42, 0, 8
	v_cvt_f32_i32_sdwa v5, sext(v5) dst_sel:DWORD dst_unused:UNUSED_PAD src0_sel:WORD_0
	v_cvt_f32_i32_sdwa v4, sext(v4) dst_sel:DWORD dst_unused:UNUSED_PAD src0_sel:WORD_0
	v_lshrrev_b32_e32 v41, 8, v10
	v_cvt_f32_i32_sdwa v34, sext(v63) dst_sel:DWORD dst_unused:UNUSED_PAD src0_sel:WORD_0
	v_bfe_i32 v56, v68, 0, 8
	v_pk_fma_f32 v[2:3], v[4:5], v[6:7], v[2:3] op_sel_hi:[1,0,1]
	v_cvt_f32_i32_sdwa v4, sext(v43) dst_sel:DWORD dst_unused:UNUSED_PAD src0_sel:WORD_0
	v_bfe_i32 v43, v70, 0, 8
	v_bfe_i32 v68, v41, 0, 8
	v_cvt_f32_i32_sdwa v63, sext(v62) dst_sel:DWORD dst_unused:UNUSED_PAD src0_sel:WORD_0
	v_cvt_f32_i32_sdwa v62, sext(v19) dst_sel:DWORD dst_unused:UNUSED_PAD src0_sel:WORD_0
	v_bfe_i32 v19, v96, 0, 8
	v_cvt_f32_i32_sdwa v9, sext(v27) dst_sel:DWORD dst_unused:UNUSED_PAD src0_sel:WORD_0
	v_cvt_f32_i32_sdwa v27, sext(v35) dst_sel:DWORD dst_unused:UNUSED_PAD src0_sel:WORD_0
	;; [unrolled: 1-line block ×7, first 2 shown]
	v_lshrrev_b32_e32 v19, 16, v82
	v_bfe_i32 v5, v44, 0, 8
	v_bfe_i32 v70, v97, 0, 8
	;; [unrolled: 1-line block ×3, first 2 shown]
	v_cvt_f32_i32_sdwa v5, sext(v5) dst_sel:DWORD dst_unused:UNUSED_PAD src0_sel:WORD_0
	v_cvt_f32_i32_sdwa v41, sext(v45) dst_sel:DWORD dst_unused:UNUSED_PAD src0_sel:WORD_0
	;; [unrolled: 1-line block ×7, first 2 shown]
	v_bfe_i32 v7, v60, 0, 8
	v_cvt_f32_i32_sdwa v26, sext(v53) dst_sel:DWORD dst_unused:UNUSED_PAD src0_sel:WORD_0
	v_bfe_i32 v53, v59, 0, 8
	v_bfe_i32 v59, v73, 0, 8
	v_lshrrev_b32_e32 v73, 24, v82
	v_cvt_f32_i32_sdwa v6, sext(v15) dst_sel:DWORD dst_unused:UNUSED_PAD src0_sel:WORD_0
	v_bfe_i32 v15, v79, 0, 8
	v_cvt_f32_i32_sdwa v10, sext(v7) dst_sel:DWORD dst_unused:UNUSED_PAD src0_sel:WORD_0
	v_pk_fma_f32 v[0:1], v[4:5], v[72:73], v[0:1] op_sel_hi:[1,0,1]
	v_bfe_i32 v4, v73, 0, 8
	v_cvt_f32_i32_sdwa v7, sext(v13) dst_sel:DWORD dst_unused:UNUSED_PAD src0_sel:WORD_0
	v_cvt_f32_i32_sdwa v15, sext(v15) dst_sel:DWORD dst_unused:UNUSED_PAD src0_sel:WORD_0
	;; [unrolled: 1-line block ×3, first 2 shown]
	s_waitcnt vmcnt(2)
	v_bfe_i32 v74, v84, 0, 8
	v_lshrrev_b32_e32 v5, 8, v84
	v_pk_fma_f32 v[2:3], v[10:11], v[72:73], v[2:3] op_sel_hi:[1,0,1]
	v_pk_fma_f32 v[0:1], v[6:7], v[4:5], v[0:1] op_sel_hi:[1,0,1]
	;; [unrolled: 1-line block ×3, first 2 shown]
	v_cvt_f32_i32_sdwa v4, sext(v74) dst_sel:DWORD dst_unused:UNUSED_PAD src0_sel:WORD_0
	v_bfe_i32 v28, v46, 0, 8
	v_cvt_f32_i32_sdwa v29, sext(v29) dst_sel:DWORD dst_unused:UNUSED_PAD src0_sel:WORD_0
	v_cvt_f32_i32_sdwa v28, sext(v28) dst_sel:DWORD dst_unused:UNUSED_PAD src0_sel:WORD_0
	v_lshrrev_b32_e32 v19, 16, v84
	v_bfe_i32 v5, v5, 0, 8
	v_cvt_f32_i32_sdwa v13, sext(v33) dst_sel:DWORD dst_unused:UNUSED_PAD src0_sel:WORD_0
	v_cvt_f32_i32_sdwa v40, sext(v75) dst_sel:DWORD dst_unused:UNUSED_PAD src0_sel:WORD_0
	;; [unrolled: 1-line block ×4, first 2 shown]
	v_lshrrev_b32_e32 v75, 24, v84
	s_waitcnt vmcnt(1)
	v_bfe_i32 v11, v86, 0, 8
	s_waitcnt vmcnt(0)
	v_lshrrev_b32_e32 v14, 8, v87
	v_bfe_i32 v19, v19, 0, 8
	v_pk_fma_f32 v[0:1], v[8:9], v[4:5], v[0:1] op_sel_hi:[1,0,1]
	v_cvt_f32_i32_sdwa v8, sext(v5) dst_sel:DWORD dst_unused:UNUSED_PAD src0_sel:WORD_0
	v_cvt_f32_i32_sdwa v51, sext(v51) dst_sel:DWORD dst_unused:UNUSED_PAD src0_sel:WORD_0
	;; [unrolled: 1-line block ×3, first 2 shown]
	v_bfe_i32 v74, v75, 0, 8
	v_cvt_f32_i32_sdwa v6, sext(v11) dst_sel:DWORD dst_unused:UNUSED_PAD src0_sel:WORD_0
	v_bfe_i32 v11, v14, 0, 8
	v_cvt_f32_i32_sdwa v14, sext(v19) dst_sel:DWORD dst_unused:UNUSED_PAD src0_sel:WORD_0
	v_cvt_f32_i32_sdwa v33, sext(v37) dst_sel:DWORD dst_unused:UNUSED_PAD src0_sel:WORD_0
	v_bfe_i32 v54, v64, 0, 8
	v_cvt_f32_i32_sdwa v53, sext(v53) dst_sel:DWORD dst_unused:UNUSED_PAD src0_sel:WORD_0
	v_cvt_f32_i32_sdwa v52, sext(v52) dst_sel:DWORD dst_unused:UNUSED_PAD src0_sel:WORD_0
	v_lshrrev_b32_e32 v72, 8, v86
	v_pk_fma_f32 v[2:3], v[28:29], v[4:5], v[2:3] op_sel_hi:[1,0,1]
	v_cvt_f32_i32_sdwa v4, sext(v74) dst_sel:DWORD dst_unused:UNUSED_PAD src0_sel:WORD_0
	v_bfe_i32 v42, v66, 0, 8
	v_cvt_f32_i32_sdwa v55, sext(v55) dst_sel:DWORD dst_unused:UNUSED_PAD src0_sel:WORD_0
	v_cvt_f32_i32_sdwa v54, sext(v54) dst_sel:DWORD dst_unused:UNUSED_PAD src0_sel:WORD_0
	v_lshrrev_b32_e32 v10, 16, v86
	v_lshrrev_b32_e32 v15, 24, v87
	v_bfe_i32 v72, v72, 0, 8
	v_cvt_f32_i32_sdwa v36, sext(v67) dst_sel:DWORD dst_unused:UNUSED_PAD src0_sel:WORD_0
	v_cvt_f32_i32_sdwa v37, sext(v42) dst_sel:DWORD dst_unused:UNUSED_PAD src0_sel:WORD_0
	v_bfe_i32 v60, v76, 0, 8
	v_cvt_f32_i32_sdwa v57, sext(v57) dst_sel:DWORD dst_unused:UNUSED_PAD src0_sel:WORD_0
	v_cvt_f32_i32_sdwa v56, sext(v56) dst_sel:DWORD dst_unused:UNUSED_PAD src0_sel:WORD_0
	v_lshrrev_b32_e32 v76, 24, v86
	v_bfe_i32 v75, v10, 0, 8
	v_bfe_i32 v15, v15, 0, 8
	v_cvt_f32_i32_sdwa v28, sext(v72) dst_sel:DWORD dst_unused:UNUSED_PAD src0_sel:WORD_0
	v_pk_fma_f32 v[0:1], v[12:13], v[8:9], v[0:1] op_sel_hi:[1,0,1]
	v_pk_fma_f32 v[2:3], v[48:49], v[8:9], v[2:3] op_sel_hi:[1,0,1]
	v_cvt_f32_i32_sdwa v38, sext(v71) dst_sel:DWORD dst_unused:UNUSED_PAD src0_sel:WORD_0
	v_bfe_i32 v61, v77, 0, 8
	v_cvt_f32_i32_sdwa v59, sext(v59) dst_sel:DWORD dst_unused:UNUSED_PAD src0_sel:WORD_0
	v_cvt_f32_i32_sdwa v58, sext(v58) dst_sel:DWORD dst_unused:UNUSED_PAD src0_sel:WORD_0
	v_lshrrev_b32_e32 v7, 16, v87
	v_bfe_i32 v76, v76, 0, 8
	v_cvt_f32_i32_sdwa v72, sext(v75) dst_sel:DWORD dst_unused:UNUSED_PAD src0_sel:WORD_0
	v_pk_fma_f32 v[0:1], v[26:27], v[14:15], v[0:1] op_sel_hi:[1,0,1]
	v_pk_fma_f32 v[2:3], v[50:51], v[14:15], v[2:3] op_sel_hi:[1,0,1]
	v_cvt_f32_i32_sdwa v61, sext(v61) dst_sel:DWORD dst_unused:UNUSED_PAD src0_sel:WORD_0
	v_cvt_f32_i32_sdwa v60, sext(v60) dst_sel:DWORD dst_unused:UNUSED_PAD src0_sel:WORD_0
	v_bfe_i32 v73, v87, 0, 8
	v_bfe_i32 v7, v7, 0, 8
	v_cvt_f32_i32_sdwa v74, sext(v76) dst_sel:DWORD dst_unused:UNUSED_PAD src0_sel:WORD_0
	v_pk_fma_f32 v[0:1], v[32:33], v[4:5], v[0:1] op_sel_hi:[1,0,1]
	v_pk_fma_f32 v[2:3], v[52:53], v[4:5], v[2:3] op_sel_hi:[1,0,1]
	v_cvt_f32_i32_sdwa v42, sext(v81) dst_sel:DWORD dst_unused:UNUSED_PAD src0_sel:WORD_0
	v_bfe_i32 v66, v89, 0, 8
	v_bfe_i32 v67, v90, 0, 8
	v_cvt_f32_i32_sdwa v10, sext(v73) dst_sel:DWORD dst_unused:UNUSED_PAD src0_sel:WORD_0
	v_pk_fma_f32 v[0:1], v[34:35], v[6:7], v[0:1] op_sel_hi:[1,0,1]
	v_pk_fma_f32 v[2:3], v[54:55], v[6:7], v[2:3] op_sel_hi:[1,0,1]
	v_cvt_f32_i32_sdwa v44, sext(v85) dst_sel:DWORD dst_unused:UNUSED_PAD src0_sel:WORD_0
	v_cvt_f32_i32_sdwa v66, sext(v66) dst_sel:DWORD dst_unused:UNUSED_PAD src0_sel:WORD_0
	;; [unrolled: 1-line block ×4, first 2 shown]
	v_pk_fma_f32 v[0:1], v[36:37], v[28:29], v[0:1] op_sel_hi:[1,0,1]
	v_pk_fma_f32 v[2:3], v[56:57], v[28:29], v[2:3] op_sel_hi:[1,0,1]
	v_cvt_f32_i32_sdwa v46, sext(v95) dst_sel:DWORD dst_unused:UNUSED_PAD src0_sel:WORD_0
	v_bfe_i32 v71, v94, 0, 8
	v_cvt_f32_i32_sdwa v76, sext(v7) dst_sel:DWORD dst_unused:UNUSED_PAD src0_sel:WORD_0
	v_pk_fma_f32 v[0:1], v[38:39], v[72:73], v[0:1] op_sel_hi:[1,0,1]
	v_pk_fma_f32 v[2:3], v[58:59], v[72:73], v[2:3] op_sel_hi:[1,0,1]
	v_cvt_f32_i32_sdwa v64, sext(v92) dst_sel:DWORD dst_unused:UNUSED_PAD src0_sel:WORD_0
	v_cvt_f32_i32_sdwa v71, sext(v71) dst_sel:DWORD dst_unused:UNUSED_PAD src0_sel:WORD_0
	v_cvt_f32_i32_sdwa v8, sext(v15) dst_sel:DWORD dst_unused:UNUSED_PAD src0_sel:WORD_0
	v_pk_fma_f32 v[0:1], v[40:41], v[74:75], v[0:1] op_sel_hi:[1,0,1]
	v_pk_fma_f32 v[2:3], v[60:61], v[74:75], v[2:3] op_sel_hi:[1,0,1]
	;; [unrolled: 1-line block ×10, first 2 shown]
	s_andn2_b64 exec, exec, s[6:7]
	s_cbranch_execnz .LBB83_33
; %bb.34:
	s_or_b64 exec, exec, s[6:7]
.LBB83_35:
	s_or_b64 exec, exec, s[0:1]
.LBB83_36:
	s_or_b64 exec, exec, s[2:3]
.LBB83_37:
	v_mov_b32_dpp v0, v28 row_shr:1 row_mask:0xf bank_mask:0xf
	v_mov_b32_dpp v1, v29 row_shr:1 row_mask:0xf bank_mask:0xf
	;; [unrolled: 1-line block ×4, first 2 shown]
	v_pk_add_f32 v[0:1], v[28:29], v[0:1]
	v_pk_add_f32 v[4:5], v[26:27], v[4:5]
	v_cmp_eq_u32_e32 vcc, 31, v18
	v_mov_b32_dpp v2, v0 row_shr:2 row_mask:0xf bank_mask:0xf
	v_mov_b32_dpp v3, v1 row_shr:2 row_mask:0xf bank_mask:0xf
	v_mov_b32_dpp v6, v4 row_shr:2 row_mask:0xf bank_mask:0xf
	v_mov_b32_dpp v7, v5 row_shr:2 row_mask:0xf bank_mask:0xf
	v_pk_add_f32 v[0:1], v[0:1], v[2:3]
	v_pk_add_f32 v[4:5], v[4:5], v[6:7]
	s_nop 0
	v_mov_b32_dpp v2, v0 row_shr:4 row_mask:0xf bank_mask:0xe
	v_mov_b32_dpp v3, v1 row_shr:4 row_mask:0xf bank_mask:0xe
	v_mov_b32_dpp v6, v4 row_shr:4 row_mask:0xf bank_mask:0xe
	v_mov_b32_dpp v7, v5 row_shr:4 row_mask:0xf bank_mask:0xe
	v_pk_add_f32 v[0:1], v[0:1], v[2:3]
	v_pk_add_f32 v[4:5], v[4:5], v[6:7]
	s_nop 0
	;; [unrolled: 7-line block ×3, first 2 shown]
	v_mov_b32_dpp v2, v0 row_bcast:15 row_mask:0xa bank_mask:0xf
	v_mov_b32_dpp v3, v1 row_bcast:15 row_mask:0xa bank_mask:0xf
	;; [unrolled: 1-line block ×4, first 2 shown]
	s_and_b64 exec, exec, vcc
	s_cbranch_execz .LBB83_10
; %bb.38:
	s_load_dwordx2 s[0:1], s[4:5], 0x50
	v_cmp_eq_f32_e64 s[2:3], s18, 0
	v_pk_add_f32 v[2:3], v[0:1], v[2:3]
	v_pk_add_f32 v[0:1], v[4:5], v[6:7]
	s_and_b64 vcc, exec, s[2:3]
	v_lshlrev_b32_e32 v4, 2, v16
	s_cbranch_vccz .LBB83_40
; %bb.39:
	v_ashrrev_i32_e32 v5, 31, v4
	v_lshlrev_b64 v[6:7], 2, v[4:5]
	s_waitcnt lgkmcnt(0)
	v_mov_b32_e32 v5, s1
	v_add_co_u32_e32 v10, vcc, s0, v6
	v_addc_co_u32_e32 v11, vcc, v5, v7, vcc
	v_pk_mul_f32 v[6:7], s[16:17], v[2:3] op_sel_hi:[0,1]
	v_pk_mul_f32 v[8:9], s[16:17], v[0:1] op_sel_hi:[0,1]
	global_store_dwordx4 v[10:11], v[6:9], off
	s_cbranch_execnz .LBB83_10
	s_branch .LBB83_41
.LBB83_40:
.LBB83_41:
	v_ashrrev_i32_e32 v5, 31, v4
	v_lshlrev_b64 v[4:5], 2, v[4:5]
	s_waitcnt lgkmcnt(0)
	v_mov_b32_e32 v6, s1
	v_add_co_u32_e32 v8, vcc, s0, v4
	v_addc_co_u32_e32 v9, vcc, v6, v5, vcc
	global_load_dwordx4 v[4:7], v[8:9], off
	v_pk_mul_f32 v[2:3], s[16:17], v[2:3] op_sel_hi:[0,1]
	v_pk_mul_f32 v[10:11], s[16:17], v[0:1] op_sel_hi:[0,1]
	s_waitcnt vmcnt(0)
	v_pk_fma_f32 v[0:1], s[18:19], v[4:5], v[2:3] op_sel_hi:[0,1,1]
	v_pk_fma_f32 v[2:3], s[18:19], v[6:7], v[10:11] op_sel_hi:[0,1,1]
	global_store_dwordx4 v[8:9], v[0:3], off
	s_endpgm
	.section	.rodata,"a",@progbits
	.p2align	6, 0x0
	.amdhsa_kernel _ZN9rocsparseL18bsrxmvn_4x4_kernelILj128ELj32EfliaafEEvT3_20rocsparse_direction_NS_24const_host_device_scalarIT1_EES1_PKS1_PKT2_SA_S7_PKT4_PKT5_S5_PT6_21rocsparse_index_base_b
		.amdhsa_group_segment_fixed_size 0
		.amdhsa_private_segment_fixed_size 0
		.amdhsa_kernarg_size 96
		.amdhsa_user_sgpr_count 6
		.amdhsa_user_sgpr_private_segment_buffer 1
		.amdhsa_user_sgpr_dispatch_ptr 0
		.amdhsa_user_sgpr_queue_ptr 0
		.amdhsa_user_sgpr_kernarg_segment_ptr 1
		.amdhsa_user_sgpr_dispatch_id 0
		.amdhsa_user_sgpr_flat_scratch_init 0
		.amdhsa_user_sgpr_kernarg_preload_length 0
		.amdhsa_user_sgpr_kernarg_preload_offset 0
		.amdhsa_user_sgpr_private_segment_size 0
		.amdhsa_uses_dynamic_stack 0
		.amdhsa_system_sgpr_private_segment_wavefront_offset 0
		.amdhsa_system_sgpr_workgroup_id_x 1
		.amdhsa_system_sgpr_workgroup_id_y 0
		.amdhsa_system_sgpr_workgroup_id_z 0
		.amdhsa_system_sgpr_workgroup_info 0
		.amdhsa_system_vgpr_workitem_id 0
		.amdhsa_next_free_vgpr 98
		.amdhsa_next_free_sgpr 24
		.amdhsa_accum_offset 100
		.amdhsa_reserve_vcc 1
		.amdhsa_reserve_flat_scratch 0
		.amdhsa_float_round_mode_32 0
		.amdhsa_float_round_mode_16_64 0
		.amdhsa_float_denorm_mode_32 3
		.amdhsa_float_denorm_mode_16_64 3
		.amdhsa_dx10_clamp 1
		.amdhsa_ieee_mode 1
		.amdhsa_fp16_overflow 0
		.amdhsa_tg_split 0
		.amdhsa_exception_fp_ieee_invalid_op 0
		.amdhsa_exception_fp_denorm_src 0
		.amdhsa_exception_fp_ieee_div_zero 0
		.amdhsa_exception_fp_ieee_overflow 0
		.amdhsa_exception_fp_ieee_underflow 0
		.amdhsa_exception_fp_ieee_inexact 0
		.amdhsa_exception_int_div_zero 0
	.end_amdhsa_kernel
	.section	.text._ZN9rocsparseL18bsrxmvn_4x4_kernelILj128ELj32EfliaafEEvT3_20rocsparse_direction_NS_24const_host_device_scalarIT1_EES1_PKS1_PKT2_SA_S7_PKT4_PKT5_S5_PT6_21rocsparse_index_base_b,"axG",@progbits,_ZN9rocsparseL18bsrxmvn_4x4_kernelILj128ELj32EfliaafEEvT3_20rocsparse_direction_NS_24const_host_device_scalarIT1_EES1_PKS1_PKT2_SA_S7_PKT4_PKT5_S5_PT6_21rocsparse_index_base_b,comdat
.Lfunc_end83:
	.size	_ZN9rocsparseL18bsrxmvn_4x4_kernelILj128ELj32EfliaafEEvT3_20rocsparse_direction_NS_24const_host_device_scalarIT1_EES1_PKS1_PKT2_SA_S7_PKT4_PKT5_S5_PT6_21rocsparse_index_base_b, .Lfunc_end83-_ZN9rocsparseL18bsrxmvn_4x4_kernelILj128ELj32EfliaafEEvT3_20rocsparse_direction_NS_24const_host_device_scalarIT1_EES1_PKS1_PKT2_SA_S7_PKT4_PKT5_S5_PT6_21rocsparse_index_base_b
                                        ; -- End function
	.section	.AMDGPU.csdata,"",@progbits
; Kernel info:
; codeLenInByte = 6748
; NumSgprs: 28
; NumVgprs: 98
; NumAgprs: 0
; TotalNumVgprs: 98
; ScratchSize: 0
; MemoryBound: 0
; FloatMode: 240
; IeeeMode: 1
; LDSByteSize: 0 bytes/workgroup (compile time only)
; SGPRBlocks: 3
; VGPRBlocks: 12
; NumSGPRsForWavesPerEU: 28
; NumVGPRsForWavesPerEU: 98
; AccumOffset: 100
; Occupancy: 4
; WaveLimiterHint : 1
; COMPUTE_PGM_RSRC2:SCRATCH_EN: 0
; COMPUTE_PGM_RSRC2:USER_SGPR: 6
; COMPUTE_PGM_RSRC2:TRAP_HANDLER: 0
; COMPUTE_PGM_RSRC2:TGID_X_EN: 1
; COMPUTE_PGM_RSRC2:TGID_Y_EN: 0
; COMPUTE_PGM_RSRC2:TGID_Z_EN: 0
; COMPUTE_PGM_RSRC2:TIDIG_COMP_CNT: 0
; COMPUTE_PGM_RSRC3_GFX90A:ACCUM_OFFSET: 24
; COMPUTE_PGM_RSRC3_GFX90A:TG_SPLIT: 0
	.section	.text._ZN9rocsparseL18bsrxmvn_4x4_kernelILj128ELj64EfliaafEEvT3_20rocsparse_direction_NS_24const_host_device_scalarIT1_EES1_PKS1_PKT2_SA_S7_PKT4_PKT5_S5_PT6_21rocsparse_index_base_b,"axG",@progbits,_ZN9rocsparseL18bsrxmvn_4x4_kernelILj128ELj64EfliaafEEvT3_20rocsparse_direction_NS_24const_host_device_scalarIT1_EES1_PKS1_PKT2_SA_S7_PKT4_PKT5_S5_PT6_21rocsparse_index_base_b,comdat
	.globl	_ZN9rocsparseL18bsrxmvn_4x4_kernelILj128ELj64EfliaafEEvT3_20rocsparse_direction_NS_24const_host_device_scalarIT1_EES1_PKS1_PKT2_SA_S7_PKT4_PKT5_S5_PT6_21rocsparse_index_base_b ; -- Begin function _ZN9rocsparseL18bsrxmvn_4x4_kernelILj128ELj64EfliaafEEvT3_20rocsparse_direction_NS_24const_host_device_scalarIT1_EES1_PKS1_PKT2_SA_S7_PKT4_PKT5_S5_PT6_21rocsparse_index_base_b
	.p2align	8
	.type	_ZN9rocsparseL18bsrxmvn_4x4_kernelILj128ELj64EfliaafEEvT3_20rocsparse_direction_NS_24const_host_device_scalarIT1_EES1_PKS1_PKT2_SA_S7_PKT4_PKT5_S5_PT6_21rocsparse_index_base_b,@function
_ZN9rocsparseL18bsrxmvn_4x4_kernelILj128ELj64EfliaafEEvT3_20rocsparse_direction_NS_24const_host_device_scalarIT1_EES1_PKS1_PKT2_SA_S7_PKT4_PKT5_S5_PT6_21rocsparse_index_base_b: ; @_ZN9rocsparseL18bsrxmvn_4x4_kernelILj128ELj64EfliaafEEvT3_20rocsparse_direction_NS_24const_host_device_scalarIT1_EES1_PKS1_PKT2_SA_S7_PKT4_PKT5_S5_PT6_21rocsparse_index_base_b
; %bb.0:
	s_load_dwordx2 s[20:21], s[4:5], 0x58
	s_load_dwordx2 s[16:17], s[4:5], 0x8
	s_load_dwordx2 s[18:19], s[4:5], 0x48
	s_waitcnt lgkmcnt(0)
	s_bitcmp1_b32 s21, 0
	s_cselect_b64 s[2:3], -1, 0
	s_xor_b64 s[0:1], s[2:3], -1
	s_and_b64 vcc, exec, s[2:3]
	s_cbranch_vccnz .LBB84_2
; %bb.1:
	s_load_dword s16, s[16:17], 0x0
.LBB84_2:
	s_andn2_b64 vcc, exec, s[0:1]
	s_cbranch_vccnz .LBB84_4
; %bb.3:
	s_load_dword s18, s[18:19], 0x0
.LBB84_4:
	s_waitcnt lgkmcnt(0)
	v_cmp_neq_f32_e64 s[0:1], s16, 0
	v_cmp_neq_f32_e64 s[2:3], s18, 1.0
	s_or_b64 s[0:1], s[0:1], s[2:3]
	s_andn2_b64 vcc, exec, s[0:1]
	s_cbranch_vccnz .LBB84_10
; %bb.5:
	s_load_dwordx2 s[8:9], s[4:5], 0x18
	s_load_dwordx2 s[0:1], s[4:5], 0x0
	v_lshrrev_b32_e32 v1, 6, v0
	v_lshl_or_b32 v16, s6, 1, v1
	s_mov_b64 s[2:3], 0
	s_waitcnt lgkmcnt(0)
	s_cmp_lg_u64 s[8:9], 0
	s_cbranch_scc0 .LBB84_11
; %bb.6:
	s_load_dword s6, s[4:5], 0x10
                                        ; implicit-def: $vgpr1
	s_waitcnt lgkmcnt(0)
	v_cmp_gt_i32_e32 vcc, s6, v16
	s_and_saveexec_b64 s[6:7], vcc
	s_xor_b64 s[6:7], exec, s[6:7]
	s_cbranch_execz .LBB84_8
; %bb.7:
	v_ashrrev_i32_e32 v17, 31, v16
	v_lshlrev_b64 v[2:3], 2, v[16:17]
	v_mov_b32_e32 v1, s9
	v_add_co_u32_e32 v2, vcc, s8, v2
	v_addc_co_u32_e32 v3, vcc, v1, v3, vcc
	global_load_dword v1, v[2:3], off
	s_mov_b64 s[2:3], exec
	s_waitcnt vmcnt(0)
	v_subrev_u32_e32 v1, s20, v1
.LBB84_8:
	s_or_b64 exec, exec, s[6:7]
	s_branch .LBB84_12
.LBB84_9:
	v_cmp_gt_i32_e32 vcc, s0, v16
	s_andn2_b64 s[2:3], s[2:3], exec
	s_and_b64 s[6:7], vcc, exec
	s_or_b64 s[2:3], s[2:3], s[6:7]
	s_and_saveexec_b64 s[6:7], s[2:3]
	s_cbranch_execnz .LBB84_13
.LBB84_10:
	s_endpgm
.LBB84_11:
                                        ; implicit-def: $vgpr1
	s_cbranch_execnz .LBB84_9
.LBB84_12:
	v_mov_b32_e32 v16, v1
	s_and_saveexec_b64 s[6:7], s[2:3]
	s_cbranch_execz .LBB84_10
.LBB84_13:
	s_load_dwordx8 s[8:15], s[4:5], 0x20
	v_ashrrev_i32_e32 v17, 31, v16
	v_lshlrev_b64 v[2:3], 3, v[16:17]
	v_and_b32_e32 v18, 63, v0
	s_mov_b32 s17, 0
	s_waitcnt lgkmcnt(0)
	v_mov_b32_e32 v1, s9
	v_add_co_u32_e32 v4, vcc, s8, v2
	v_addc_co_u32_e32 v5, vcc, v1, v3, vcc
	v_add_co_u32_e32 v1, vcc, 8, v4
	global_load_dwordx2 v[30:31], v[4:5], off
	v_addc_co_u32_e32 v4, vcc, 0, v5, vcc
	v_mov_b32_e32 v5, s11
	v_add_co_u32_e32 v2, vcc, s10, v2
	s_cmp_eq_u64 s[10:11], 0
	v_addc_co_u32_e32 v3, vcc, v5, v3, vcc
	s_cselect_b64 vcc, -1, 0
	v_cndmask_b32_e32 v3, v3, v4, vcc
	v_cndmask_b32_e32 v2, v2, v1, vcc
	global_load_dwordx2 v[2:3], v[2:3], off
	s_load_dwordx2 s[10:11], s[4:5], 0x40
	v_mov_b32_e32 v4, s15
	v_mov_b32_e32 v27, 0
	s_cmp_eq_u32 s1, 1
	s_waitcnt vmcnt(1)
	v_subrev_co_u32_e32 v0, vcc, s20, v30
	v_subbrev_co_u32_e32 v1, vcc, 0, v31, vcc
	v_add_co_u32_e32 v20, vcc, v0, v18
	v_addc_co_u32_e32 v21, vcc, 0, v1, vcc
	v_lshlrev_b64 v[0:1], 4, v[20:21]
	s_waitcnt vmcnt(0)
	v_subrev_co_u32_e32 v22, vcc, s20, v2
	v_subbrev_co_u32_e32 v23, vcc, 0, v3, vcc
	v_add_co_u32_e32 v24, vcc, s14, v0
	v_addc_co_u32_e32 v25, vcc, v4, v1, vcc
	v_cmp_lt_i64_e64 s[0:1], v[20:21], v[22:23]
	s_cbranch_scc1 .LBB84_25
; %bb.14:
	v_mov_b32_e32 v26, 0
	v_mov_b32_e32 v29, 0
	v_mov_b32_e32 v28, 0
	s_and_saveexec_b64 s[14:15], s[0:1]
	s_cbranch_execz .LBB84_24
; %bb.15:
	v_or_b32_e32 v0, 64, v18
	v_mov_b32_e32 v1, s17
	v_subrev_co_u32_e32 v0, vcc, s20, v0
	v_subb_co_u32_e32 v1, vcc, 0, v1, vcc
	v_add_co_u32_e32 v0, vcc, v0, v30
	v_addc_co_u32_e32 v1, vcc, v1, v31, vcc
	v_cmp_gt_i64_e32 vcc, v[0:1], v[22:23]
	v_cndmask_b32_e32 v1, v23, v1, vcc
	v_cndmask_b32_e32 v0, v22, v0, vcc
	v_mov_b32_e32 v4, s17
	v_sub_co_u32_e32 v5, vcc, s20, v18
	v_not_b32_e32 v3, v30
	v_subbrev_co_u32_e32 v4, vcc, 0, v4, vcc
	v_not_b32_e32 v2, v31
	v_add_co_u32_e32 v3, vcc, v5, v3
	v_addc_co_u32_e32 v2, vcc, v4, v2, vcc
	v_add_co_u32_e32 v0, vcc, v3, v0
	v_addc_co_u32_e32 v1, vcc, v2, v1, vcc
	v_lshrrev_b32_e32 v2, 6, v0
	v_add_u32_e32 v2, 1, v2
	v_and_b32_e32 v2, 3, v2
	v_mov_b32_e32 v28, 0
	v_cmp_ne_u32_e32 vcc, 0, v2
	v_mov_b32_e32 v29, v28
	v_mov_b32_e32 v26, v28
	;; [unrolled: 1-line block ×3, first 2 shown]
	v_pk_mov_b32 v[32:33], v[20:21], v[20:21] op_sel:[0,1]
	v_pk_mov_b32 v[34:35], v[24:25], v[24:25] op_sel:[0,1]
	s_and_saveexec_b64 s[6:7], vcc
	s_cbranch_execz .LBB84_19
; %bb.16:
	v_lshlrev_b64 v[4:5], 2, v[20:21]
	v_mov_b32_e32 v3, 0
	v_mov_b32_e32 v6, s13
	v_add_co_u32_e32 v4, vcc, s12, v4
	v_addc_co_u32_e32 v5, vcc, v6, v5, vcc
	v_lshlrev_b32_e32 v2, 2, v2
	s_mov_b64 s[8:9], 0
	s_waitcnt lgkmcnt(0)
	v_mov_b32_e32 v6, s11
	s_movk_i32 s19, 0x400
	v_pk_mov_b32 v[34:35], v[24:25], v[24:25] op_sel:[0,1]
	v_pk_mov_b32 v[32:33], v[20:21], v[20:21] op_sel:[0,1]
	v_mov_b32_e32 v27, v3
	v_mov_b32_e32 v26, v3
	;; [unrolled: 1-line block ×4, first 2 shown]
.LBB84_17:                              ; =>This Inner Loop Header: Depth=1
	global_load_dword v7, v[4:5], off
	global_load_dwordx4 v[8:11], v[34:35], off
	v_add_co_u32_e64 v32, s[2:3], 64, v32
	v_addc_co_u32_e64 v33, s[2:3], 0, v33, s[2:3]
	v_add_co_u32_e64 v2, s[2:3], -4, v2
	v_addc_co_u32_e64 v3, s[2:3], -1, v3, s[2:3]
	v_cmp_eq_u64_e64 s[2:3], 0, v[2:3]
	s_or_b64 s[8:9], s[2:3], s[8:9]
	s_waitcnt vmcnt(1)
	v_subrev_u32_e32 v7, s20, v7
	v_lshlrev_b32_e32 v7, 2, v7
	v_ashrrev_i32_e32 v13, 31, v7
	v_add_co_u32_e32 v12, vcc, s10, v7
	v_addc_co_u32_e32 v13, vcc, v6, v13, vcc
	global_load_dword v7, v[12:13], off
	s_waitcnt vmcnt(1)
	v_bfe_i32 v12, v8, 0, 8
	v_lshrrev_b32_e32 v13, 8, v8
	v_bfe_i32 v15, v9, 0, 8
	v_lshrrev_b32_e32 v17, 8, v9
	;; [unrolled: 2-line block ×4, first 2 shown]
	v_lshrrev_b32_e32 v14, 16, v8
	v_lshrrev_b32_e32 v19, 16, v9
	;; [unrolled: 1-line block ×4, first 2 shown]
	v_bfe_i32 v13, v13, 0, 8
	v_bfe_i32 v17, v17, 0, 8
	v_bfe_i32 v37, v37, 0, 8
	v_bfe_i32 v40, v40, 0, 8
	v_cvt_f32_i32_sdwa v42, sext(v12) dst_sel:DWORD dst_unused:UNUSED_PAD src0_sel:WORD_0
	v_cvt_f32_i32_sdwa v15, sext(v15) dst_sel:DWORD dst_unused:UNUSED_PAD src0_sel:WORD_0
	;; [unrolled: 1-line block ×4, first 2 shown]
	v_lshrrev_b32_e32 v8, 24, v8
	v_lshrrev_b32_e32 v9, 24, v9
	;; [unrolled: 1-line block ×4, first 2 shown]
	v_bfe_i32 v14, v14, 0, 8
	v_bfe_i32 v19, v19, 0, 8
	;; [unrolled: 1-line block ×4, first 2 shown]
	v_cvt_f32_i32_sdwa v13, sext(v13) dst_sel:DWORD dst_unused:UNUSED_PAD src0_sel:WORD_0
	v_cvt_f32_i32_sdwa v17, sext(v17) dst_sel:DWORD dst_unused:UNUSED_PAD src0_sel:WORD_0
	;; [unrolled: 1-line block ×4, first 2 shown]
	v_bfe_i32 v8, v8, 0, 8
	v_bfe_i32 v9, v9, 0, 8
	;; [unrolled: 1-line block ×4, first 2 shown]
	v_cvt_f32_i32_sdwa v14, sext(v14) dst_sel:DWORD dst_unused:UNUSED_PAD src0_sel:WORD_0
	v_cvt_f32_i32_sdwa v19, sext(v19) dst_sel:DWORD dst_unused:UNUSED_PAD src0_sel:WORD_0
	;; [unrolled: 1-line block ×8, first 2 shown]
	v_add_co_u32_e32 v34, vcc, s19, v34
	v_addc_co_u32_e32 v35, vcc, 0, v35, vcc
	v_add_co_u32_e32 v4, vcc, 0x100, v4
	v_addc_co_u32_e32 v5, vcc, 0, v5, vcc
	s_waitcnt vmcnt(0)
	v_bfe_i32 v43, v7, 0, 8
	v_lshrrev_b32_e32 v44, 8, v7
	v_lshrrev_b32_e32 v12, 16, v7
	v_bfe_i32 v44, v44, 0, 8
	v_cvt_f32_i32_sdwa v43, sext(v43) dst_sel:DWORD dst_unused:UNUSED_PAD src0_sel:WORD_0
	v_lshrrev_b32_e32 v7, 24, v7
	v_bfe_i32 v12, v12, 0, 8
	v_cvt_f32_i32_sdwa v44, sext(v44) dst_sel:DWORD dst_unused:UNUSED_PAD src0_sel:WORD_0
	v_bfe_i32 v7, v7, 0, 8
	v_cvt_f32_i32_sdwa v45, sext(v12) dst_sel:DWORD dst_unused:UNUSED_PAD src0_sel:WORD_0
	v_cvt_f32_i32_sdwa v12, sext(v7) dst_sel:DWORD dst_unused:UNUSED_PAD src0_sel:WORD_0
	v_fmac_f32_e32 v28, v42, v43
	v_fmac_f32_e32 v29, v15, v43
	;; [unrolled: 1-line block ×12, first 2 shown]
	v_pk_fma_f32 v[28:29], v[8:9], v[12:13], v[28:29] op_sel_hi:[1,0,1]
	v_pk_fma_f32 v[26:27], v[10:11], v[12:13], v[26:27] op_sel_hi:[1,0,1]
	s_andn2_b64 exec, exec, s[8:9]
	s_cbranch_execnz .LBB84_17
; %bb.18:
	s_or_b64 exec, exec, s[8:9]
.LBB84_19:
	s_or_b64 exec, exec, s[6:7]
	s_mov_b64 s[2:3], 0xbf
	v_cmp_lt_u64_e32 vcc, s[2:3], v[0:1]
	s_and_saveexec_b64 s[22:23], vcc
	s_cbranch_execz .LBB84_23
; %bb.20:
	v_lshlrev_b64 v[0:1], 2, v[32:33]
	v_mov_b32_e32 v2, s13
	v_add_co_u32_e32 v0, vcc, s12, v0
	v_addc_co_u32_e32 v1, vcc, v1, v2, vcc
	v_add_co_u32_e32 v36, vcc, 0x200, v0
	v_addc_co_u32_e32 v37, vcc, 0, v1, vcc
	s_mov_b64 s[24:25], 0
	s_waitcnt lgkmcnt(0)
	v_mov_b32_e32 v17, s11
	s_movk_i32 s19, 0x100
.LBB84_21:                              ; =>This Inner Loop Header: Depth=1
	global_load_dwordx4 v[0:3], v[34:35], off
	global_load_dwordx4 v[4:7], v[34:35], off offset:1024
	global_load_dwordx4 v[8:11], v[34:35], off offset:2048
	;; [unrolled: 1-line block ×3, first 2 shown]
	global_load_dword v19, v[36:37], off offset:-512
	global_load_dword v38, v[36:37], off offset:-256
	global_load_dword v39, v[36:37], off
	global_load_dword v40, v[36:37], off offset:256
	v_add_co_u32_e32 v32, vcc, s19, v32
	v_addc_co_u32_e32 v33, vcc, 0, v33, vcc
	v_add_co_u32_e32 v36, vcc, 0x400, v36
	v_addc_co_u32_e32 v37, vcc, 0, v37, vcc
	v_add_co_u32_e32 v34, vcc, 0x1000, v34
	v_cmp_ge_i64_e64 s[2:3], v[32:33], v[22:23]
	v_addc_co_u32_e32 v35, vcc, 0, v35, vcc
	s_or_b64 s[24:25], s[2:3], s[24:25]
	s_waitcnt vmcnt(7)
	v_bfe_i32 v41, v0, 0, 8
	v_lshrrev_b32_e32 v42, 8, v0
	v_lshrrev_b32_e32 v43, 16, v0
	;; [unrolled: 1-line block ×3, first 2 shown]
	v_bfe_i32 v44, v1, 0, 8
	v_bfe_i32 v47, v2, 0, 8
	v_lshrrev_b32_e32 v48, 8, v2
	v_lshrrev_b32_e32 v49, 16, v2
	;; [unrolled: 1-line block ×4, first 2 shown]
	s_waitcnt vmcnt(6)
	v_lshrrev_b32_e32 v54, 8, v4
	v_lshrrev_b32_e32 v57, 8, v5
	;; [unrolled: 1-line block ×3, first 2 shown]
	v_bfe_i32 v60, v6, 0, 8
	v_lshrrev_b32_e32 v61, 8, v6
	v_lshrrev_b32_e32 v62, 16, v6
	;; [unrolled: 1-line block ×3, first 2 shown]
	s_waitcnt vmcnt(5)
	v_bfe_i32 v68, v8, 0, 8
	v_lshrrev_b32_e32 v69, 8, v8
	v_lshrrev_b32_e32 v70, 16, v8
	;; [unrolled: 1-line block ×5, first 2 shown]
	s_waitcnt vmcnt(4)
	v_bfe_i32 v8, v12, 0, 8
	v_lshrrev_b32_e32 v84, 8, v13
	s_waitcnt vmcnt(3)
	v_subrev_u32_e32 v6, s20, v19
	v_lshrrev_b32_e32 v45, 8, v1
	v_lshrrev_b32_e32 v50, 24, v2
	v_bfe_i32 v2, v3, 0, 8
	v_lshrrev_b32_e32 v51, 8, v3
	v_lshrrev_b32_e32 v59, 24, v5
	v_bfe_i32 v64, v7, 0, 8
	v_lshrrev_b32_e32 v65, 8, v7
	v_lshrrev_b32_e32 v66, 16, v7
	;; [unrolled: 1-line block ×3, first 2 shown]
	v_bfe_i32 v75, v10, 0, 8
	v_lshrrev_b32_e32 v76, 8, v10
	v_lshrrev_b32_e32 v77, 16, v10
	v_bfe_i32 v10, v11, 0, 8
	v_lshrrev_b32_e32 v79, 8, v11
	v_lshrrev_b32_e32 v80, 16, v11
	;; [unrolled: 1-line block ×3, first 2 shown]
	v_bfe_i32 v86, v14, 0, 8
	v_bfe_i32 v89, v15, 0, 8
	v_lshrrev_b32_e32 v90, 8, v15
	v_lshrrev_b32_e32 v91, 16, v15
	v_lshrrev_b32_e32 v15, 24, v15
	s_waitcnt vmcnt(2)
	v_subrev_u32_e32 v7, s20, v38
	s_waitcnt vmcnt(1)
	v_subrev_u32_e32 v11, s20, v39
	;; [unrolled: 2-line block ×3, first 2 shown]
	v_lshlrev_b32_e32 v39, 2, v6
	v_cvt_f32_i32_sdwa v93, sext(v44) dst_sel:DWORD dst_unused:UNUSED_PAD src0_sel:WORD_0
	v_cvt_f32_i32_sdwa v94, sext(v47) dst_sel:DWORD dst_unused:UNUSED_PAD src0_sel:WORD_0
	v_bfe_i32 v44, v48, 0, 8
	v_bfe_i32 v47, v49, 0, 8
	;; [unrolled: 1-line block ×4, first 2 shown]
	v_cvt_f32_i32_sdwa v0, sext(v8) dst_sel:DWORD dst_unused:UNUSED_PAD src0_sel:WORD_0
	v_cvt_f32_i32_sdwa v8, sext(v60) dst_sel:DWORD dst_unused:UNUSED_PAD src0_sel:WORD_0
	v_bfe_i32 v52, v53, 0, 8
	v_bfe_i32 v53, v54, 0, 8
	;; [unrolled: 1-line block ×7, first 2 shown]
	v_lshrrev_b32_e32 v46, 16, v1
	v_lshrrev_b32_e32 v1, 24, v1
	v_bfe_i32 v3, v4, 0, 8
	v_lshrrev_b32_e32 v55, 16, v4
	v_lshrrev_b32_e32 v56, 24, v4
	v_bfe_i32 v4, v5, 0, 8
	v_bfe_i32 v5, v9, 0, 8
	v_lshrrev_b32_e32 v73, 16, v9
	v_lshrrev_b32_e32 v74, 24, v9
	;; [unrolled: 1-line block ×5, first 2 shown]
	v_bfe_i32 v9, v13, 0, 8
	v_lshrrev_b32_e32 v85, 16, v13
	v_lshrrev_b32_e32 v13, 24, v13
	v_lshrrev_b32_e32 v87, 8, v14
	v_lshrrev_b32_e32 v88, 16, v14
	v_lshrrev_b32_e32 v14, 24, v14
	v_lshlrev_b32_e32 v38, 2, v7
	v_lshlrev_b32_e32 v40, 2, v11
	;; [unrolled: 1-line block ×3, first 2 shown]
	v_cvt_f32_i32_sdwa v92, sext(v41) dst_sel:DWORD dst_unused:UNUSED_PAD src0_sel:WORD_0
	v_cvt_f32_i32_sdwa v95, sext(v2) dst_sel:DWORD dst_unused:UNUSED_PAD src0_sel:WORD_0
	v_bfe_i32 v41, v42, 0, 8
	v_bfe_i32 v42, v45, 0, 8
	;; [unrolled: 1-line block ×3, first 2 shown]
	v_cvt_f32_i32_sdwa v2, sext(v86) dst_sel:DWORD dst_unused:UNUSED_PAD src0_sel:WORD_0
	v_bfe_i32 v58, v59, 0, 8
	v_bfe_i32 v59, v69, 0, 8
	;; [unrolled: 1-line block ×6, first 2 shown]
	v_ashrrev_i32_e32 v15, 31, v39
	v_cvt_f32_i32_sdwa v103, sext(v47) dst_sel:DWORD dst_unused:UNUSED_PAD src0_sel:WORD_0
	v_cvt_f32_i32_sdwa v47, sext(v57) dst_sel:DWORD dst_unused:UNUSED_PAD src0_sel:WORD_0
	;; [unrolled: 1-line block ×4, first 2 shown]
	v_add_co_u32_e64 v78, s[8:9], s10, v39
	v_bfe_i32 v43, v43, 0, 8
	v_bfe_i32 v51, v1, 0, 8
	v_cvt_f32_i32_sdwa v7, sext(v4) dst_sel:DWORD dst_unused:UNUSED_PAD src0_sel:WORD_0
	v_cvt_f32_i32_sdwa v6, sext(v3) dst_sel:DWORD dst_unused:UNUSED_PAD src0_sel:WORD_0
	;; [unrolled: 1-line block ×8, first 2 shown]
	v_bfe_i32 v56, v56, 0, 8
	v_bfe_i32 v64, v70, 0, 8
	v_bfe_i32 v68, v73, 0, 8
	v_bfe_i32 v70, v74, 0, 8
	v_bfe_i32 v71, v82, 0, 8
	v_bfe_i32 v73, v83, 0, 8
	v_bfe_i32 v74, v85, 0, 8
	v_bfe_i32 v75, v12, 0, 8
	v_bfe_i32 v13, v13, 0, 8
	v_bfe_i32 v82, v61, 0, 8
	v_bfe_i32 v83, v62, 0, 8
	v_bfe_i32 v80, v80, 0, 8
	v_bfe_i32 v81, v81, 0, 8
	v_bfe_i32 v85, v87, 0, 8
	v_bfe_i32 v87, v88, 0, 8
	v_bfe_i32 v88, v91, 0, 8
	v_bfe_i32 v89, v14, 0, 8
	v_ashrrev_i32_e32 v91, 31, v38
	v_add_co_u32_e32 v12, vcc, s10, v38
	v_ashrrev_i32_e32 v96, 31, v40
	v_add_co_u32_e64 v14, s[2:3], s10, v40
	v_ashrrev_i32_e32 v97, 31, v19
	v_add_co_u32_e64 v38, s[6:7], s10, v19
	v_cvt_f32_i32_sdwa v100, sext(v45) dst_sel:DWORD dst_unused:UNUSED_PAD src0_sel:WORD_0
	v_cvt_f32_i32_sdwa v45, sext(v54) dst_sel:DWORD dst_unused:UNUSED_PAD src0_sel:WORD_0
	;; [unrolled: 1-line block ×4, first 2 shown]
	v_addc_co_u32_e64 v79, s[8:9], v17, v15, s[8:9]
	v_cvt_f32_i32_sdwa v101, sext(v43) dst_sel:DWORD dst_unused:UNUSED_PAD src0_sel:WORD_0
	v_cvt_f32_i32_sdwa v104, sext(v48) dst_sel:DWORD dst_unused:UNUSED_PAD src0_sel:WORD_0
	;; [unrolled: 1-line block ×14, first 2 shown]
	v_addc_co_u32_e32 v13, vcc, v17, v91, vcc
	v_addc_co_u32_e64 v15, vcc, v17, v96, s[2:3]
	v_addc_co_u32_e64 v39, vcc, v17, v97, s[6:7]
	global_load_dword v80, v[78:79], off
	global_load_dword v81, v[12:13], off
	;; [unrolled: 1-line block ×4, first 2 shown]
	v_cvt_f32_i32_sdwa v12, sext(v89) dst_sel:DWORD dst_unused:UNUSED_PAD src0_sel:WORD_0
	v_bfe_i32 v46, v46, 0, 8
	v_cvt_f32_i32_sdwa v19, sext(v41) dst_sel:DWORD dst_unused:UNUSED_PAD src0_sel:WORD_0
	v_cvt_f32_i32_sdwa v98, sext(v42) dst_sel:DWORD dst_unused:UNUSED_PAD src0_sel:WORD_0
	;; [unrolled: 1-line block ×3, first 2 shown]
	v_bfe_i32 v50, v50, 0, 8
	v_cvt_f32_i32_sdwa v102, sext(v46) dst_sel:DWORD dst_unused:UNUSED_PAD src0_sel:WORD_0
	v_bfe_i32 v65, v65, 0, 8
	v_bfe_i32 v66, v66, 0, 8
	;; [unrolled: 1-line block ×3, first 2 shown]
	v_cvt_f32_i32_sdwa v41, sext(v51) dst_sel:DWORD dst_unused:UNUSED_PAD src0_sel:WORD_0
	v_cvt_f32_i32_sdwa v42, sext(v50) dst_sel:DWORD dst_unused:UNUSED_PAD src0_sel:WORD_0
	;; [unrolled: 1-line block ×11, first 2 shown]
	v_bfe_i32 v55, v55, 0, 8
	v_cvt_f32_i32_sdwa v44, sext(v53) dst_sel:DWORD dst_unused:UNUSED_PAD src0_sel:WORD_0
	v_bfe_i32 v67, v67, 0, 8
	v_bfe_i32 v76, v76, 0, 8
	;; [unrolled: 1-line block ×3, first 2 shown]
	v_cvt_f32_i32_sdwa v46, sext(v55) dst_sel:DWORD dst_unused:UNUSED_PAD src0_sel:WORD_0
	v_cvt_f32_i32_sdwa v53, sext(v68) dst_sel:DWORD dst_unused:UNUSED_PAD src0_sel:WORD_0
	;; [unrolled: 1-line block ×10, first 2 shown]
	s_waitcnt vmcnt(3)
	v_bfe_i32 v14, v80, 0, 8
	v_cvt_f32_i32_sdwa v89, sext(v14) dst_sel:DWORD dst_unused:UNUSED_PAD src0_sel:WORD_0
	v_lshrrev_b32_e32 v15, 8, v80
	v_lshrrev_b32_e32 v38, 16, v80
	v_bfe_i32 v15, v15, 0, 8
	v_lshrrev_b32_e32 v39, 24, v80
	v_bfe_i32 v91, v38, 0, 8
	v_cvt_f32_i32_sdwa v15, sext(v15) dst_sel:DWORD dst_unused:UNUSED_PAD src0_sel:WORD_0
	s_waitcnt vmcnt(2)
	v_bfe_i32 v79, v81, 0, 8
	v_lshrrev_b32_e32 v80, 8, v81
	v_fmac_f32_e32 v28, v92, v89
	v_bfe_i32 v39, v39, 0, 8
	v_fmac_f32_e32 v29, v93, v89
	v_fmac_f32_e32 v26, v94, v89
	;; [unrolled: 1-line block ×3, first 2 shown]
	v_cvt_f32_i32_sdwa v89, sext(v91) dst_sel:DWORD dst_unused:UNUSED_PAD src0_sel:WORD_0
	v_cvt_f32_i32_sdwa v14, sext(v79) dst_sel:DWORD dst_unused:UNUSED_PAD src0_sel:WORD_0
	v_bfe_i32 v79, v80, 0, 8
	v_cvt_f32_i32_sdwa v80, sext(v39) dst_sel:DWORD dst_unused:UNUSED_PAD src0_sel:WORD_0
	v_lshrrev_b32_e32 v78, 16, v81
	s_waitcnt vmcnt(1)
	v_lshrrev_b32_e32 v84, 16, v82
	v_bfe_i32 v85, v82, 0, 8
	v_lshrrev_b32_e32 v86, 8, v82
	v_lshrrev_b32_e32 v82, 24, v82
	;; [unrolled: 1-line block ×3, first 2 shown]
	v_bfe_i32 v92, v78, 0, 8
	v_bfe_i32 v97, v82, 0, 8
	v_fmac_f32_e32 v28, v19, v15
	v_cvt_f32_i32_sdwa v82, sext(v79) dst_sel:DWORD dst_unused:UNUSED_PAD src0_sel:WORD_0
	v_fmac_f32_e32 v29, v98, v15
	v_fmac_f32_e32 v26, v99, v15
	v_fmac_f32_e32 v27, v100, v15
	v_bfe_i32 v81, v81, 0, 8
	v_bfe_i32 v96, v84, 0, 8
	v_cvt_f32_i32_sdwa v84, sext(v92) dst_sel:DWORD dst_unused:UNUSED_PAD src0_sel:WORD_0
	v_fmac_f32_e32 v28, v101, v89
	v_fmac_f32_e32 v29, v102, v89
	;; [unrolled: 1-line block ×4, first 2 shown]
	s_waitcnt vmcnt(0)
	v_lshrrev_b32_e32 v87, 16, v83
	v_bfe_i32 v88, v83, 0, 8
	v_lshrrev_b32_e32 v90, 8, v83
	v_lshrrev_b32_e32 v83, 24, v83
	v_bfe_i32 v93, v86, 0, 8
	v_cvt_f32_i32_sdwa v86, sext(v81) dst_sel:DWORD dst_unused:UNUSED_PAD src0_sel:WORD_0
	v_pk_fma_f32 v[28:29], v[40:41], v[80:81], v[28:29] op_sel_hi:[1,0,1]
	v_pk_fma_f32 v[26:27], v[42:43], v[80:81], v[26:27] op_sel_hi:[1,0,1]
	v_cvt_f32_i32_sdwa v38, sext(v85) dst_sel:DWORD dst_unused:UNUSED_PAD src0_sel:WORD_0
	v_bfe_i32 v83, v83, 0, 8
	v_pk_fma_f32 v[6:7], v[6:7], v[14:15], v[28:29] op_sel_hi:[1,0,1]
	v_pk_fma_f32 v[8:9], v[8:9], v[14:15], v[26:27] op_sel_hi:[1,0,1]
	v_bfe_i32 v85, v90, 0, 8
	v_cvt_f32_i32_sdwa v78, sext(v88) dst_sel:DWORD dst_unused:UNUSED_PAD src0_sel:WORD_0
	v_cvt_f32_i32_sdwa v88, sext(v93) dst_sel:DWORD dst_unused:UNUSED_PAD src0_sel:WORD_0
	v_pk_fma_f32 v[6:7], v[44:45], v[82:83], v[6:7] op_sel_hi:[1,0,1]
	v_pk_fma_f32 v[8:9], v[62:63], v[82:83], v[8:9] op_sel_hi:[1,0,1]
	v_bfe_i32 v87, v87, 0, 8
	v_cvt_f32_i32_sdwa v90, sext(v96) dst_sel:DWORD dst_unused:UNUSED_PAD src0_sel:WORD_0
	v_pk_fma_f32 v[6:7], v[46:47], v[84:85], v[6:7] op_sel_hi:[1,0,1]
	v_pk_fma_f32 v[8:9], v[64:65], v[84:85], v[8:9] op_sel_hi:[1,0,1]
	v_cvt_f32_i32_sdwa v92, sext(v97) dst_sel:DWORD dst_unused:UNUSED_PAD src0_sel:WORD_0
	v_pk_fma_f32 v[6:7], v[48:49], v[86:87], v[6:7] op_sel_hi:[1,0,1]
	v_pk_fma_f32 v[8:9], v[66:67], v[86:87], v[8:9] op_sel_hi:[1,0,1]
	;; [unrolled: 1-line block ×4, first 2 shown]
	v_cvt_f32_i32_sdwa v94, sext(v85) dst_sel:DWORD dst_unused:UNUSED_PAD src0_sel:WORD_0
	v_pk_fma_f32 v[4:5], v[50:51], v[88:89], v[4:5] op_sel_hi:[1,0,1]
	v_pk_fma_f32 v[6:7], v[68:69], v[88:89], v[6:7] op_sel_hi:[1,0,1]
	v_cvt_f32_i32_sdwa v96, sext(v87) dst_sel:DWORD dst_unused:UNUSED_PAD src0_sel:WORD_0
	v_pk_fma_f32 v[4:5], v[52:53], v[90:91], v[4:5] op_sel_hi:[1,0,1]
	v_pk_fma_f32 v[6:7], v[70:71], v[90:91], v[6:7] op_sel_hi:[1,0,1]
	;; [unrolled: 3-line block ×3, first 2 shown]
	v_pk_fma_f32 v[0:1], v[0:1], v[78:79], v[4:5] op_sel_hi:[1,0,1]
	v_pk_fma_f32 v[2:3], v[2:3], v[78:79], v[6:7] op_sel_hi:[1,0,1]
	;; [unrolled: 1-line block ×8, first 2 shown]
	s_andn2_b64 exec, exec, s[24:25]
	s_cbranch_execnz .LBB84_21
; %bb.22:
	s_or_b64 exec, exec, s[24:25]
.LBB84_23:
	s_or_b64 exec, exec, s[22:23]
.LBB84_24:
	s_or_b64 exec, exec, s[14:15]
	s_cbranch_execz .LBB84_26
	s_branch .LBB84_37
.LBB84_25:
                                        ; implicit-def: $vgpr27
                                        ; implicit-def: $vgpr29
.LBB84_26:
	s_mov_b32 s2, 0
	v_mov_b32_e32 v27, 0
	v_mov_b32_e32 v26, 0
	;; [unrolled: 1-line block ×4, first 2 shown]
	s_and_saveexec_b64 s[8:9], s[0:1]
	s_cbranch_execz .LBB84_36
; %bb.27:
	v_or_b32_e32 v0, 64, v18
	v_mov_b32_e32 v1, s17
	v_subrev_co_u32_e32 v0, vcc, s20, v0
	v_subb_co_u32_e32 v1, vcc, 0, v1, vcc
	v_add_co_u32_e32 v0, vcc, v0, v30
	v_addc_co_u32_e32 v1, vcc, v1, v31, vcc
	v_cmp_gt_i64_e32 vcc, v[0:1], v[22:23]
	v_cndmask_b32_e32 v1, v23, v1, vcc
	v_cndmask_b32_e32 v0, v22, v0, vcc
	v_mov_b32_e32 v4, s17
	v_sub_co_u32_e32 v5, vcc, s20, v18
	v_not_b32_e32 v3, v30
	v_subbrev_co_u32_e32 v4, vcc, 0, v4, vcc
	v_not_b32_e32 v2, v31
	v_add_co_u32_e32 v3, vcc, v5, v3
	v_addc_co_u32_e32 v2, vcc, v4, v2, vcc
	v_add_co_u32_e32 v0, vcc, v3, v0
	v_addc_co_u32_e32 v1, vcc, v2, v1, vcc
	v_lshrrev_b32_e32 v2, 6, v0
	v_add_u32_e32 v2, 1, v2
	v_and_b32_e32 v2, 3, v2
	s_mov_b32 s3, s2
	v_cmp_ne_u32_e32 vcc, 0, v2
	v_pk_mov_b32 v[28:29], s[2:3], s[2:3] op_sel:[0,1]
	v_pk_mov_b32 v[26:27], s[2:3], s[2:3] op_sel:[0,1]
	s_and_saveexec_b64 s[2:3], vcc
	s_cbranch_execz .LBB84_31
; %bb.28:
	v_lshlrev_b64 v[4:5], 2, v[20:21]
	v_mov_b32_e32 v3, 0
	v_mov_b32_e32 v6, s13
	v_add_co_u32_e32 v4, vcc, s12, v4
	v_addc_co_u32_e32 v5, vcc, v6, v5, vcc
	v_lshlrev_b32_e32 v2, 2, v2
	s_mov_b64 s[6:7], 0
	s_waitcnt lgkmcnt(0)
	v_mov_b32_e32 v6, s11
	s_movk_i32 s14, 0x400
	v_mov_b32_e32 v26, v3
	v_mov_b32_e32 v27, v3
	;; [unrolled: 1-line block ×4, first 2 shown]
.LBB84_29:                              ; =>This Inner Loop Header: Depth=1
	global_load_dword v7, v[4:5], off
	global_load_dwordx4 v[8:11], v[24:25], off
	v_add_co_u32_e64 v20, s[0:1], 64, v20
	v_addc_co_u32_e64 v21, s[0:1], 0, v21, s[0:1]
	v_add_co_u32_e64 v2, s[0:1], -4, v2
	v_addc_co_u32_e64 v3, s[0:1], -1, v3, s[0:1]
	v_cmp_eq_u64_e64 s[0:1], 0, v[2:3]
	s_or_b64 s[6:7], s[0:1], s[6:7]
	s_waitcnt vmcnt(1)
	v_subrev_u32_e32 v7, s20, v7
	v_lshlrev_b32_e32 v7, 2, v7
	v_ashrrev_i32_e32 v13, 31, v7
	v_add_co_u32_e32 v12, vcc, s10, v7
	v_addc_co_u32_e32 v13, vcc, v6, v13, vcc
	global_load_dword v7, v[12:13], off
	s_waitcnt vmcnt(1)
	v_lshrrev_b32_e32 v12, 8, v8
	v_bfe_i32 v13, v8, 0, 8
	v_lshrrev_b32_e32 v14, 16, v8
	v_lshrrev_b32_e32 v8, 24, v8
	;; [unrolled: 1-line block ×4, first 2 shown]
	v_bfe_i32 v17, v9, 0, 8
	v_lshrrev_b32_e32 v9, 24, v9
	v_lshrrev_b32_e32 v30, 8, v10
	v_bfe_i32 v31, v10, 0, 8
	v_lshrrev_b32_e32 v32, 16, v10
	v_bfe_i32 v38, v8, 0, 8
	v_bfe_i32 v19, v19, 0, 8
	v_lshrrev_b32_e32 v10, 24, v10
	v_bfe_i32 v33, v11, 0, 8
	v_bfe_i32 v36, v12, 0, 8
	;; [unrolled: 1-line block ×6, first 2 shown]
	v_cvt_f32_i32_sdwa v12, sext(v31) dst_sel:DWORD dst_unused:UNUSED_PAD src0_sel:WORD_0
	v_cvt_f32_i32_sdwa v31, sext(v38) dst_sel:DWORD dst_unused:UNUSED_PAD src0_sel:WORD_0
	;; [unrolled: 1-line block ×3, first 2 shown]
	v_lshrrev_b32_e32 v34, 8, v11
	v_lshrrev_b32_e32 v35, 16, v11
	;; [unrolled: 1-line block ×3, first 2 shown]
	v_bfe_i32 v15, v15, 0, 8
	v_bfe_i32 v41, v10, 0, 8
	v_cvt_f32_i32_sdwa v8, sext(v13) dst_sel:DWORD dst_unused:UNUSED_PAD src0_sel:WORD_0
	v_cvt_f32_i32_sdwa v10, sext(v17) dst_sel:DWORD dst_unused:UNUSED_PAD src0_sel:WORD_0
	;; [unrolled: 1-line block ×7, first 2 shown]
	v_bfe_i32 v42, v34, 0, 8
	v_bfe_i32 v44, v11, 0, 8
	v_cvt_f32_i32_sdwa v11, sext(v15) dst_sel:DWORD dst_unused:UNUSED_PAD src0_sel:WORD_0
	v_cvt_f32_i32_sdwa v34, sext(v40) dst_sel:DWORD dst_unused:UNUSED_PAD src0_sel:WORD_0
	v_bfe_i32 v43, v35, 0, 8
	v_cvt_f32_i32_sdwa v35, sext(v41) dst_sel:DWORD dst_unused:UNUSED_PAD src0_sel:WORD_0
	v_cvt_f32_i32_sdwa v15, sext(v42) dst_sel:DWORD dst_unused:UNUSED_PAD src0_sel:WORD_0
	;; [unrolled: 1-line block ×4, first 2 shown]
	v_add_co_u32_e32 v24, vcc, s14, v24
	v_addc_co_u32_e32 v25, vcc, 0, v25, vcc
	v_add_co_u32_e32 v4, vcc, 0x100, v4
	v_addc_co_u32_e32 v5, vcc, 0, v5, vcc
	s_waitcnt vmcnt(0)
	v_bfe_i32 v19, v7, 0, 8
	v_lshrrev_b32_e32 v38, 8, v7
	v_lshrrev_b32_e32 v17, 16, v7
	v_bfe_i32 v39, v38, 0, 8
	v_cvt_f32_i32_sdwa v38, sext(v19) dst_sel:DWORD dst_unused:UNUSED_PAD src0_sel:WORD_0
	v_lshrrev_b32_e32 v7, 24, v7
	v_bfe_i32 v17, v17, 0, 8
	v_cvt_f32_i32_sdwa v40, sext(v39) dst_sel:DWORD dst_unused:UNUSED_PAD src0_sel:WORD_0
	v_bfe_i32 v7, v7, 0, 8
	v_cvt_f32_i32_sdwa v42, sext(v17) dst_sel:DWORD dst_unused:UNUSED_PAD src0_sel:WORD_0
	v_cvt_f32_i32_sdwa v44, sext(v7) dst_sel:DWORD dst_unused:UNUSED_PAD src0_sel:WORD_0
	v_pk_fma_f32 v[8:9], v[8:9], v[38:39], v[28:29] op_sel_hi:[1,0,1]
	v_pk_fma_f32 v[26:27], v[30:31], v[38:39], v[26:27] op_sel_hi:[1,0,1]
	;; [unrolled: 1-line block ×8, first 2 shown]
	s_andn2_b64 exec, exec, s[6:7]
	s_cbranch_execnz .LBB84_29
; %bb.30:
	s_or_b64 exec, exec, s[6:7]
.LBB84_31:
	s_or_b64 exec, exec, s[2:3]
	s_mov_b64 s[0:1], 0xbf
	v_cmp_lt_u64_e32 vcc, s[0:1], v[0:1]
	s_and_saveexec_b64 s[14:15], vcc
	s_cbranch_execz .LBB84_35
; %bb.32:
	v_lshlrev_b64 v[0:1], 2, v[20:21]
	v_mov_b32_e32 v2, s13
	v_add_co_u32_e32 v0, vcc, s12, v0
	v_addc_co_u32_e32 v1, vcc, v1, v2, vcc
	v_add_co_u32_e32 v30, vcc, 0x200, v0
	v_addc_co_u32_e32 v31, vcc, 0, v1, vcc
	s_mov_b64 s[12:13], 0
	s_waitcnt lgkmcnt(0)
	v_mov_b32_e32 v17, s11
	s_movk_i32 s11, 0x1000
.LBB84_33:                              ; =>This Inner Loop Header: Depth=1
	global_load_dword v19, v[30:31], off offset:-512
	global_load_dwordx4 v[0:3], v[24:25], off
	global_load_dword v32, v[30:31], off offset:-256
	global_load_dwordx4 v[4:7], v[24:25], off offset:1024
	global_load_dword v33, v[30:31], off
	global_load_dword v34, v[30:31], off offset:256
	global_load_dwordx4 v[8:11], v[24:25], off offset:2048
	global_load_dwordx4 v[12:15], v[24:25], off offset:3072
	v_add_co_u32_e32 v24, vcc, s11, v24
	v_addc_co_u32_e32 v25, vcc, 0, v25, vcc
	v_add_co_u32_e32 v20, vcc, 0x100, v20
	v_addc_co_u32_e32 v21, vcc, 0, v21, vcc
	;; [unrolled: 2-line block ×3, first 2 shown]
	v_cmp_ge_i64_e32 vcc, v[20:21], v[22:23]
	s_or_b64 s[12:13], vcc, s[12:13]
	s_waitcnt vmcnt(7)
	v_subrev_u32_e32 v19, s20, v19
	s_waitcnt vmcnt(6)
	v_bfe_i32 v46, v3, 0, 8
	v_lshrrev_b32_e32 v47, 8, v3
	v_lshrrev_b32_e32 v48, 16, v3
	;; [unrolled: 1-line block ×4, first 2 shown]
	v_bfe_i32 v40, v1, 0, 8
	v_lshrrev_b32_e32 v41, 16, v1
	v_lshrrev_b32_e32 v42, 8, v2
	v_bfe_i32 v43, v2, 0, 8
	v_lshrrev_b32_e32 v44, 16, v2
	v_lshrrev_b32_e32 v45, 24, v2
	s_waitcnt vmcnt(5)
	v_subrev_u32_e32 v2, s20, v32
	s_waitcnt vmcnt(4)
	v_lshrrev_b32_e32 v32, 8, v5
	v_bfe_i32 v49, v5, 0, 8
	v_lshrrev_b32_e32 v50, 16, v5
	v_lshrrev_b32_e32 v51, 24, v5
	;; [unrolled: 1-line block ×3, first 2 shown]
	v_bfe_i32 v52, v6, 0, 8
	v_lshrrev_b32_e32 v53, 16, v6
	v_lshrrev_b32_e32 v54, 24, v6
	s_waitcnt vmcnt(3)
	v_subrev_u32_e32 v6, s20, v33
	s_waitcnt vmcnt(2)
	v_subrev_u32_e32 v33, s20, v34
	s_waitcnt vmcnt(1)
	v_lshrrev_b32_e32 v34, 8, v8
	v_bfe_i32 v58, v8, 0, 8
	v_lshrrev_b32_e32 v59, 16, v8
	v_lshrrev_b32_e32 v60, 24, v8
	;; [unrolled: 1-line block ×3, first 2 shown]
	v_bfe_i32 v62, v9, 0, 8
	v_lshrrev_b32_e32 v68, 8, v11
	v_bfe_i32 v69, v11, 0, 8
	v_lshrrev_b32_e32 v8, 8, v4
	s_waitcnt vmcnt(0)
	v_lshrrev_b32_e32 v71, 8, v12
	v_bfe_i32 v72, v12, 0, 8
	v_lshrrev_b32_e32 v73, 16, v12
	v_lshrrev_b32_e32 v74, 24, v12
	;; [unrolled: 1-line block ×5, first 2 shown]
	v_lshlrev_b32_e32 v19, 2, v19
	v_bfe_i32 v94, v48, 0, 8
	v_bfe_i32 v95, v3, 0, 8
	;; [unrolled: 1-line block ×3, first 2 shown]
	v_lshrrev_b32_e32 v37, 16, v0
	v_lshrrev_b32_e32 v38, 24, v0
	;; [unrolled: 1-line block ×5, first 2 shown]
	v_bfe_i32 v56, v7, 0, 8
	v_lshrrev_b32_e32 v57, 16, v7
	v_lshrrev_b32_e32 v7, 24, v7
	;; [unrolled: 1-line block ×5, first 2 shown]
	v_bfe_i32 v65, v10, 0, 8
	v_lshrrev_b32_e32 v66, 16, v10
	v_lshrrev_b32_e32 v67, 24, v10
	;; [unrolled: 1-line block ×4, first 2 shown]
	v_bfe_i32 v10, v4, 0, 8
	v_lshrrev_b32_e32 v75, 8, v13
	v_bfe_i32 v77, v13, 0, 8
	v_bfe_i32 v35, v35, 0, 8
	v_lshlrev_b32_e32 v86, 2, v2
	v_lshlrev_b32_e32 v87, 2, v6
	v_lshlrev_b32_e32 v88, 2, v33
	v_cvt_f32_i32_sdwa v2, sext(v40) dst_sel:DWORD dst_unused:UNUSED_PAD src0_sel:WORD_0
	v_bfe_i32 v41, v41, 0, 8
	v_bfe_i32 v92, v44, 0, 8
	v_bfe_i32 v96, v8, 0, 8
	v_bfe_i32 v97, v12, 0, 8
	v_bfe_i32 v98, v32, 0, 8
	v_bfe_i32 v100, v34, 0, 8
	v_cvt_f32_i32_sdwa v32, sext(v58) dst_sel:DWORD dst_unused:UNUSED_PAD src0_sel:WORD_0
	v_bfe_i32 v58, v61, 0, 8
	v_cvt_f32_i32_sdwa v34, sext(v62) dst_sel:DWORD dst_unused:UNUSED_PAD src0_sel:WORD_0
	v_bfe_i32 v62, v68, 0, 8
	v_cvt_f32_i32_sdwa v40, sext(v69) dst_sel:DWORD dst_unused:UNUSED_PAD src0_sel:WORD_0
	v_bfe_i32 v68, v50, 0, 8
	v_bfe_i32 v69, v51, 0, 8
	v_cvt_f32_i32_sdwa v50, sext(v94) dst_sel:DWORD dst_unused:UNUSED_PAD src0_sel:WORD_0
	v_cvt_f32_i32_sdwa v51, sext(v95) dst_sel:DWORD dst_unused:UNUSED_PAD src0_sel:WORD_0
	v_bfe_i32 v94, v82, 0, 8
	v_bfe_i32 v95, v83, 0, 8
	v_ashrrev_i32_e32 v83, 31, v19
	v_add_co_u32_e64 v82, s[6:7], s10, v19
	v_lshrrev_b32_e32 v78, 16, v13
	v_lshrrev_b32_e32 v13, 24, v13
	v_cvt_f32_i32_sdwa v0, sext(v36) dst_sel:DWORD dst_unused:UNUSED_PAD src0_sel:WORD_0
	v_bfe_i32 v33, v37, 0, 8
	v_bfe_i32 v37, v38, 0, 8
	;; [unrolled: 1-line block ×4, first 2 shown]
	v_cvt_f32_i32_sdwa v6, sext(v46) dst_sel:DWORD dst_unused:UNUSED_PAD src0_sel:WORD_0
	v_cvt_f32_i32_sdwa v8, sext(v10) dst_sel:DWORD dst_unused:UNUSED_PAD src0_sel:WORD_0
	;; [unrolled: 1-line block ×3, first 2 shown]
	v_bfe_i32 v49, v5, 0, 8
	v_bfe_i32 v61, v64, 0, 8
	v_cvt_f32_i32_sdwa v36, sext(v65) dst_sel:DWORD dst_unused:UNUSED_PAD src0_sel:WORD_0
	v_cvt_f32_i32_sdwa v1, sext(v35) dst_sel:DWORD dst_unused:UNUSED_PAD src0_sel:WORD_0
	v_bfe_i32 v64, v71, 0, 8
	v_cvt_f32_i32_sdwa v42, sext(v41) dst_sel:DWORD dst_unused:UNUSED_PAD src0_sel:WORD_0
	v_cvt_f32_i32_sdwa v44, sext(v72) dst_sel:DWORD dst_unused:UNUSED_PAD src0_sel:WORD_0
	v_bfe_i32 v65, v75, 0, 8
	v_cvt_f32_i32_sdwa v46, sext(v92) dst_sel:DWORD dst_unused:UNUSED_PAD src0_sel:WORD_0
	v_cvt_f32_i32_sdwa v48, sext(v77) dst_sel:DWORD dst_unused:UNUSED_PAD src0_sel:WORD_0
	v_bfe_i32 v71, v54, 0, 8
	v_bfe_i32 v72, v7, 0, 8
	;; [unrolled: 1-line block ×7, first 2 shown]
	v_cvt_f32_i32_sdwa v9, sext(v96) dst_sel:DWORD dst_unused:UNUSED_PAD src0_sel:WORD_0
	v_cvt_f32_i32_sdwa v54, sext(v97) dst_sel:DWORD dst_unused:UNUSED_PAD src0_sel:WORD_0
	;; [unrolled: 1-line block ×3, first 2 shown]
	v_ashrrev_i32_e32 v96, 31, v86
	v_ashrrev_i32_e32 v97, 31, v87
	v_ashrrev_i32_e32 v98, 31, v88
	v_cvt_f32_i32_sdwa v35, sext(v58) dst_sel:DWORD dst_unused:UNUSED_PAD src0_sel:WORD_0
	v_add_co_u32_e32 v58, vcc, s10, v86
	v_add_co_u32_e64 v60, s[0:1], s10, v87
	v_cvt_f32_i32_sdwa v41, sext(v62) dst_sel:DWORD dst_unused:UNUSED_PAD src0_sel:WORD_0
	v_add_co_u32_e64 v62, s[2:3], s10, v88
	v_addc_co_u32_e64 v83, s[6:7], v17, v83, s[6:7]
	v_bfe_i32 v89, v39, 0, 8
	v_cvt_f32_i32_sdwa v39, sext(v37) dst_sel:DWORD dst_unused:UNUSED_PAD src0_sel:WORD_0
	v_cvt_f32_i32_sdwa v5, sext(v91) dst_sel:DWORD dst_unused:UNUSED_PAD src0_sel:WORD_0
	v_bfe_i32 v91, v70, 0, 8
	v_bfe_i32 v104, v13, 0, 8
	v_cvt_f32_i32_sdwa v13, sext(v49) dst_sel:DWORD dst_unused:UNUSED_PAD src0_sel:WORD_0
	v_cvt_f32_i32_sdwa v37, sext(v61) dst_sel:DWORD dst_unused:UNUSED_PAD src0_sel:WORD_0
	;; [unrolled: 1-line block ×7, first 2 shown]
	v_addc_co_u32_e32 v59, vcc, v17, v96, vcc
	v_addc_co_u32_e64 v61, vcc, v17, v97, s[0:1]
	v_addc_co_u32_e64 v63, vcc, v17, v98, s[2:3]
	global_load_dword v19, v[82:83], off
	global_load_dword v86, v[58:59], off
	;; [unrolled: 1-line block ×4, first 2 shown]
	v_bfe_i32 v84, v15, 0, 8
	v_lshrrev_b32_e32 v85, 16, v15
	v_lshrrev_b32_e32 v15, 24, v15
	v_cvt_f32_i32_sdwa v3, sext(v89) dst_sel:DWORD dst_unused:UNUSED_PAD src0_sel:WORD_0
	v_cvt_f32_i32_sdwa v59, sext(v94) dst_sel:DWORD dst_unused:UNUSED_PAD src0_sel:WORD_0
	v_bfe_i32 v79, v14, 0, 8
	v_lshrrev_b32_e32 v80, 8, v14
	v_lshrrev_b32_e32 v81, 16, v14
	v_cvt_f32_i32_sdwa v14, sext(v56) dst_sel:DWORD dst_unused:UNUSED_PAD src0_sel:WORD_0
	v_cvt_f32_i32_sdwa v38, sext(v33) dst_sel:DWORD dst_unused:UNUSED_PAD src0_sel:WORD_0
	;; [unrolled: 1-line block ×3, first 2 shown]
	v_bfe_i32 v84, v85, 0, 8
	v_bfe_i32 v85, v15, 0, 8
	v_cvt_f32_i32_sdwa v61, sext(v85) dst_sel:DWORD dst_unused:UNUSED_PAD src0_sel:WORD_0
	v_lshrrev_b32_e32 v76, 24, v4
	v_cvt_f32_i32_sdwa v4, sext(v43) dst_sel:DWORD dst_unused:UNUSED_PAD src0_sel:WORD_0
	v_bfe_i32 v45, v45, 0, 8
	v_cvt_f32_i32_sdwa v43, sext(v90) dst_sel:DWORD dst_unused:UNUSED_PAD src0_sel:WORD_0
	v_bfe_i32 v93, v47, 0, 8
	v_cvt_f32_i32_sdwa v47, sext(v45) dst_sel:DWORD dst_unused:UNUSED_PAD src0_sel:WORD_0
	v_cvt_f32_i32_sdwa v60, sext(v84) dst_sel:DWORD dst_unused:UNUSED_PAD src0_sel:WORD_0
	v_bfe_i32 v76, v76, 0, 8
	v_cvt_f32_i32_sdwa v7, sext(v93) dst_sel:DWORD dst_unused:UNUSED_PAD src0_sel:WORD_0
	v_bfe_i32 v99, v55, 0, 8
	;; [unrolled: 2-line block ×3, first 2 shown]
	v_cvt_f32_i32_sdwa v45, sext(v64) dst_sel:DWORD dst_unused:UNUSED_PAD src0_sel:WORD_0
	v_cvt_f32_i32_sdwa v64, sext(v68) dst_sel:DWORD dst_unused:UNUSED_PAD src0_sel:WORD_0
	;; [unrolled: 1-line block ×3, first 2 shown]
	v_bfe_i32 v57, v57, 0, 8
	v_bfe_i32 v89, v66, 0, 8
	;; [unrolled: 1-line block ×3, first 2 shown]
	v_cvt_f32_i32_sdwa v67, sext(v71) dst_sel:DWORD dst_unused:UNUSED_PAD src0_sel:WORD_0
	v_cvt_f32_i32_sdwa v66, sext(v53) dst_sel:DWORD dst_unused:UNUSED_PAD src0_sel:WORD_0
	v_bfe_i32 v93, v81, 0, 8
	v_cvt_f32_i32_sdwa v15, sext(v99) dst_sel:DWORD dst_unused:UNUSED_PAD src0_sel:WORD_0
	v_cvt_f32_i32_sdwa v68, sext(v57) dst_sel:DWORD dst_unused:UNUSED_PAD src0_sel:WORD_0
	;; [unrolled: 1-line block ×5, first 2 shown]
	v_bfe_i32 v101, v73, 0, 8
	v_bfe_i32 v102, v74, 0, 8
	v_cvt_f32_i32_sdwa v33, sext(v100) dst_sel:DWORD dst_unused:UNUSED_PAD src0_sel:WORD_0
	v_cvt_f32_i32_sdwa v73, sext(v77) dst_sel:DWORD dst_unused:UNUSED_PAD src0_sel:WORD_0
	;; [unrolled: 1-line block ×6, first 2 shown]
	v_bfe_i32 v103, v78, 0, 8
	v_cvt_f32_i32_sdwa v52, sext(v79) dst_sel:DWORD dst_unused:UNUSED_PAD src0_sel:WORD_0
	v_cvt_f32_i32_sdwa v79, sext(v102) dst_sel:DWORD dst_unused:UNUSED_PAD src0_sel:WORD_0
	;; [unrolled: 1-line block ×3, first 2 shown]
	v_bfe_i32 v105, v80, 0, 8
	v_cvt_f32_i32_sdwa v81, sext(v104) dst_sel:DWORD dst_unused:UNUSED_PAD src0_sel:WORD_0
	v_cvt_f32_i32_sdwa v80, sext(v103) dst_sel:DWORD dst_unused:UNUSED_PAD src0_sel:WORD_0
	;; [unrolled: 1-line block ×3, first 2 shown]
	s_waitcnt vmcnt(3)
	v_bfe_i32 v62, v19, 0, 8
	v_cvt_f32_i32_sdwa v62, sext(v62) dst_sel:DWORD dst_unused:UNUSED_PAD src0_sel:WORD_0
	v_lshrrev_b32_e32 v63, 8, v19
	v_lshrrev_b32_e32 v82, 16, v19
	v_bfe_i32 v94, v82, 0, 8
	v_pk_fma_f32 v[0:1], v[0:1], v[62:63], v[28:29] op_sel_hi:[1,0,1]
	v_bfe_i32 v63, v63, 0, 8
	v_cvt_f32_i32_sdwa v82, sext(v63) dst_sel:DWORD dst_unused:UNUSED_PAD src0_sel:WORD_0
	s_waitcnt vmcnt(2)
	v_bfe_i32 v83, v86, 0, 8
	v_lshrrev_b32_e32 v85, 16, v86
	v_lshrrev_b32_e32 v19, 24, v19
	v_cvt_f32_i32_sdwa v28, sext(v83) dst_sel:DWORD dst_unused:UNUSED_PAD src0_sel:WORD_0
	v_bfe_i32 v83, v85, 0, 8
	v_lshrrev_b32_e32 v84, 8, v86
	v_bfe_i32 v19, v19, 0, 8
	v_pk_fma_f32 v[0:1], v[2:3], v[82:83], v[0:1] op_sel_hi:[1,0,1]
	v_cvt_f32_i32_sdwa v2, sext(v94) dst_sel:DWORD dst_unused:UNUSED_PAD src0_sel:WORD_0
	v_pk_fma_f32 v[26:27], v[38:39], v[62:63], v[26:27] op_sel_hi:[1,0,1]
	v_bfe_i32 v39, v84, 0, 8
	v_cvt_f32_i32_sdwa v84, sext(v19) dst_sel:DWORD dst_unused:UNUSED_PAD src0_sel:WORD_0
	v_lshrrev_b32_e32 v86, 24, v86
	v_pk_fma_f32 v[26:27], v[42:43], v[82:83], v[26:27] op_sel_hi:[1,0,1]
	v_cvt_f32_i32_sdwa v42, sext(v39) dst_sel:DWORD dst_unused:UNUSED_PAD src0_sel:WORD_0
	v_bfe_i32 v85, v86, 0, 8
	v_cvt_f32_i32_sdwa v82, sext(v83) dst_sel:DWORD dst_unused:UNUSED_PAD src0_sel:WORD_0
	v_pk_fma_f32 v[0:1], v[4:5], v[2:3], v[0:1] op_sel_hi:[1,0,1]
	v_pk_fma_f32 v[2:3], v[46:47], v[2:3], v[26:27] op_sel_hi:[1,0,1]
	s_waitcnt vmcnt(1)
	v_bfe_i32 v90, v87, 0, 8
	v_lshrrev_b32_e32 v91, 8, v87
	s_waitcnt vmcnt(0)
	v_bfe_i32 v29, v88, 0, 8
	v_cvt_f32_i32_sdwa v86, sext(v85) dst_sel:DWORD dst_unused:UNUSED_PAD src0_sel:WORD_0
	v_pk_fma_f32 v[0:1], v[6:7], v[84:85], v[0:1] op_sel_hi:[1,0,1]
	v_pk_fma_f32 v[2:3], v[50:51], v[84:85], v[2:3] op_sel_hi:[1,0,1]
	v_lshrrev_b32_e32 v89, 16, v87
	v_lshrrev_b32_e32 v92, 16, v88
	;; [unrolled: 1-line block ×4, first 2 shown]
	v_bfe_i32 v91, v91, 0, 8
	v_cvt_f32_i32_sdwa v38, sext(v90) dst_sel:DWORD dst_unused:UNUSED_PAD src0_sel:WORD_0
	v_pk_fma_f32 v[0:1], v[8:9], v[28:29], v[0:1] op_sel_hi:[1,0,1]
	v_pk_fma_f32 v[2:3], v[54:55], v[28:29], v[2:3] op_sel_hi:[1,0,1]
	v_lshrrev_b32_e32 v87, 24, v87
	v_bfe_i32 v89, v89, 0, 8
	v_bfe_i32 v95, v88, 0, 8
	v_cvt_f32_i32_sdwa v88, sext(v91) dst_sel:DWORD dst_unused:UNUSED_PAD src0_sel:WORD_0
	v_pk_fma_f32 v[0:1], v[10:11], v[42:43], v[0:1] op_sel_hi:[1,0,1]
	v_pk_fma_f32 v[2:3], v[64:65], v[42:43], v[2:3] op_sel_hi:[1,0,1]
	v_bfe_i32 v87, v87, 0, 8
	v_cvt_f32_i32_sdwa v4, sext(v89) dst_sel:DWORD dst_unused:UNUSED_PAD src0_sel:WORD_0
	v_pk_fma_f32 v[0:1], v[12:13], v[82:83], v[0:1] op_sel_hi:[1,0,1]
	v_pk_fma_f32 v[2:3], v[66:67], v[82:83], v[2:3] op_sel_hi:[1,0,1]
	v_cvt_f32_i32_sdwa v90, sext(v87) dst_sel:DWORD dst_unused:UNUSED_PAD src0_sel:WORD_0
	v_pk_fma_f32 v[0:1], v[14:15], v[86:87], v[0:1] op_sel_hi:[1,0,1]
	v_pk_fma_f32 v[2:3], v[68:69], v[86:87], v[2:3] op_sel_hi:[1,0,1]
	v_bfe_i32 v93, v93, 0, 8
	v_cvt_f32_i32_sdwa v62, sext(v29) dst_sel:DWORD dst_unused:UNUSED_PAD src0_sel:WORD_0
	v_pk_fma_f32 v[0:1], v[32:33], v[38:39], v[0:1] op_sel_hi:[1,0,1]
	v_pk_fma_f32 v[2:3], v[70:71], v[38:39], v[2:3] op_sel_hi:[1,0,1]
	v_bfe_i32 v92, v92, 0, 8
	v_cvt_f32_i32_sdwa v26, sext(v93) dst_sel:DWORD dst_unused:UNUSED_PAD src0_sel:WORD_0
	v_pk_fma_f32 v[0:1], v[34:35], v[88:89], v[0:1] op_sel_hi:[1,0,1]
	v_pk_fma_f32 v[2:3], v[72:73], v[88:89], v[2:3] op_sel_hi:[1,0,1]
	v_cvt_f32_i32_sdwa v46, sext(v92) dst_sel:DWORD dst_unused:UNUSED_PAD src0_sel:WORD_0
	v_pk_fma_f32 v[0:1], v[36:37], v[4:5], v[0:1] op_sel_hi:[1,0,1]
	v_pk_fma_f32 v[2:3], v[74:75], v[4:5], v[2:3] op_sel_hi:[1,0,1]
	;; [unrolled: 3-line block ×3, first 2 shown]
	v_pk_fma_f32 v[0:1], v[44:45], v[62:63], v[0:1] op_sel_hi:[1,0,1]
	v_pk_fma_f32 v[2:3], v[78:79], v[62:63], v[2:3] op_sel_hi:[1,0,1]
	;; [unrolled: 1-line block ×8, first 2 shown]
	s_andn2_b64 exec, exec, s[12:13]
	s_cbranch_execnz .LBB84_33
; %bb.34:
	s_or_b64 exec, exec, s[12:13]
.LBB84_35:
	s_or_b64 exec, exec, s[14:15]
.LBB84_36:
	s_or_b64 exec, exec, s[8:9]
.LBB84_37:
	v_mov_b32_dpp v0, v28 row_shr:1 row_mask:0xf bank_mask:0xf
	v_mov_b32_dpp v1, v29 row_shr:1 row_mask:0xf bank_mask:0xf
	;; [unrolled: 1-line block ×4, first 2 shown]
	v_pk_add_f32 v[0:1], v[28:29], v[0:1]
	v_pk_add_f32 v[4:5], v[26:27], v[4:5]
	v_cmp_eq_u32_e32 vcc, 63, v18
	v_mov_b32_dpp v2, v0 row_shr:2 row_mask:0xf bank_mask:0xf
	v_mov_b32_dpp v3, v1 row_shr:2 row_mask:0xf bank_mask:0xf
	v_mov_b32_dpp v6, v4 row_shr:2 row_mask:0xf bank_mask:0xf
	v_mov_b32_dpp v7, v5 row_shr:2 row_mask:0xf bank_mask:0xf
	v_pk_add_f32 v[0:1], v[0:1], v[2:3]
	v_pk_add_f32 v[4:5], v[4:5], v[6:7]
	s_nop 0
	v_mov_b32_dpp v2, v0 row_shr:4 row_mask:0xf bank_mask:0xe
	v_mov_b32_dpp v3, v1 row_shr:4 row_mask:0xf bank_mask:0xe
	v_mov_b32_dpp v6, v4 row_shr:4 row_mask:0xf bank_mask:0xe
	v_mov_b32_dpp v7, v5 row_shr:4 row_mask:0xf bank_mask:0xe
	v_pk_add_f32 v[0:1], v[0:1], v[2:3]
	v_pk_add_f32 v[4:5], v[4:5], v[6:7]
	s_nop 0
	;; [unrolled: 7-line block ×3, first 2 shown]
	v_mov_b32_dpp v2, v0 row_bcast:15 row_mask:0xa bank_mask:0xf
	v_mov_b32_dpp v3, v1 row_bcast:15 row_mask:0xa bank_mask:0xf
	;; [unrolled: 1-line block ×4, first 2 shown]
	v_pk_add_f32 v[0:1], v[0:1], v[2:3]
	v_pk_add_f32 v[4:5], v[4:5], v[6:7]
	s_nop 0
	v_mov_b32_dpp v2, v0 row_bcast:31 row_mask:0xc bank_mask:0xf
	v_mov_b32_dpp v3, v1 row_bcast:31 row_mask:0xc bank_mask:0xf
	;; [unrolled: 1-line block ×4, first 2 shown]
	s_and_b64 exec, exec, vcc
	s_cbranch_execz .LBB84_10
; %bb.38:
	s_load_dwordx2 s[0:1], s[4:5], 0x50
	v_cmp_eq_f32_e64 s[2:3], s18, 0
	v_pk_add_f32 v[2:3], v[0:1], v[2:3]
	v_pk_add_f32 v[0:1], v[4:5], v[6:7]
	s_and_b64 vcc, exec, s[2:3]
	v_lshlrev_b32_e32 v4, 2, v16
	s_cbranch_vccz .LBB84_40
; %bb.39:
	v_ashrrev_i32_e32 v5, 31, v4
	v_lshlrev_b64 v[6:7], 2, v[4:5]
	s_waitcnt lgkmcnt(0)
	v_mov_b32_e32 v5, s1
	v_add_co_u32_e32 v10, vcc, s0, v6
	v_addc_co_u32_e32 v11, vcc, v5, v7, vcc
	v_pk_mul_f32 v[6:7], s[16:17], v[2:3] op_sel_hi:[0,1]
	v_pk_mul_f32 v[8:9], s[16:17], v[0:1] op_sel_hi:[0,1]
	global_store_dwordx4 v[10:11], v[6:9], off
	s_cbranch_execnz .LBB84_10
	s_branch .LBB84_41
.LBB84_40:
.LBB84_41:
	v_ashrrev_i32_e32 v5, 31, v4
	v_lshlrev_b64 v[4:5], 2, v[4:5]
	s_waitcnt lgkmcnt(0)
	v_mov_b32_e32 v6, s1
	v_add_co_u32_e32 v8, vcc, s0, v4
	v_addc_co_u32_e32 v9, vcc, v6, v5, vcc
	global_load_dwordx4 v[4:7], v[8:9], off
	v_pk_mul_f32 v[2:3], s[16:17], v[2:3] op_sel_hi:[0,1]
	v_pk_mul_f32 v[10:11], s[16:17], v[0:1] op_sel_hi:[0,1]
	s_waitcnt vmcnt(0)
	v_pk_fma_f32 v[0:1], s[18:19], v[4:5], v[2:3] op_sel_hi:[0,1,1]
	v_pk_fma_f32 v[2:3], s[18:19], v[6:7], v[10:11] op_sel_hi:[0,1,1]
	global_store_dwordx4 v[8:9], v[0:3], off
	s_endpgm
	.section	.rodata,"a",@progbits
	.p2align	6, 0x0
	.amdhsa_kernel _ZN9rocsparseL18bsrxmvn_4x4_kernelILj128ELj64EfliaafEEvT3_20rocsparse_direction_NS_24const_host_device_scalarIT1_EES1_PKS1_PKT2_SA_S7_PKT4_PKT5_S5_PT6_21rocsparse_index_base_b
		.amdhsa_group_segment_fixed_size 0
		.amdhsa_private_segment_fixed_size 0
		.amdhsa_kernarg_size 96
		.amdhsa_user_sgpr_count 6
		.amdhsa_user_sgpr_private_segment_buffer 1
		.amdhsa_user_sgpr_dispatch_ptr 0
		.amdhsa_user_sgpr_queue_ptr 0
		.amdhsa_user_sgpr_kernarg_segment_ptr 1
		.amdhsa_user_sgpr_dispatch_id 0
		.amdhsa_user_sgpr_flat_scratch_init 0
		.amdhsa_user_sgpr_kernarg_preload_length 0
		.amdhsa_user_sgpr_kernarg_preload_offset 0
		.amdhsa_user_sgpr_private_segment_size 0
		.amdhsa_uses_dynamic_stack 0
		.amdhsa_system_sgpr_private_segment_wavefront_offset 0
		.amdhsa_system_sgpr_workgroup_id_x 1
		.amdhsa_system_sgpr_workgroup_id_y 0
		.amdhsa_system_sgpr_workgroup_id_z 0
		.amdhsa_system_sgpr_workgroup_info 0
		.amdhsa_system_vgpr_workitem_id 0
		.amdhsa_next_free_vgpr 106
		.amdhsa_next_free_sgpr 26
		.amdhsa_accum_offset 108
		.amdhsa_reserve_vcc 1
		.amdhsa_reserve_flat_scratch 0
		.amdhsa_float_round_mode_32 0
		.amdhsa_float_round_mode_16_64 0
		.amdhsa_float_denorm_mode_32 3
		.amdhsa_float_denorm_mode_16_64 3
		.amdhsa_dx10_clamp 1
		.amdhsa_ieee_mode 1
		.amdhsa_fp16_overflow 0
		.amdhsa_tg_split 0
		.amdhsa_exception_fp_ieee_invalid_op 0
		.amdhsa_exception_fp_denorm_src 0
		.amdhsa_exception_fp_ieee_div_zero 0
		.amdhsa_exception_fp_ieee_overflow 0
		.amdhsa_exception_fp_ieee_underflow 0
		.amdhsa_exception_fp_ieee_inexact 0
		.amdhsa_exception_int_div_zero 0
	.end_amdhsa_kernel
	.section	.text._ZN9rocsparseL18bsrxmvn_4x4_kernelILj128ELj64EfliaafEEvT3_20rocsparse_direction_NS_24const_host_device_scalarIT1_EES1_PKS1_PKT2_SA_S7_PKT4_PKT5_S5_PT6_21rocsparse_index_base_b,"axG",@progbits,_ZN9rocsparseL18bsrxmvn_4x4_kernelILj128ELj64EfliaafEEvT3_20rocsparse_direction_NS_24const_host_device_scalarIT1_EES1_PKS1_PKT2_SA_S7_PKT4_PKT5_S5_PT6_21rocsparse_index_base_b,comdat
.Lfunc_end84:
	.size	_ZN9rocsparseL18bsrxmvn_4x4_kernelILj128ELj64EfliaafEEvT3_20rocsparse_direction_NS_24const_host_device_scalarIT1_EES1_PKS1_PKT2_SA_S7_PKT4_PKT5_S5_PT6_21rocsparse_index_base_b, .Lfunc_end84-_ZN9rocsparseL18bsrxmvn_4x4_kernelILj128ELj64EfliaafEEvT3_20rocsparse_direction_NS_24const_host_device_scalarIT1_EES1_PKS1_PKT2_SA_S7_PKT4_PKT5_S5_PT6_21rocsparse_index_base_b
                                        ; -- End function
	.section	.AMDGPU.csdata,"",@progbits
; Kernel info:
; codeLenInByte = 6840
; NumSgprs: 30
; NumVgprs: 106
; NumAgprs: 0
; TotalNumVgprs: 106
; ScratchSize: 0
; MemoryBound: 0
; FloatMode: 240
; IeeeMode: 1
; LDSByteSize: 0 bytes/workgroup (compile time only)
; SGPRBlocks: 3
; VGPRBlocks: 13
; NumSGPRsForWavesPerEU: 30
; NumVGPRsForWavesPerEU: 106
; AccumOffset: 108
; Occupancy: 4
; WaveLimiterHint : 1
; COMPUTE_PGM_RSRC2:SCRATCH_EN: 0
; COMPUTE_PGM_RSRC2:USER_SGPR: 6
; COMPUTE_PGM_RSRC2:TRAP_HANDLER: 0
; COMPUTE_PGM_RSRC2:TGID_X_EN: 1
; COMPUTE_PGM_RSRC2:TGID_Y_EN: 0
; COMPUTE_PGM_RSRC2:TGID_Z_EN: 0
; COMPUTE_PGM_RSRC2:TIDIG_COMP_CNT: 0
; COMPUTE_PGM_RSRC3_GFX90A:ACCUM_OFFSET: 26
; COMPUTE_PGM_RSRC3_GFX90A:TG_SPLIT: 0
	.section	.text._ZN9rocsparseL18bsrxmvn_4x4_kernelILj128ELj4EfllaafEEvT3_20rocsparse_direction_NS_24const_host_device_scalarIT1_EES1_PKS1_PKT2_SA_S7_PKT4_PKT5_S5_PT6_21rocsparse_index_base_b,"axG",@progbits,_ZN9rocsparseL18bsrxmvn_4x4_kernelILj128ELj4EfllaafEEvT3_20rocsparse_direction_NS_24const_host_device_scalarIT1_EES1_PKS1_PKT2_SA_S7_PKT4_PKT5_S5_PT6_21rocsparse_index_base_b,comdat
	.globl	_ZN9rocsparseL18bsrxmvn_4x4_kernelILj128ELj4EfllaafEEvT3_20rocsparse_direction_NS_24const_host_device_scalarIT1_EES1_PKS1_PKT2_SA_S7_PKT4_PKT5_S5_PT6_21rocsparse_index_base_b ; -- Begin function _ZN9rocsparseL18bsrxmvn_4x4_kernelILj128ELj4EfllaafEEvT3_20rocsparse_direction_NS_24const_host_device_scalarIT1_EES1_PKS1_PKT2_SA_S7_PKT4_PKT5_S5_PT6_21rocsparse_index_base_b
	.p2align	8
	.type	_ZN9rocsparseL18bsrxmvn_4x4_kernelILj128ELj4EfllaafEEvT3_20rocsparse_direction_NS_24const_host_device_scalarIT1_EES1_PKS1_PKT2_SA_S7_PKT4_PKT5_S5_PT6_21rocsparse_index_base_b,@function
_ZN9rocsparseL18bsrxmvn_4x4_kernelILj128ELj4EfllaafEEvT3_20rocsparse_direction_NS_24const_host_device_scalarIT1_EES1_PKS1_PKT2_SA_S7_PKT4_PKT5_S5_PT6_21rocsparse_index_base_b: ; @_ZN9rocsparseL18bsrxmvn_4x4_kernelILj128ELj4EfllaafEEvT3_20rocsparse_direction_NS_24const_host_device_scalarIT1_EES1_PKS1_PKT2_SA_S7_PKT4_PKT5_S5_PT6_21rocsparse_index_base_b
; %bb.0:
	s_load_dwordx2 s[22:23], s[4:5], 0x60
	s_load_dwordx4 s[16:19], s[4:5], 0x10
	s_load_dwordx2 s[20:21], s[4:5], 0x50
	s_waitcnt lgkmcnt(0)
	s_bitcmp1_b32 s23, 0
	s_cselect_b64 s[2:3], -1, 0
	s_xor_b64 s[0:1], s[2:3], -1
	s_and_b64 vcc, exec, s[2:3]
	s_cbranch_vccnz .LBB85_2
; %bb.1:
	s_load_dword s16, s[16:17], 0x0
.LBB85_2:
	s_andn2_b64 vcc, exec, s[0:1]
	s_cbranch_vccnz .LBB85_4
; %bb.3:
	s_load_dword s20, s[20:21], 0x0
.LBB85_4:
	s_waitcnt lgkmcnt(0)
	v_cmp_neq_f32_e64 s[0:1], s16, 0
	v_cmp_neq_f32_e64 s[2:3], s20, 1.0
	s_or_b64 s[0:1], s[0:1], s[2:3]
	s_andn2_b64 vcc, exec, s[0:1]
	s_cbranch_vccnz .LBB85_10
; %bb.5:
	s_load_dwordx2 s[2:3], s[4:5], 0x20
	v_lshrrev_b32_e32 v1, 2, v0
	v_lshl_or_b32 v2, s6, 5, v1
	v_mov_b32_e32 v3, 0
	s_mov_b64 s[0:1], 0
	s_waitcnt lgkmcnt(0)
	s_cmp_lg_u64 s[2:3], 0
	s_cbranch_scc0 .LBB85_11
; %bb.6:
	v_cmp_gt_i64_e32 vcc, s[18:19], v[2:3]
                                        ; implicit-def: $vgpr16_vgpr17
	s_and_saveexec_b64 s[6:7], vcc
	s_xor_b64 s[6:7], exec, s[6:7]
                                        ; implicit-def: $sgpr18_sgpr19
	s_cbranch_execz .LBB85_8
; %bb.7:
	v_lshlrev_b64 v[4:5], 3, v[2:3]
	v_mov_b32_e32 v1, s3
	v_add_co_u32_e32 v4, vcc, s2, v4
	v_addc_co_u32_e32 v5, vcc, v1, v5, vcc
	global_load_dwordx2 v[4:5], v[4:5], off
	s_mov_b64 s[0:1], exec
	s_mov_b32 s19, 0
	s_waitcnt vmcnt(0)
	v_subrev_co_u32_e32 v16, vcc, s22, v4
	v_subbrev_co_u32_e32 v17, vcc, 0, v5, vcc
.LBB85_8:
	s_or_b64 exec, exec, s[6:7]
.LBB85_9:
	s_and_saveexec_b64 s[2:3], s[0:1]
	s_cbranch_execnz .LBB85_15
.LBB85_10:
	s_endpgm
.LBB85_11:
                                        ; implicit-def: $vgpr16_vgpr17
                                        ; implicit-def: $sgpr18_sgpr19
	s_cbranch_execz .LBB85_9
; %bb.12:
	s_load_dwordx2 s[2:3], s[4:5], 0x0
                                        ; implicit-def: $vgpr16_vgpr17
	s_waitcnt lgkmcnt(0)
	v_cmp_gt_i64_e32 vcc, s[2:3], v[2:3]
	s_and_saveexec_b64 s[2:3], vcc
                                        ; implicit-def: $sgpr18_sgpr19
; %bb.13:
	s_mov_b32 s19, 0
	s_or_b64 s[0:1], s[0:1], exec
	v_pk_mov_b32 v[16:17], v[2:3], v[2:3] op_sel:[0,1]
; %bb.14:
	s_or_b64 exec, exec, s[2:3]
	s_and_saveexec_b64 s[2:3], s[0:1]
	s_cbranch_execz .LBB85_10
.LBB85_15:
	s_load_dwordx8 s[8:15], s[4:5], 0x28
	v_lshlrev_b64 v[2:3], 3, v[16:17]
	v_and_b32_e32 v18, 3, v0
	v_mov_b32_e32 v0, s19
	v_mov_b32_e32 v27, 0
	s_waitcnt lgkmcnt(0)
	v_mov_b32_e32 v1, s9
	v_add_co_u32_e32 v4, vcc, s8, v2
	v_addc_co_u32_e32 v5, vcc, v1, v3, vcc
	v_add_co_u32_e32 v1, vcc, 8, v4
	global_load_dwordx2 v[30:31], v[4:5], off
	v_addc_co_u32_e32 v4, vcc, 0, v5, vcc
	v_mov_b32_e32 v5, s11
	v_add_co_u32_e32 v2, vcc, s10, v2
	s_cmp_eq_u64 s[10:11], 0
	v_addc_co_u32_e32 v3, vcc, v5, v3, vcc
	s_cselect_b64 vcc, -1, 0
	v_cndmask_b32_e32 v3, v3, v4, vcc
	v_cndmask_b32_e32 v2, v2, v1, vcc
	global_load_dwordx2 v[2:3], v[2:3], off
	s_load_dwordx2 s[6:7], s[4:5], 0x48
	s_load_dword s0, s[4:5], 0x8
	v_mov_b32_e32 v4, s15
	s_waitcnt lgkmcnt(0)
	s_cmp_eq_u32 s0, 1
	s_waitcnt vmcnt(1)
	v_subrev_co_u32_e32 v1, vcc, s22, v30
	v_subb_co_u32_e32 v5, vcc, v31, v0, vcc
	v_add_co_u32_e32 v20, vcc, v1, v18
	v_addc_co_u32_e32 v21, vcc, 0, v5, vcc
	s_waitcnt vmcnt(0)
	v_subrev_co_u32_e32 v22, vcc, s22, v2
	v_subb_co_u32_e32 v23, vcc, v3, v0, vcc
	v_lshlrev_b64 v[0:1], 4, v[20:21]
	v_add_co_u32_e32 v24, vcc, s14, v0
	v_addc_co_u32_e32 v25, vcc, v4, v1, vcc
	v_cmp_lt_i64_e64 s[0:1], v[20:21], v[22:23]
	s_cbranch_scc1 .LBB85_27
; %bb.16:
	v_mov_b32_e32 v26, 0
	v_mov_b32_e32 v29, 0
	v_mov_b32_e32 v28, 0
	s_and_saveexec_b64 s[8:9], s[0:1]
	s_cbranch_execz .LBB85_26
; %bb.17:
	v_or_b32_e32 v0, 4, v18
	v_mov_b32_e32 v1, s19
	v_subrev_co_u32_e32 v0, vcc, s22, v0
	v_subb_co_u32_e32 v1, vcc, 0, v1, vcc
	v_add_co_u32_e32 v0, vcc, v0, v30
	v_addc_co_u32_e32 v1, vcc, v1, v31, vcc
	v_cmp_gt_i64_e32 vcc, v[0:1], v[22:23]
	v_cndmask_b32_e32 v1, v23, v1, vcc
	v_cndmask_b32_e32 v0, v22, v0, vcc
	v_mov_b32_e32 v4, s19
	v_sub_co_u32_e32 v5, vcc, s22, v18
	v_not_b32_e32 v3, v30
	v_subbrev_co_u32_e32 v4, vcc, 0, v4, vcc
	v_not_b32_e32 v2, v31
	v_add_co_u32_e32 v3, vcc, v5, v3
	v_addc_co_u32_e32 v2, vcc, v4, v2, vcc
	v_add_co_u32_e32 v0, vcc, v3, v0
	v_addc_co_u32_e32 v1, vcc, v2, v1, vcc
	v_lshrrev_b32_e32 v2, 2, v0
	v_add_u32_e32 v2, 1, v2
	v_and_b32_e32 v2, 3, v2
	v_mov_b32_e32 v28, 0
	v_cmp_ne_u32_e32 vcc, 0, v2
	v_mov_b32_e32 v29, v28
	v_mov_b32_e32 v26, v28
	v_mov_b32_e32 v27, v28
	v_pk_mov_b32 v[32:33], v[20:21], v[20:21] op_sel:[0,1]
	v_pk_mov_b32 v[34:35], v[24:25], v[24:25] op_sel:[0,1]
	s_and_saveexec_b64 s[2:3], vcc
	s_cbranch_execz .LBB85_21
; %bb.18:
	v_lshlrev_b64 v[4:5], 3, v[20:21]
	v_mov_b32_e32 v3, 0
	v_mov_b32_e32 v6, s13
	v_add_co_u32_e32 v4, vcc, s12, v4
	v_addc_co_u32_e32 v5, vcc, v6, v5, vcc
	v_lshlrev_b32_e32 v2, 1, v2
	s_mov_b64 s[10:11], 0
	v_mov_b32_e32 v6, s19
	v_mov_b32_e32 v7, s7
	v_pk_mov_b32 v[34:35], v[24:25], v[24:25] op_sel:[0,1]
	v_pk_mov_b32 v[32:33], v[20:21], v[20:21] op_sel:[0,1]
	v_mov_b32_e32 v28, v3
	v_mov_b32_e32 v29, v3
	;; [unrolled: 1-line block ×4, first 2 shown]
.LBB85_19:                              ; =>This Inner Loop Header: Depth=1
	global_load_dwordx2 v[12:13], v[4:5], off
	global_load_dwordx4 v[8:11], v[34:35], off
	s_waitcnt vmcnt(1)
	v_subrev_co_u32_e32 v12, vcc, s22, v12
	v_subb_co_u32_e32 v13, vcc, v13, v6, vcc
	v_lshlrev_b64 v[12:13], 2, v[12:13]
	v_add_co_u32_e32 v12, vcc, s6, v12
	v_addc_co_u32_e32 v13, vcc, v7, v13, vcc
	global_load_dword v19, v[12:13], off
	s_waitcnt vmcnt(1)
	v_bfe_i32 v12, v8, 0, 8
	v_lshrrev_b32_e32 v13, 8, v8
	v_lshrrev_b32_e32 v14, 16, v8
	;; [unrolled: 1-line block ×6, first 2 shown]
	v_add_co_u32_e32 v34, vcc, 64, v34
	v_bfe_i32 v15, v9, 0, 8
	v_lshrrev_b32_e32 v9, 24, v9
	v_bfe_i32 v38, v10, 0, 8
	v_lshrrev_b32_e32 v40, 16, v10
	v_lshrrev_b32_e32 v10, 24, v10
	;; [unrolled: 1-line block ×4, first 2 shown]
	v_bfe_i32 v44, v13, 0, 8
	v_bfe_i32 v45, v8, 0, 8
	;; [unrolled: 1-line block ×5, first 2 shown]
	v_addc_co_u32_e32 v35, vcc, 0, v35, vcc
	v_bfe_i32 v41, v11, 0, 8
	v_lshrrev_b32_e32 v11, 24, v11
	v_bfe_i32 v37, v9, 0, 8
	v_bfe_i32 v47, v10, 0, 8
	;; [unrolled: 1-line block ×4, first 2 shown]
	v_cvt_f32_i32_sdwa v9, sext(v15) dst_sel:DWORD dst_unused:UNUSED_PAD src0_sel:WORD_0
	v_cvt_f32_i32_sdwa v8, sext(v12) dst_sel:DWORD dst_unused:UNUSED_PAD src0_sel:WORD_0
	;; [unrolled: 1-line block ×7, first 2 shown]
	v_add_co_u32_e32 v32, vcc, 4, v32
	v_bfe_i32 v43, v11, 0, 8
	v_cvt_f32_i32_sdwa v11, sext(v41) dst_sel:DWORD dst_unused:UNUSED_PAD src0_sel:WORD_0
	v_cvt_f32_i32_sdwa v41, sext(v42) dst_sel:DWORD dst_unused:UNUSED_PAD src0_sel:WORD_0
	;; [unrolled: 1-line block ×3, first 2 shown]
	v_addc_co_u32_e32 v33, vcc, 0, v33, vcc
	v_bfe_i32 v14, v14, 0, 8
	v_bfe_i32 v40, v40, 0, 8
	v_cvt_f32_i32_sdwa v13, sext(v13) dst_sel:DWORD dst_unused:UNUSED_PAD src0_sel:WORD_0
	v_cvt_f32_i32_sdwa v39, sext(v39) dst_sel:DWORD dst_unused:UNUSED_PAD src0_sel:WORD_0
	v_add_co_u32_e32 v4, vcc, 32, v4
	v_cvt_f32_i32_sdwa v14, sext(v14) dst_sel:DWORD dst_unused:UNUSED_PAD src0_sel:WORD_0
	v_cvt_f32_i32_sdwa v40, sext(v40) dst_sel:DWORD dst_unused:UNUSED_PAD src0_sel:WORD_0
	v_addc_co_u32_e32 v5, vcc, 0, v5, vcc
	v_cvt_f32_i32_sdwa v37, sext(v37) dst_sel:DWORD dst_unused:UNUSED_PAD src0_sel:WORD_0
	v_cvt_f32_i32_sdwa v43, sext(v43) dst_sel:DWORD dst_unused:UNUSED_PAD src0_sel:WORD_0
	v_add_co_u32_e32 v2, vcc, -2, v2
	v_addc_co_u32_e32 v3, vcc, -1, v3, vcc
	v_cmp_eq_u64_e32 vcc, 0, v[2:3]
	s_or_b64 s[10:11], vcc, s[10:11]
	s_waitcnt vmcnt(0)
	v_lshrrev_b32_e32 v44, 16, v19
	v_bfe_i32 v45, v19, 0, 8
	v_lshrrev_b32_e32 v46, 8, v19
	v_bfe_i32 v46, v46, 0, 8
	v_bfe_i32 v47, v44, 0, 8
	v_cvt_f32_i32_sdwa v44, sext(v45) dst_sel:DWORD dst_unused:UNUSED_PAD src0_sel:WORD_0
	v_lshrrev_b32_e32 v19, 24, v19
	v_cvt_f32_i32_sdwa v46, sext(v46) dst_sel:DWORD dst_unused:UNUSED_PAD src0_sel:WORD_0
	v_bfe_i32 v19, v19, 0, 8
	v_cvt_f32_i32_sdwa v48, sext(v47) dst_sel:DWORD dst_unused:UNUSED_PAD src0_sel:WORD_0
	v_cvt_f32_i32_sdwa v50, sext(v19) dst_sel:DWORD dst_unused:UNUSED_PAD src0_sel:WORD_0
	v_pk_fma_f32 v[8:9], v[8:9], v[44:45], v[28:29] op_sel_hi:[1,0,1]
	v_pk_fma_f32 v[10:11], v[10:11], v[44:45], v[26:27] op_sel_hi:[1,0,1]
	;; [unrolled: 1-line block ×8, first 2 shown]
	s_andn2_b64 exec, exec, s[10:11]
	s_cbranch_execnz .LBB85_19
; %bb.20:
	s_or_b64 exec, exec, s[10:11]
.LBB85_21:
	s_or_b64 exec, exec, s[2:3]
	v_cmp_lt_u64_e32 vcc, 11, v[0:1]
	s_and_saveexec_b64 s[10:11], vcc
	s_cbranch_execz .LBB85_25
; %bb.22:
	v_lshlrev_b64 v[0:1], 3, v[32:33]
	v_mov_b32_e32 v2, s13
	v_add_co_u32_e32 v0, vcc, s12, v0
	v_addc_co_u32_e32 v1, vcc, v1, v2, vcc
	v_add_co_u32_e32 v36, vcc, 64, v0
	v_addc_co_u32_e32 v37, vcc, 0, v1, vcc
	s_mov_b64 s[14:15], 0
	v_mov_b32_e32 v19, s19
	v_mov_b32_e32 v46, s7
.LBB85_23:                              ; =>This Inner Loop Header: Depth=1
	global_load_dwordx4 v[0:3], v[34:35], off
	global_load_dwordx4 v[4:7], v[34:35], off offset:64
	global_load_dwordx4 v[8:11], v[34:35], off offset:128
	;; [unrolled: 1-line block ×3, first 2 shown]
	global_load_dwordx2 v[40:41], v[36:37], off offset:-64
	global_load_dwordx2 v[38:39], v[36:37], off offset:-32
	global_load_dwordx2 v[42:43], v[36:37], off
	global_load_dwordx2 v[44:45], v[36:37], off offset:32
	v_add_co_u32_e32 v36, vcc, 0x80, v36
	s_mov_b64 s[2:3], vcc
	v_add_co_u32_e32 v32, vcc, 16, v32
	v_addc_co_u32_e32 v33, vcc, 0, v33, vcc
	v_add_co_u32_e32 v34, vcc, 0x100, v34
	v_addc_co_u32_e32 v35, vcc, 0, v35, vcc
	v_addc_co_u32_e64 v37, s[2:3], 0, v37, s[2:3]
	v_cmp_ge_i64_e64 s[2:3], v[32:33], v[22:23]
	s_or_b64 s[14:15], s[2:3], s[14:15]
	s_waitcnt vmcnt(7)
	v_bfe_i32 v47, v0, 0, 8
	v_lshrrev_b32_e32 v48, 8, v0
	v_lshrrev_b32_e32 v49, 16, v0
	v_lshrrev_b32_e32 v50, 24, v0
	s_waitcnt vmcnt(3)
	v_subrev_co_u32_e32 v0, vcc, s22, v40
	v_bfe_i32 v51, v1, 0, 8
	v_lshrrev_b32_e32 v52, 8, v1
	v_lshrrev_b32_e32 v53, 16, v1
	v_lshrrev_b32_e32 v54, 24, v1
	v_subb_co_u32_e32 v1, vcc, v41, v19, vcc
	v_bfe_i32 v55, v2, 0, 8
	v_lshrrev_b32_e32 v56, 8, v2
	v_lshrrev_b32_e32 v57, 16, v2
	v_lshrrev_b32_e32 v58, 24, v2
	s_waitcnt vmcnt(2)
	v_subrev_co_u32_e32 v2, vcc, s22, v38
	v_bfe_i32 v59, v3, 0, 8
	v_lshrrev_b32_e32 v60, 8, v3
	v_lshrrev_b32_e32 v61, 16, v3
	v_lshrrev_b32_e32 v62, 24, v3
	v_subb_co_u32_e32 v3, vcc, v39, v19, vcc
	;; [unrolled: 11-line block ×4, first 2 shown]
	v_lshlrev_b64 v[0:1], 2, v[0:1]
	v_add_co_u32_e32 v0, vcc, s6, v0
	v_lshlrev_b64 v[2:3], 2, v[2:3]
	v_addc_co_u32_e32 v1, vcc, v46, v1, vcc
	v_add_co_u32_e32 v2, vcc, s6, v2
	v_lshlrev_b64 v[4:5], 2, v[4:5]
	v_addc_co_u32_e32 v3, vcc, v46, v3, vcc
	v_add_co_u32_e32 v4, vcc, s6, v4
	v_bfe_i32 v79, v8, 0, 8
	v_lshrrev_b32_e32 v80, 8, v8
	v_lshrrev_b32_e32 v81, 16, v8
	;; [unrolled: 1-line block ×7, first 2 shown]
	v_bfe_i32 v8, v12, 0, 8
	v_lshrrev_b32_e32 v95, 8, v12
	v_lshrrev_b32_e32 v96, 16, v12
	;; [unrolled: 1-line block ×6, first 2 shown]
	v_lshlrev_b64 v[6:7], 2, v[6:7]
	v_addc_co_u32_e32 v5, vcc, v46, v5, vcc
	v_bfe_i32 v87, v10, 0, 8
	v_lshrrev_b32_e32 v88, 8, v10
	v_lshrrev_b32_e32 v93, 16, v11
	;; [unrolled: 1-line block ×3, first 2 shown]
	v_bfe_i32 v10, v14, 0, 8
	v_lshrrev_b32_e32 v99, 8, v14
	v_lshrrev_b32_e32 v14, 24, v14
	v_bfe_i32 v38, v81, 0, 8
	v_bfe_i32 v39, v85, 0, 8
	;; [unrolled: 1-line block ×13, first 2 shown]
	v_add_co_u32_e32 v6, vcc, s6, v6
	v_bfe_i32 v41, v93, 0, 8
	v_bfe_i32 v45, v97, 0, 8
	;; [unrolled: 1-line block ×4, first 2 shown]
	v_cvt_f32_i32_sdwa v99, sext(v51) dst_sel:DWORD dst_unused:UNUSED_PAD src0_sel:WORD_0
	v_bfe_i32 v102, v52, 0, 8
	v_bfe_i32 v104, v53, 0, 8
	v_addc_co_u32_e32 v7, vcc, v46, v7, vcc
	v_cvt_f32_i32_sdwa v14, sext(v40) dst_sel:DWORD dst_unused:UNUSED_PAD src0_sel:WORD_0
	v_cvt_f32_i32_sdwa v40, sext(v44) dst_sel:DWORD dst_unused:UNUSED_PAD src0_sel:WORD_0
	;; [unrolled: 1-line block ×8, first 2 shown]
	global_load_dword v56, v[0:1], off
	global_load_dword v58, v[2:3], off
	;; [unrolled: 1-line block ×4, first 2 shown]
	v_bfe_i32 v83, v9, 0, 8
	v_lshrrev_b32_e32 v84, 8, v9
	v_lshrrev_b32_e32 v86, 24, v9
	v_bfe_i32 v9, v13, 0, 8
	v_lshrrev_b32_e32 v98, 16, v13
	v_lshrrev_b32_e32 v13, 24, v13
	v_bfe_i32 v91, v11, 0, 8
	v_lshrrev_b32_e32 v92, 8, v11
	v_bfe_i32 v11, v15, 0, 8
	;; [unrolled: 2-line block ×3, first 2 shown]
	v_bfe_i32 v86, v13, 0, 8
	v_bfe_i32 v103, v49, 0, 8
	;; [unrolled: 1-line block ×5, first 2 shown]
	v_cvt_f32_i32_sdwa v47, sext(v47) dst_sel:DWORD dst_unused:UNUSED_PAD src0_sel:WORD_0
	v_cvt_f32_i32_sdwa v100, sext(v55) dst_sel:DWORD dst_unused:UNUSED_PAD src0_sel:WORD_0
	;; [unrolled: 1-line block ×3, first 2 shown]
	v_bfe_i32 v101, v48, 0, 8
	v_bfe_i32 v60, v60, 0, 8
	v_cvt_f32_i32_sdwa v15, sext(v41) dst_sel:DWORD dst_unused:UNUSED_PAD src0_sel:WORD_0
	v_cvt_f32_i32_sdwa v41, sext(v45) dst_sel:DWORD dst_unused:UNUSED_PAD src0_sel:WORD_0
	;; [unrolled: 1-line block ×4, first 2 shown]
	v_bfe_i32 v57, v57, 0, 8
	v_bfe_i32 v61, v61, 0, 8
	v_cvt_f32_i32_sdwa v12, sext(v38) dst_sel:DWORD dst_unused:UNUSED_PAD src0_sel:WORD_0
	v_cvt_f32_i32_sdwa v13, sext(v39) dst_sel:DWORD dst_unused:UNUSED_PAD src0_sel:WORD_0
	v_cvt_f32_i32_sdwa v39, sext(v43) dst_sel:DWORD dst_unused:UNUSED_PAD src0_sel:WORD_0
	v_cvt_f32_i32_sdwa v38, sext(v42) dst_sel:DWORD dst_unused:UNUSED_PAD src0_sel:WORD_0
	v_cvt_f32_i32_sdwa v43, sext(v82) dst_sel:DWORD dst_unused:UNUSED_PAD src0_sel:WORD_0
	v_cvt_f32_i32_sdwa v42, sext(v81) dst_sel:DWORD dst_unused:UNUSED_PAD src0_sel:WORD_0
	v_cvt_f32_i32_sdwa v81, sext(v101) dst_sel:DWORD dst_unused:UNUSED_PAD src0_sel:WORD_0
	v_cvt_f32_i32_sdwa v82, sext(v102) dst_sel:DWORD dst_unused:UNUSED_PAD src0_sel:WORD_0
	v_cvt_f32_i32_sdwa v60, sext(v60) dst_sel:DWORD dst_unused:UNUSED_PAD src0_sel:WORD_0
	v_bfe_i32 v105, v50, 0, 8
	v_bfe_i32 v106, v54, 0, 8
	v_bfe_i32 v62, v62, 0, 8
	v_cvt_f32_i32_sdwa v48, sext(v89) dst_sel:DWORD dst_unused:UNUSED_PAD src0_sel:WORD_0
	v_cvt_f32_i32_sdwa v89, sext(v104) dst_sel:DWORD dst_unused:UNUSED_PAD src0_sel:WORD_0
	;; [unrolled: 1-line block ×13, first 2 shown]
	v_bfe_i32 v64, v64, 0, 8
	v_bfe_i32 v68, v68, 0, 8
	;; [unrolled: 1-line block ×4, first 2 shown]
	v_cvt_f32_i32_sdwa v54, sext(v97) dst_sel:DWORD dst_unused:UNUSED_PAD src0_sel:WORD_0
	v_bfe_i32 v65, v65, 0, 8
	v_bfe_i32 v69, v69, 0, 8
	;; [unrolled: 1-line block ×4, first 2 shown]
	v_cvt_f32_i32_sdwa v64, sext(v64) dst_sel:DWORD dst_unused:UNUSED_PAD src0_sel:WORD_0
	v_cvt_f32_i32_sdwa v68, sext(v68) dst_sel:DWORD dst_unused:UNUSED_PAD src0_sel:WORD_0
	v_cvt_f32_i32_sdwa v72, sext(v72) dst_sel:DWORD dst_unused:UNUSED_PAD src0_sel:WORD_0
	v_cvt_f32_i32_sdwa v76, sext(v76) dst_sel:DWORD dst_unused:UNUSED_PAD src0_sel:WORD_0
	v_bfe_i32 v66, v66, 0, 8
	v_bfe_i32 v70, v70, 0, 8
	;; [unrolled: 1-line block ×4, first 2 shown]
	v_cvt_f32_i32_sdwa v65, sext(v65) dst_sel:DWORD dst_unused:UNUSED_PAD src0_sel:WORD_0
	v_cvt_f32_i32_sdwa v69, sext(v69) dst_sel:DWORD dst_unused:UNUSED_PAD src0_sel:WORD_0
	;; [unrolled: 1-line block ×7, first 2 shown]
	s_waitcnt vmcnt(3)
	v_bfe_i32 v0, v56, 0, 8
	v_lshrrev_b32_e32 v1, 8, v56
	v_lshrrev_b32_e32 v2, 16, v56
	v_cvt_f32_i32_sdwa v103, sext(v0) dst_sel:DWORD dst_unused:UNUSED_PAD src0_sel:WORD_0
	v_bfe_i32 v1, v1, 0, 8
	v_lshrrev_b32_e32 v3, 24, v56
	s_waitcnt vmcnt(0)
	v_bfe_i32 v101, v96, 0, 8
	v_bfe_i32 v2, v2, 0, 8
	v_cvt_f32_i32_sdwa v1, sext(v1) dst_sel:DWORD dst_unused:UNUSED_PAD src0_sel:WORD_0
	v_bfe_i32 v3, v3, 0, 8
	v_cvt_f32_i32_sdwa v0, sext(v101) dst_sel:DWORD dst_unused:UNUSED_PAD src0_sel:WORD_0
	v_cvt_f32_i32_sdwa v101, sext(v2) dst_sel:DWORD dst_unused:UNUSED_PAD src0_sel:WORD_0
	v_bfe_i32 v4, v58, 0, 8
	v_lshrrev_b32_e32 v5, 8, v58
	v_cvt_f32_i32_sdwa v3, sext(v3) dst_sel:DWORD dst_unused:UNUSED_PAD src0_sel:WORD_0
	v_lshrrev_b32_e32 v6, 16, v58
	v_lshrrev_b32_e32 v7, 24, v58
	v_bfe_i32 v58, v95, 0, 8
	v_lshrrev_b32_e32 v97, 8, v95
	v_lshrrev_b32_e32 v102, 8, v96
	v_cvt_f32_i32_sdwa v104, sext(v4) dst_sel:DWORD dst_unused:UNUSED_PAD src0_sel:WORD_0
	v_bfe_i32 v4, v5, 0, 8
	v_fmac_f32_e32 v28, v47, v103
	v_fmac_f32_e32 v29, v99, v103
	;; [unrolled: 1-line block ×4, first 2 shown]
	v_bfe_i32 v5, v6, 0, 8
	v_bfe_i32 v6, v7, 0, 8
	;; [unrolled: 1-line block ×3, first 2 shown]
	v_cvt_f32_i32_sdwa v97, sext(v58) dst_sel:DWORD dst_unused:UNUSED_PAD src0_sel:WORD_0
	v_bfe_i32 v58, v102, 0, 8
	v_cvt_f32_i32_sdwa v102, sext(v4) dst_sel:DWORD dst_unused:UNUSED_PAD src0_sel:WORD_0
	v_fmac_f32_e32 v28, v81, v1
	v_fmac_f32_e32 v29, v82, v1
	;; [unrolled: 1-line block ×4, first 2 shown]
	v_cvt_f32_i32_sdwa v5, sext(v5) dst_sel:DWORD dst_unused:UNUSED_PAD src0_sel:WORD_0
	v_fmac_f32_e32 v28, v86, v101
	v_fmac_f32_e32 v29, v89, v101
	;; [unrolled: 1-line block ×4, first 2 shown]
	v_cvt_f32_i32_sdwa v78, sext(v78) dst_sel:DWORD dst_unused:UNUSED_PAD src0_sel:WORD_0
	v_cvt_f32_i32_sdwa v105, sext(v6) dst_sel:DWORD dst_unused:UNUSED_PAD src0_sel:WORD_0
	v_fmac_f32_e32 v28, v90, v3
	v_fmac_f32_e32 v29, v93, v3
	;; [unrolled: 1-line block ×4, first 2 shown]
	v_bfe_i32 v80, v80, 0, 8
	v_bfe_i32 v84, v84, 0, 8
	v_bfe_i32 v88, v88, 0, 8
	v_bfe_i32 v92, v92, 0, 8
	v_cvt_f32_i32_sdwa v79, sext(v79) dst_sel:DWORD dst_unused:UNUSED_PAD src0_sel:WORD_0
	v_cvt_f32_i32_sdwa v83, sext(v83) dst_sel:DWORD dst_unused:UNUSED_PAD src0_sel:WORD_0
	;; [unrolled: 1-line block ×4, first 2 shown]
	v_lshrrev_b32_e32 v56, 16, v95
	v_fmac_f32_e32 v28, v63, v104
	v_fmac_f32_e32 v29, v67, v104
	v_fmac_f32_e32 v26, v71, v104
	v_fmac_f32_e32 v27, v75, v104
	v_cvt_f32_i32_sdwa v80, sext(v80) dst_sel:DWORD dst_unused:UNUSED_PAD src0_sel:WORD_0
	v_cvt_f32_i32_sdwa v84, sext(v84) dst_sel:DWORD dst_unused:UNUSED_PAD src0_sel:WORD_0
	;; [unrolled: 1-line block ×4, first 2 shown]
	v_lshrrev_b32_e32 v95, 24, v95
	v_bfe_i32 v56, v56, 0, 8
	v_cvt_f32_i32_sdwa v7, sext(v7) dst_sel:DWORD dst_unused:UNUSED_PAD src0_sel:WORD_0
	v_fmac_f32_e32 v28, v64, v102
	v_fmac_f32_e32 v29, v68, v102
	;; [unrolled: 1-line block ×4, first 2 shown]
	v_bfe_i32 v95, v95, 0, 8
	v_cvt_f32_i32_sdwa v2, sext(v56) dst_sel:DWORD dst_unused:UNUSED_PAD src0_sel:WORD_0
	v_fmac_f32_e32 v28, v65, v5
	v_fmac_f32_e32 v29, v69, v5
	;; [unrolled: 1-line block ×4, first 2 shown]
	v_cvt_f32_i32_sdwa v4, sext(v95) dst_sel:DWORD dst_unused:UNUSED_PAD src0_sel:WORD_0
	v_fmac_f32_e32 v28, v66, v105
	v_fmac_f32_e32 v29, v70, v105
	;; [unrolled: 1-line block ×4, first 2 shown]
	v_cvt_f32_i32_sdwa v9, sext(v9) dst_sel:DWORD dst_unused:UNUSED_PAD src0_sel:WORD_0
	v_cvt_f32_i32_sdwa v8, sext(v8) dst_sel:DWORD dst_unused:UNUSED_PAD src0_sel:WORD_0
	;; [unrolled: 1-line block ×5, first 2 shown]
	v_lshrrev_b32_e32 v98, 16, v96
	v_fmac_f32_e32 v28, v79, v97
	v_fmac_f32_e32 v29, v83, v97
	;; [unrolled: 1-line block ×4, first 2 shown]
	v_lshrrev_b32_e32 v96, 24, v96
	v_bfe_i32 v98, v98, 0, 8
	v_cvt_f32_i32_sdwa v6, sext(v58) dst_sel:DWORD dst_unused:UNUSED_PAD src0_sel:WORD_0
	v_fmac_f32_e32 v28, v80, v7
	v_fmac_f32_e32 v29, v84, v7
	v_fmac_f32_e32 v26, v88, v7
	v_fmac_f32_e32 v27, v92, v7
	v_bfe_i32 v96, v96, 0, 8
	v_cvt_f32_i32_sdwa v56, sext(v98) dst_sel:DWORD dst_unused:UNUSED_PAD src0_sel:WORD_0
	v_pk_fma_f32 v[12:13], v[12:13], v[2:3], v[28:29] op_sel_hi:[1,0,1]
	v_pk_fma_f32 v[2:3], v[14:15], v[2:3], v[26:27] op_sel_hi:[1,0,1]
	v_cvt_f32_i32_sdwa v58, sext(v96) dst_sel:DWORD dst_unused:UNUSED_PAD src0_sel:WORD_0
	v_pk_fma_f32 v[12:13], v[38:39], v[4:5], v[12:13] op_sel_hi:[1,0,1]
	v_pk_fma_f32 v[2:3], v[48:49], v[4:5], v[2:3] op_sel_hi:[1,0,1]
	;; [unrolled: 1-line block ×10, first 2 shown]
	s_andn2_b64 exec, exec, s[14:15]
	s_cbranch_execnz .LBB85_23
; %bb.24:
	s_or_b64 exec, exec, s[14:15]
.LBB85_25:
	s_or_b64 exec, exec, s[10:11]
.LBB85_26:
	s_or_b64 exec, exec, s[8:9]
	s_cbranch_execz .LBB85_28
	s_branch .LBB85_39
.LBB85_27:
                                        ; implicit-def: $vgpr27
                                        ; implicit-def: $vgpr29
.LBB85_28:
	v_mov_b32_e32 v27, 0
	v_mov_b32_e32 v26, 0
	;; [unrolled: 1-line block ×4, first 2 shown]
	s_and_saveexec_b64 s[2:3], s[0:1]
	s_cbranch_execz .LBB85_38
; %bb.29:
	v_or_b32_e32 v0, 4, v18
	v_mov_b32_e32 v1, s19
	v_subrev_co_u32_e32 v0, vcc, s22, v0
	v_subb_co_u32_e32 v1, vcc, 0, v1, vcc
	v_add_co_u32_e32 v0, vcc, v0, v30
	v_addc_co_u32_e32 v1, vcc, v1, v31, vcc
	v_cmp_gt_i64_e32 vcc, v[0:1], v[22:23]
	v_cndmask_b32_e32 v1, v23, v1, vcc
	v_cndmask_b32_e32 v0, v22, v0, vcc
	v_mov_b32_e32 v4, s19
	v_sub_co_u32_e32 v5, vcc, s22, v18
	v_not_b32_e32 v3, v30
	v_subbrev_co_u32_e32 v4, vcc, 0, v4, vcc
	v_not_b32_e32 v2, v31
	v_add_co_u32_e32 v3, vcc, v5, v3
	v_addc_co_u32_e32 v2, vcc, v4, v2, vcc
	v_add_co_u32_e32 v0, vcc, v3, v0
	v_addc_co_u32_e32 v1, vcc, v2, v1, vcc
	v_lshrrev_b32_e32 v2, 2, v0
	v_add_u32_e32 v2, 1, v2
	v_and_b32_e32 v2, 3, v2
	v_mov_b32_e32 v28, 0
	v_cmp_ne_u32_e32 vcc, 0, v2
	v_mov_b32_e32 v29, v28
	v_mov_b32_e32 v26, v28
	v_mov_b32_e32 v27, v28
	s_and_saveexec_b64 s[0:1], vcc
	s_cbranch_execz .LBB85_33
; %bb.30:
	v_lshlrev_b64 v[4:5], 3, v[20:21]
	v_mov_b32_e32 v3, 0
	v_mov_b32_e32 v6, s13
	v_add_co_u32_e32 v4, vcc, s12, v4
	v_addc_co_u32_e32 v5, vcc, v6, v5, vcc
	v_lshlrev_b32_e32 v2, 1, v2
	s_mov_b64 s[8:9], 0
	v_mov_b32_e32 v6, s19
	v_mov_b32_e32 v7, s7
	;; [unrolled: 1-line block ×6, first 2 shown]
.LBB85_31:                              ; =>This Inner Loop Header: Depth=1
	global_load_dwordx2 v[12:13], v[4:5], off
	global_load_dwordx4 v[8:11], v[24:25], off
	s_waitcnt vmcnt(1)
	v_subrev_co_u32_e32 v12, vcc, s22, v12
	v_subb_co_u32_e32 v13, vcc, v13, v6, vcc
	v_lshlrev_b64 v[12:13], 2, v[12:13]
	v_add_co_u32_e32 v12, vcc, s6, v12
	v_addc_co_u32_e32 v13, vcc, v7, v13, vcc
	global_load_dword v19, v[12:13], off
	s_waitcnt vmcnt(1)
	v_lshrrev_b32_e32 v12, 8, v9
	v_lshrrev_b32_e32 v14, 16, v9
	;; [unrolled: 1-line block ×6, first 2 shown]
	v_add_co_u32_e32 v24, vcc, 64, v24
	v_bfe_i32 v13, v9, 0, 8
	v_lshrrev_b32_e32 v9, 24, v9
	v_bfe_i32 v30, v10, 0, 8
	v_lshrrev_b32_e32 v10, 24, v10
	;; [unrolled: 2-line block ×3, first 2 shown]
	v_lshrrev_b32_e32 v11, 24, v11
	v_lshrrev_b32_e32 v35, 8, v8
	;; [unrolled: 1-line block ×3, first 2 shown]
	v_bfe_i32 v39, v12, 0, 8
	v_bfe_i32 v40, v14, 0, 8
	;; [unrolled: 1-line block ×6, first 2 shown]
	v_addc_co_u32_e32 v25, vcc, 0, v25, vcc
	v_bfe_i32 v36, v8, 0, 8
	v_bfe_i32 v41, v9, 0, 8
	;; [unrolled: 1-line block ×5, first 2 shown]
	v_cvt_f32_i32_sdwa v10, sext(v13) dst_sel:DWORD dst_unused:UNUSED_PAD src0_sel:WORD_0
	v_cvt_f32_i32_sdwa v12, sext(v30) dst_sel:DWORD dst_unused:UNUSED_PAD src0_sel:WORD_0
	v_bfe_i32 v30, v37, 0, 8
	v_cvt_f32_i32_sdwa v11, sext(v39) dst_sel:DWORD dst_unused:UNUSED_PAD src0_sel:WORD_0
	v_cvt_f32_i32_sdwa v13, sext(v15) dst_sel:DWORD dst_unused:UNUSED_PAD src0_sel:WORD_0
	;; [unrolled: 1-line block ×5, first 2 shown]
	v_add_co_u32_e32 v20, vcc, 4, v20
	v_cvt_f32_i32_sdwa v8, sext(v36) dst_sel:DWORD dst_unused:UNUSED_PAD src0_sel:WORD_0
	v_cvt_f32_i32_sdwa v14, sext(v33) dst_sel:DWORD dst_unused:UNUSED_PAD src0_sel:WORD_0
	v_cvt_f32_i32_sdwa v9, sext(v9) dst_sel:DWORD dst_unused:UNUSED_PAD src0_sel:WORD_0
	v_cvt_f32_i32_sdwa v30, sext(v30) dst_sel:DWORD dst_unused:UNUSED_PAD src0_sel:WORD_0
	v_cvt_f32_i32_sdwa v33, sext(v41) dst_sel:DWORD dst_unused:UNUSED_PAD src0_sel:WORD_0
	v_addc_co_u32_e32 v21, vcc, 0, v21, vcc
	v_add_co_u32_e32 v4, vcc, 32, v4
	v_bfe_i32 v44, v34, 0, 8
	v_cvt_f32_i32_sdwa v35, sext(v43) dst_sel:DWORD dst_unused:UNUSED_PAD src0_sel:WORD_0
	v_cvt_f32_i32_sdwa v34, sext(v42) dst_sel:DWORD dst_unused:UNUSED_PAD src0_sel:WORD_0
	v_addc_co_u32_e32 v5, vcc, 0, v5, vcc
	v_cvt_f32_i32_sdwa v37, sext(v45) dst_sel:DWORD dst_unused:UNUSED_PAD src0_sel:WORD_0
	v_cvt_f32_i32_sdwa v36, sext(v44) dst_sel:DWORD dst_unused:UNUSED_PAD src0_sel:WORD_0
	v_add_co_u32_e32 v2, vcc, -2, v2
	v_addc_co_u32_e32 v3, vcc, -1, v3, vcc
	v_cmp_eq_u64_e32 vcc, 0, v[2:3]
	s_or_b64 s[8:9], vcc, s[8:9]
	s_waitcnt vmcnt(0)
	v_lshrrev_b32_e32 v38, 16, v19
	v_bfe_i32 v39, v19, 0, 8
	v_lshrrev_b32_e32 v40, 8, v19
	v_bfe_i32 v40, v40, 0, 8
	v_bfe_i32 v41, v38, 0, 8
	v_cvt_f32_i32_sdwa v38, sext(v39) dst_sel:DWORD dst_unused:UNUSED_PAD src0_sel:WORD_0
	v_lshrrev_b32_e32 v19, 24, v19
	v_cvt_f32_i32_sdwa v40, sext(v40) dst_sel:DWORD dst_unused:UNUSED_PAD src0_sel:WORD_0
	v_bfe_i32 v19, v19, 0, 8
	v_cvt_f32_i32_sdwa v42, sext(v41) dst_sel:DWORD dst_unused:UNUSED_PAD src0_sel:WORD_0
	v_cvt_f32_i32_sdwa v44, sext(v19) dst_sel:DWORD dst_unused:UNUSED_PAD src0_sel:WORD_0
	v_pk_fma_f32 v[8:9], v[8:9], v[38:39], v[28:29] op_sel_hi:[1,0,1]
	v_pk_fma_f32 v[26:27], v[30:31], v[38:39], v[26:27] op_sel_hi:[1,0,1]
	;; [unrolled: 1-line block ×8, first 2 shown]
	s_andn2_b64 exec, exec, s[8:9]
	s_cbranch_execnz .LBB85_31
; %bb.32:
	s_or_b64 exec, exec, s[8:9]
.LBB85_33:
	s_or_b64 exec, exec, s[0:1]
	v_cmp_lt_u64_e32 vcc, 11, v[0:1]
	s_and_saveexec_b64 s[8:9], vcc
	s_cbranch_execz .LBB85_37
; %bb.34:
	v_lshlrev_b64 v[0:1], 3, v[20:21]
	v_mov_b32_e32 v2, s13
	v_add_co_u32_e32 v0, vcc, s12, v0
	v_addc_co_u32_e32 v1, vcc, v1, v2, vcc
	v_add_co_u32_e32 v12, vcc, 64, v0
	v_addc_co_u32_e32 v13, vcc, 0, v1, vcc
	s_mov_b64 s[10:11], 0
	v_mov_b32_e32 v19, s19
	v_mov_b32_e32 v34, s7
.LBB85_35:                              ; =>This Inner Loop Header: Depth=1
	global_load_dwordx4 v[0:3], v[24:25], off
	global_load_dwordx4 v[4:7], v[24:25], off offset:64
	global_load_dwordx2 v[32:33], v[12:13], off offset:-64
	global_load_dwordx2 v[30:31], v[12:13], off offset:-32
	global_load_dwordx2 v[14:15], v[12:13], off
	global_load_dwordx2 v[40:41], v[12:13], off offset:32
	global_load_dwordx4 v[8:11], v[24:25], off offset:128
	global_load_dwordx4 v[36:39], v[24:25], off offset:192
	v_add_co_u32_e32 v20, vcc, 16, v20
	v_addc_co_u32_e32 v21, vcc, 0, v21, vcc
	v_add_co_u32_e32 v12, vcc, 0x80, v12
	v_addc_co_u32_e32 v13, vcc, 0, v13, vcc
	;; [unrolled: 2-line block ×3, first 2 shown]
	v_cmp_ge_i64_e64 s[0:1], v[20:21], v[22:23]
	s_or_b64 s[10:11], s[0:1], s[10:11]
	s_waitcnt vmcnt(7)
	v_lshrrev_b32_e32 v53, 8, v0
	v_bfe_i32 v54, v0, 0, 8
	v_lshrrev_b32_e32 v71, 16, v0
	v_lshrrev_b32_e32 v72, 24, v0
	s_waitcnt vmcnt(5)
	v_subrev_co_u32_e32 v0, vcc, s22, v32
	v_lshrrev_b32_e32 v35, 8, v1
	v_bfe_i32 v42, v1, 0, 8
	v_lshrrev_b32_e32 v43, 16, v1
	v_lshrrev_b32_e32 v44, 24, v1
	v_subb_co_u32_e32 v1, vcc, v33, v19, vcc
	v_lshrrev_b32_e32 v45, 8, v2
	v_bfe_i32 v46, v2, 0, 8
	v_lshrrev_b32_e32 v47, 16, v2
	v_lshrrev_b32_e32 v48, 24, v2
	s_waitcnt vmcnt(4)
	v_subrev_co_u32_e32 v2, vcc, s22, v30
	v_lshrrev_b32_e32 v49, 8, v3
	v_bfe_i32 v50, v3, 0, 8
	v_lshrrev_b32_e32 v51, 16, v3
	v_lshrrev_b32_e32 v52, 24, v3
	v_subb_co_u32_e32 v3, vcc, v31, v19, vcc
	;; [unrolled: 11-line block ×4, first 2 shown]
	v_lshlrev_b64 v[0:1], 2, v[0:1]
	v_add_co_u32_e32 v0, vcc, s6, v0
	v_lshlrev_b64 v[2:3], 2, v[2:3]
	v_addc_co_u32_e32 v1, vcc, v34, v1, vcc
	v_add_co_u32_e32 v2, vcc, s6, v2
	v_lshlrev_b64 v[4:5], 2, v[4:5]
	v_addc_co_u32_e32 v3, vcc, v34, v3, vcc
	v_add_co_u32_e32 v4, vcc, s6, v4
	s_waitcnt vmcnt(0)
	v_lshrrev_b32_e32 v84, 8, v37
	v_lshlrev_b64 v[6:7], 2, v[6:7]
	v_addc_co_u32_e32 v5, vcc, v34, v5, vcc
	v_lshrrev_b32_e32 v73, 8, v9
	v_bfe_i32 v74, v9, 0, 8
	v_lshrrev_b32_e32 v75, 16, v9
	v_lshrrev_b32_e32 v9, 24, v9
	v_bfe_i32 v85, v37, 0, 8
	v_bfe_i32 v88, v38, 0, 8
	;; [unrolled: 1-line block ×3, first 2 shown]
	v_lshrrev_b32_e32 v94, 8, v11
	v_bfe_i32 v95, v11, 0, 8
	v_lshrrev_b32_e32 v96, 16, v11
	v_lshrrev_b32_e32 v11, 24, v11
	v_bfe_i32 v53, v53, 0, 8
	v_bfe_i32 v35, v35, 0, 8
	v_bfe_i32 v84, v84, 0, 8
	v_add_co_u32_e32 v6, vcc, s6, v6
	v_lshrrev_b32_e32 v15, 8, v8
	v_bfe_i32 v31, v8, 0, 8
	v_lshrrev_b32_e32 v33, 16, v8
	v_lshrrev_b32_e32 v41, 24, v8
	v_cvt_f32_i32_sdwa v8, sext(v54) dst_sel:DWORD dst_unused:UNUSED_PAD src0_sel:WORD_0
	v_bfe_i32 v99, v52, 0, 8
	v_cvt_f32_i32_sdwa v32, sext(v56) dst_sel:DWORD dst_unused:UNUSED_PAD src0_sel:WORD_0
	v_bfe_i32 v113, v9, 0, 8
	v_cvt_f32_i32_sdwa v52, sext(v85) dst_sel:DWORD dst_unused:UNUSED_PAD src0_sel:WORD_0
	v_cvt_f32_i32_sdwa v54, sext(v88) dst_sel:DWORD dst_unused:UNUSED_PAD src0_sel:WORD_0
	;; [unrolled: 1-line block ×3, first 2 shown]
	v_bfe_i32 v85, v11, 0, 8
	v_cvt_f32_i32_sdwa v9, sext(v53) dst_sel:DWORD dst_unused:UNUSED_PAD src0_sel:WORD_0
	v_addc_co_u32_e32 v7, vcc, v34, v7, vcc
	v_cvt_f32_i32_sdwa v11, sext(v35) dst_sel:DWORD dst_unused:UNUSED_PAD src0_sel:WORD_0
	v_cvt_f32_i32_sdwa v53, sext(v84) dst_sel:DWORD dst_unused:UNUSED_PAD src0_sel:WORD_0
	global_load_dword v35, v[0:1], off
	global_load_dword v84, v[2:3], off
	global_load_dword v88, v[4:5], off
	global_load_dword v92, v[6:7], off
	v_lshrrev_b32_e32 v82, 16, v36
	v_lshrrev_b32_e32 v83, 24, v36
	;; [unrolled: 1-line block ×3, first 2 shown]
	v_bfe_i32 v82, v82, 0, 8
	v_bfe_i32 v83, v83, 0, 8
	v_lshrrev_b32_e32 v80, 8, v36
	v_lshrrev_b32_e32 v86, 16, v37
	;; [unrolled: 1-line block ×4, first 2 shown]
	v_bfe_i32 v71, v71, 0, 8
	v_bfe_i32 v72, v72, 0, 8
	;; [unrolled: 1-line block ×3, first 2 shown]
	v_cvt_f32_i32_sdwa v3, sext(v83) dst_sel:DWORD dst_unused:UNUSED_PAD src0_sel:WORD_0
	v_cvt_f32_i32_sdwa v2, sext(v82) dst_sel:DWORD dst_unused:UNUSED_PAD src0_sel:WORD_0
	v_bfe_i32 v81, v36, 0, 8
	v_lshrrev_b32_e32 v87, 8, v38
	v_lshrrev_b32_e32 v89, 16, v38
	v_bfe_i32 v43, v43, 0, 8
	v_bfe_i32 v97, v44, 0, 8
	;; [unrolled: 1-line block ×6, first 2 shown]
	v_cvt_f32_i32_sdwa v48, sext(v95) dst_sel:DWORD dst_unused:UNUSED_PAD src0_sel:WORD_0
	v_bfe_i32 v80, v80, 0, 8
	v_bfe_i32 v86, v86, 0, 8
	;; [unrolled: 1-line block ×4, first 2 shown]
	v_cvt_f32_i32_sdwa v59, sext(v72) dst_sel:DWORD dst_unused:UNUSED_PAD src0_sel:WORD_0
	v_cvt_f32_i32_sdwa v58, sext(v71) dst_sel:DWORD dst_unused:UNUSED_PAD src0_sel:WORD_0
	;; [unrolled: 1-line block ×4, first 2 shown]
	v_bfe_i32 v76, v10, 0, 8
	v_lshrrev_b32_e32 v77, 8, v10
	v_lshrrev_b32_e32 v78, 16, v10
	;; [unrolled: 1-line block ×4, first 2 shown]
	v_cvt_f32_i32_sdwa v10, sext(v42) dst_sel:DWORD dst_unused:UNUSED_PAD src0_sel:WORD_0
	v_bfe_i32 v45, v45, 0, 8
	v_bfe_i32 v47, v47, 0, 8
	;; [unrolled: 1-line block ×3, first 2 shown]
	v_cvt_f32_i32_sdwa v30, sext(v50) dst_sel:DWORD dst_unused:UNUSED_PAD src0_sel:WORD_0
	v_bfe_i32 v55, v55, 0, 8
	v_cvt_f32_i32_sdwa v36, sext(v60) dst_sel:DWORD dst_unused:UNUSED_PAD src0_sel:WORD_0
	v_bfe_i32 v102, v61, 0, 8
	v_bfe_i32 v105, v65, 0, 8
	v_cvt_f32_i32_sdwa v38, sext(v64) dst_sel:DWORD dst_unused:UNUSED_PAD src0_sel:WORD_0
	v_bfe_i32 v94, v94, 0, 8
	v_bfe_i32 v87, v87, 0, 8
	;; [unrolled: 1-line block ×3, first 2 shown]
	v_cvt_f32_i32_sdwa v50, sext(v81) dst_sel:DWORD dst_unused:UNUSED_PAD src0_sel:WORD_0
	v_bfe_i32 v81, v96, 0, 8
	v_cvt_f32_i32_sdwa v61, sext(v97) dst_sel:DWORD dst_unused:UNUSED_PAD src0_sel:WORD_0
	v_cvt_f32_i32_sdwa v60, sext(v43) dst_sel:DWORD dst_unused:UNUSED_PAD src0_sel:WORD_0
	;; [unrolled: 1-line block ×9, first 2 shown]
	v_bfe_i32 v57, v57, 0, 8
	v_bfe_i32 v103, v62, 0, 8
	;; [unrolled: 1-line block ×6, first 2 shown]
	v_cvt_f32_i32_sdwa v42, sext(v31) dst_sel:DWORD dst_unused:UNUSED_PAD src0_sel:WORD_0
	v_bfe_i32 v91, v91, 0, 8
	v_cvt_f32_i32_sdwa v15, sext(v45) dst_sel:DWORD dst_unused:UNUSED_PAD src0_sel:WORD_0
	v_cvt_f32_i32_sdwa v63, sext(v98) dst_sel:DWORD dst_unused:UNUSED_PAD src0_sel:WORD_0
	;; [unrolled: 1-line block ×7, first 2 shown]
	s_waitcnt vmcnt(3)
	v_bfe_i32 v82, v35, 0, 8
	v_lshrrev_b32_e32 v83, 8, v35
	v_lshrrev_b32_e32 v85, 16, v35
	s_waitcnt vmcnt(2)
	v_lshrrev_b32_e32 v90, 24, v84
	v_cvt_f32_i32_sdwa v82, sext(v82) dst_sel:DWORD dst_unused:UNUSED_PAD src0_sel:WORD_0
	v_bfe_i32 v83, v83, 0, 8
	v_lshrrev_b32_e32 v35, 24, v35
	v_bfe_i32 v86, v84, 0, 8
	s_waitcnt vmcnt(1)
	v_bfe_i32 v93, v88, 0, 8
	s_waitcnt vmcnt(0)
	v_lshrrev_b32_e32 v95, 16, v92
	v_bfe_i32 v96, v92, 0, 8
	v_lshrrev_b32_e32 v97, 8, v92
	v_lshrrev_b32_e32 v92, 24, v92
	v_bfe_i32 v85, v85, 0, 8
	v_bfe_i32 v99, v90, 0, 8
	v_cvt_f32_i32_sdwa v90, sext(v83) dst_sel:DWORD dst_unused:UNUSED_PAD src0_sel:WORD_0
	v_cvt_f32_i32_sdwa v6, sext(v89) dst_sel:DWORD dst_unused:UNUSED_PAD src0_sel:WORD_0
	v_lshrrev_b32_e32 v87, 8, v84
	v_lshrrev_b32_e32 v89, 16, v84
	;; [unrolled: 1-line block ×3, first 2 shown]
	v_bfe_i32 v35, v35, 0, 8
	v_cvt_f32_i32_sdwa v84, sext(v86) dst_sel:DWORD dst_unused:UNUSED_PAD src0_sel:WORD_0
	v_cvt_f32_i32_sdwa v86, sext(v93) dst_sel:DWORD dst_unused:UNUSED_PAD src0_sel:WORD_0
	v_bfe_i32 v93, v97, 0, 8
	v_bfe_i32 v97, v92, 0, 8
	v_cvt_f32_i32_sdwa v92, sext(v85) dst_sel:DWORD dst_unused:UNUSED_PAD src0_sel:WORD_0
	v_bfe_i32 v106, v66, 0, 8
	v_cvt_f32_i32_sdwa v66, sext(v57) dst_sel:DWORD dst_unused:UNUSED_PAD src0_sel:WORD_0
	v_cvt_f32_i32_sdwa v37, sext(v101) dst_sel:DWORD dst_unused:UNUSED_PAD src0_sel:WORD_0
	;; [unrolled: 1-line block ×3, first 2 shown]
	v_lshrrev_b32_e32 v91, 16, v88
	v_bfe_i32 v101, v94, 0, 8
	v_cvt_f32_i32_sdwa v94, sext(v35) dst_sel:DWORD dst_unused:UNUSED_PAD src0_sel:WORD_0
	v_bfe_i32 v107, v67, 0, 8
	v_cvt_f32_i32_sdwa v67, sext(v100) dst_sel:DWORD dst_unused:UNUSED_PAD src0_sel:WORD_0
	v_lshrrev_b32_e32 v88, 24, v88
	v_bfe_i32 v87, v87, 0, 8
	v_bfe_i32 v91, v91, 0, 8
	v_pk_fma_f32 v[8:9], v[8:9], v[82:83], v[28:29] op_sel_hi:[1,0,1]
	v_pk_fma_f32 v[26:27], v[58:59], v[82:83], v[26:27] op_sel_hi:[1,0,1]
	v_lshrrev_b32_e32 v39, 24, v39
	v_bfe_i32 v108, v69, 0, 8
	v_cvt_f32_i32_sdwa v40, sext(v68) dst_sel:DWORD dst_unused:UNUSED_PAD src0_sel:WORD_0
	v_cvt_f32_i32_sdwa v69, sext(v103) dst_sel:DWORD dst_unused:UNUSED_PAD src0_sel:WORD_0
	v_cvt_f32_i32_sdwa v68, sext(v102) dst_sel:DWORD dst_unused:UNUSED_PAD src0_sel:WORD_0
	v_bfe_i32 v89, v89, 0, 8
	v_bfe_i32 v103, v88, 0, 8
	v_cvt_f32_i32_sdwa v88, sext(v96) dst_sel:DWORD dst_unused:UNUSED_PAD src0_sel:WORD_0
	v_cvt_f32_i32_sdwa v96, sext(v87) dst_sel:DWORD dst_unused:UNUSED_PAD src0_sel:WORD_0
	v_pk_fma_f32 v[8:9], v[10:11], v[90:91], v[8:9] op_sel_hi:[1,0,1]
	v_pk_fma_f32 v[10:11], v[60:61], v[90:91], v[26:27] op_sel_hi:[1,0,1]
	v_bfe_i32 v73, v73, 0, 8
	v_bfe_i32 v115, v39, 0, 8
	v_cvt_f32_i32_sdwa v39, sext(v104) dst_sel:DWORD dst_unused:UNUSED_PAD src0_sel:WORD_0
	v_cvt_f32_i32_sdwa v43, sext(v70) dst_sel:DWORD dst_unused:UNUSED_PAD src0_sel:WORD_0
	v_cvt_f32_i32_sdwa v71, sext(v106) dst_sel:DWORD dst_unused:UNUSED_PAD src0_sel:WORD_0
	v_cvt_f32_i32_sdwa v70, sext(v105) dst_sel:DWORD dst_unused:UNUSED_PAD src0_sel:WORD_0
	v_bfe_i32 v95, v95, 0, 8
	v_cvt_f32_i32_sdwa v98, sext(v89) dst_sel:DWORD dst_unused:UNUSED_PAD src0_sel:WORD_0
	v_pk_fma_f32 v[8:9], v[14:15], v[92:93], v[8:9] op_sel_hi:[1,0,1]
	v_pk_fma_f32 v[10:11], v[62:63], v[92:93], v[10:11] op_sel_hi:[1,0,1]
	v_bfe_i32 v111, v41, 0, 8
	v_cvt_f32_i32_sdwa v41, sext(v107) dst_sel:DWORD dst_unused:UNUSED_PAD src0_sel:WORD_0
	v_cvt_f32_i32_sdwa v45, sext(v73) dst_sel:DWORD dst_unused:UNUSED_PAD src0_sel:WORD_0
	;; [unrolled: 1-line block ×5, first 2 shown]
	v_pk_fma_f32 v[8:9], v[30:31], v[94:95], v[8:9] op_sel_hi:[1,0,1]
	v_pk_fma_f32 v[10:11], v[64:65], v[94:95], v[10:11] op_sel_hi:[1,0,1]
	v_bfe_i32 v112, v75, 0, 8
	v_cvt_f32_i32_sdwa v44, sext(v74) dst_sel:DWORD dst_unused:UNUSED_PAD src0_sel:WORD_0
	v_cvt_f32_i32_sdwa v75, sext(v111) dst_sel:DWORD dst_unused:UNUSED_PAD src0_sel:WORD_0
	;; [unrolled: 1-line block ×3, first 2 shown]
	v_pk_fma_f32 v[8:9], v[32:33], v[84:85], v[8:9] op_sel_hi:[1,0,1]
	v_pk_fma_f32 v[10:11], v[66:67], v[84:85], v[10:11] op_sel_hi:[1,0,1]
	v_bfe_i32 v114, v77, 0, 8
	v_bfe_i32 v78, v78, 0, 8
	;; [unrolled: 1-line block ×3, first 2 shown]
	v_cvt_f32_i32_sdwa v46, sext(v76) dst_sel:DWORD dst_unused:UNUSED_PAD src0_sel:WORD_0
	v_cvt_f32_i32_sdwa v77, sext(v113) dst_sel:DWORD dst_unused:UNUSED_PAD src0_sel:WORD_0
	;; [unrolled: 1-line block ×4, first 2 shown]
	v_pk_fma_f32 v[8:9], v[36:37], v[96:97], v[8:9] op_sel_hi:[1,0,1]
	v_pk_fma_f32 v[10:11], v[68:69], v[96:97], v[10:11] op_sel_hi:[1,0,1]
	v_cvt_f32_i32_sdwa v47, sext(v114) dst_sel:DWORD dst_unused:UNUSED_PAD src0_sel:WORD_0
	v_cvt_f32_i32_sdwa v78, sext(v78) dst_sel:DWORD dst_unused:UNUSED_PAD src0_sel:WORD_0
	;; [unrolled: 1-line block ×4, first 2 shown]
	v_pk_fma_f32 v[8:9], v[38:39], v[98:99], v[8:9] op_sel_hi:[1,0,1]
	v_pk_fma_f32 v[10:11], v[70:71], v[98:99], v[10:11] op_sel_hi:[1,0,1]
	v_cvt_f32_i32_sdwa v0, sext(v81) dst_sel:DWORD dst_unused:UNUSED_PAD src0_sel:WORD_0
	v_cvt_f32_i32_sdwa v106, sext(v103) dst_sel:DWORD dst_unused:UNUSED_PAD src0_sel:WORD_0
	v_pk_fma_f32 v[8:9], v[40:41], v[100:101], v[8:9] op_sel_hi:[1,0,1]
	v_pk_fma_f32 v[10:11], v[72:73], v[100:101], v[10:11] op_sel_hi:[1,0,1]
	;; [unrolled: 1-line block ×4, first 2 shown]
	v_cvt_f32_i32_sdwa v108, sext(v93) dst_sel:DWORD dst_unused:UNUSED_PAD src0_sel:WORD_0
	v_pk_fma_f32 v[8:9], v[44:45], v[102:103], v[8:9] op_sel_hi:[1,0,1]
	v_pk_fma_f32 v[10:11], v[76:77], v[102:103], v[10:11] op_sel_hi:[1,0,1]
	v_cvt_f32_i32_sdwa v110, sext(v95) dst_sel:DWORD dst_unused:UNUSED_PAD src0_sel:WORD_0
	v_pk_fma_f32 v[8:9], v[46:47], v[104:105], v[8:9] op_sel_hi:[1,0,1]
	v_pk_fma_f32 v[10:11], v[78:79], v[104:105], v[10:11] op_sel_hi:[1,0,1]
	v_cvt_f32_i32_sdwa v81, sext(v115) dst_sel:DWORD dst_unused:UNUSED_PAD src0_sel:WORD_0
	v_cvt_f32_i32_sdwa v112, sext(v97) dst_sel:DWORD dst_unused:UNUSED_PAD src0_sel:WORD_0
	v_pk_fma_f32 v[8:9], v[48:49], v[106:107], v[8:9] op_sel_hi:[1,0,1]
	v_pk_fma_f32 v[0:1], v[0:1], v[106:107], v[10:11] op_sel_hi:[1,0,1]
	;; [unrolled: 1-line block ×10, first 2 shown]
	s_andn2_b64 exec, exec, s[10:11]
	s_cbranch_execnz .LBB85_35
; %bb.36:
	s_or_b64 exec, exec, s[10:11]
.LBB85_37:
	s_or_b64 exec, exec, s[8:9]
.LBB85_38:
	s_or_b64 exec, exec, s[2:3]
.LBB85_39:
	v_mov_b32_dpp v0, v28 row_shr:1 row_mask:0xf bank_mask:0xf
	v_mov_b32_dpp v1, v29 row_shr:1 row_mask:0xf bank_mask:0xf
	;; [unrolled: 1-line block ×4, first 2 shown]
	v_pk_add_f32 v[0:1], v[28:29], v[0:1]
	v_pk_add_f32 v[4:5], v[26:27], v[4:5]
	v_cmp_eq_u32_e32 vcc, 3, v18
	v_mov_b32_dpp v2, v0 row_shr:2 row_mask:0xf bank_mask:0xf
	v_mov_b32_dpp v3, v1 row_shr:2 row_mask:0xf bank_mask:0xf
	;; [unrolled: 1-line block ×4, first 2 shown]
	s_and_b64 exec, exec, vcc
	s_cbranch_execz .LBB85_10
; %bb.40:
	s_load_dwordx2 s[0:1], s[4:5], 0x58
	v_cmp_eq_f32_e64 s[2:3], s20, 0
	v_pk_add_f32 v[2:3], v[0:1], v[2:3]
	v_pk_add_f32 v[0:1], v[4:5], v[6:7]
	s_and_b64 vcc, exec, s[2:3]
	v_lshlrev_b64 v[4:5], 4, v[16:17]
	s_cbranch_vccz .LBB85_42
; %bb.41:
	s_waitcnt lgkmcnt(0)
	v_mov_b32_e32 v6, s1
	v_add_co_u32_e32 v10, vcc, s0, v4
	v_addc_co_u32_e32 v11, vcc, v6, v5, vcc
	v_pk_mul_f32 v[6:7], s[16:17], v[2:3] op_sel_hi:[0,1]
	v_pk_mul_f32 v[8:9], s[16:17], v[0:1] op_sel_hi:[0,1]
	global_store_dwordx4 v[10:11], v[6:9], off
	s_cbranch_execnz .LBB85_10
	s_branch .LBB85_43
.LBB85_42:
.LBB85_43:
	s_waitcnt lgkmcnt(0)
	v_mov_b32_e32 v6, s1
	v_add_co_u32_e32 v8, vcc, s0, v4
	v_addc_co_u32_e32 v9, vcc, v6, v5, vcc
	global_load_dwordx4 v[4:7], v[8:9], off
	v_pk_mul_f32 v[2:3], s[16:17], v[2:3] op_sel_hi:[0,1]
	v_pk_mul_f32 v[10:11], s[16:17], v[0:1] op_sel_hi:[0,1]
	s_waitcnt vmcnt(0)
	v_pk_fma_f32 v[0:1], s[20:21], v[4:5], v[2:3] op_sel_hi:[0,1,1]
	v_pk_fma_f32 v[2:3], s[20:21], v[6:7], v[10:11] op_sel_hi:[0,1,1]
	global_store_dwordx4 v[8:9], v[0:3], off
	s_endpgm
	.section	.rodata,"a",@progbits
	.p2align	6, 0x0
	.amdhsa_kernel _ZN9rocsparseL18bsrxmvn_4x4_kernelILj128ELj4EfllaafEEvT3_20rocsparse_direction_NS_24const_host_device_scalarIT1_EES1_PKS1_PKT2_SA_S7_PKT4_PKT5_S5_PT6_21rocsparse_index_base_b
		.amdhsa_group_segment_fixed_size 0
		.amdhsa_private_segment_fixed_size 0
		.amdhsa_kernarg_size 104
		.amdhsa_user_sgpr_count 6
		.amdhsa_user_sgpr_private_segment_buffer 1
		.amdhsa_user_sgpr_dispatch_ptr 0
		.amdhsa_user_sgpr_queue_ptr 0
		.amdhsa_user_sgpr_kernarg_segment_ptr 1
		.amdhsa_user_sgpr_dispatch_id 0
		.amdhsa_user_sgpr_flat_scratch_init 0
		.amdhsa_user_sgpr_kernarg_preload_length 0
		.amdhsa_user_sgpr_kernarg_preload_offset 0
		.amdhsa_user_sgpr_private_segment_size 0
		.amdhsa_uses_dynamic_stack 0
		.amdhsa_system_sgpr_private_segment_wavefront_offset 0
		.amdhsa_system_sgpr_workgroup_id_x 1
		.amdhsa_system_sgpr_workgroup_id_y 0
		.amdhsa_system_sgpr_workgroup_id_z 0
		.amdhsa_system_sgpr_workgroup_info 0
		.amdhsa_system_vgpr_workitem_id 0
		.amdhsa_next_free_vgpr 116
		.amdhsa_next_free_sgpr 24
		.amdhsa_accum_offset 116
		.amdhsa_reserve_vcc 1
		.amdhsa_reserve_flat_scratch 0
		.amdhsa_float_round_mode_32 0
		.amdhsa_float_round_mode_16_64 0
		.amdhsa_float_denorm_mode_32 3
		.amdhsa_float_denorm_mode_16_64 3
		.amdhsa_dx10_clamp 1
		.amdhsa_ieee_mode 1
		.amdhsa_fp16_overflow 0
		.amdhsa_tg_split 0
		.amdhsa_exception_fp_ieee_invalid_op 0
		.amdhsa_exception_fp_denorm_src 0
		.amdhsa_exception_fp_ieee_div_zero 0
		.amdhsa_exception_fp_ieee_overflow 0
		.amdhsa_exception_fp_ieee_underflow 0
		.amdhsa_exception_fp_ieee_inexact 0
		.amdhsa_exception_int_div_zero 0
	.end_amdhsa_kernel
	.section	.text._ZN9rocsparseL18bsrxmvn_4x4_kernelILj128ELj4EfllaafEEvT3_20rocsparse_direction_NS_24const_host_device_scalarIT1_EES1_PKS1_PKT2_SA_S7_PKT4_PKT5_S5_PT6_21rocsparse_index_base_b,"axG",@progbits,_ZN9rocsparseL18bsrxmvn_4x4_kernelILj128ELj4EfllaafEEvT3_20rocsparse_direction_NS_24const_host_device_scalarIT1_EES1_PKS1_PKT2_SA_S7_PKT4_PKT5_S5_PT6_21rocsparse_index_base_b,comdat
.Lfunc_end85:
	.size	_ZN9rocsparseL18bsrxmvn_4x4_kernelILj128ELj4EfllaafEEvT3_20rocsparse_direction_NS_24const_host_device_scalarIT1_EES1_PKS1_PKT2_SA_S7_PKT4_PKT5_S5_PT6_21rocsparse_index_base_b, .Lfunc_end85-_ZN9rocsparseL18bsrxmvn_4x4_kernelILj128ELj4EfllaafEEvT3_20rocsparse_direction_NS_24const_host_device_scalarIT1_EES1_PKS1_PKT2_SA_S7_PKT4_PKT5_S5_PT6_21rocsparse_index_base_b
                                        ; -- End function
	.section	.AMDGPU.csdata,"",@progbits
; Kernel info:
; codeLenInByte = 6504
; NumSgprs: 28
; NumVgprs: 116
; NumAgprs: 0
; TotalNumVgprs: 116
; ScratchSize: 0
; MemoryBound: 0
; FloatMode: 240
; IeeeMode: 1
; LDSByteSize: 0 bytes/workgroup (compile time only)
; SGPRBlocks: 3
; VGPRBlocks: 14
; NumSGPRsForWavesPerEU: 28
; NumVGPRsForWavesPerEU: 116
; AccumOffset: 116
; Occupancy: 4
; WaveLimiterHint : 1
; COMPUTE_PGM_RSRC2:SCRATCH_EN: 0
; COMPUTE_PGM_RSRC2:USER_SGPR: 6
; COMPUTE_PGM_RSRC2:TRAP_HANDLER: 0
; COMPUTE_PGM_RSRC2:TGID_X_EN: 1
; COMPUTE_PGM_RSRC2:TGID_Y_EN: 0
; COMPUTE_PGM_RSRC2:TGID_Z_EN: 0
; COMPUTE_PGM_RSRC2:TIDIG_COMP_CNT: 0
; COMPUTE_PGM_RSRC3_GFX90A:ACCUM_OFFSET: 28
; COMPUTE_PGM_RSRC3_GFX90A:TG_SPLIT: 0
	.section	.text._ZN9rocsparseL18bsrxmvn_4x4_kernelILj128ELj8EfllaafEEvT3_20rocsparse_direction_NS_24const_host_device_scalarIT1_EES1_PKS1_PKT2_SA_S7_PKT4_PKT5_S5_PT6_21rocsparse_index_base_b,"axG",@progbits,_ZN9rocsparseL18bsrxmvn_4x4_kernelILj128ELj8EfllaafEEvT3_20rocsparse_direction_NS_24const_host_device_scalarIT1_EES1_PKS1_PKT2_SA_S7_PKT4_PKT5_S5_PT6_21rocsparse_index_base_b,comdat
	.globl	_ZN9rocsparseL18bsrxmvn_4x4_kernelILj128ELj8EfllaafEEvT3_20rocsparse_direction_NS_24const_host_device_scalarIT1_EES1_PKS1_PKT2_SA_S7_PKT4_PKT5_S5_PT6_21rocsparse_index_base_b ; -- Begin function _ZN9rocsparseL18bsrxmvn_4x4_kernelILj128ELj8EfllaafEEvT3_20rocsparse_direction_NS_24const_host_device_scalarIT1_EES1_PKS1_PKT2_SA_S7_PKT4_PKT5_S5_PT6_21rocsparse_index_base_b
	.p2align	8
	.type	_ZN9rocsparseL18bsrxmvn_4x4_kernelILj128ELj8EfllaafEEvT3_20rocsparse_direction_NS_24const_host_device_scalarIT1_EES1_PKS1_PKT2_SA_S7_PKT4_PKT5_S5_PT6_21rocsparse_index_base_b,@function
_ZN9rocsparseL18bsrxmvn_4x4_kernelILj128ELj8EfllaafEEvT3_20rocsparse_direction_NS_24const_host_device_scalarIT1_EES1_PKS1_PKT2_SA_S7_PKT4_PKT5_S5_PT6_21rocsparse_index_base_b: ; @_ZN9rocsparseL18bsrxmvn_4x4_kernelILj128ELj8EfllaafEEvT3_20rocsparse_direction_NS_24const_host_device_scalarIT1_EES1_PKS1_PKT2_SA_S7_PKT4_PKT5_S5_PT6_21rocsparse_index_base_b
; %bb.0:
	s_load_dwordx2 s[22:23], s[4:5], 0x60
	s_load_dwordx4 s[16:19], s[4:5], 0x10
	s_load_dwordx2 s[20:21], s[4:5], 0x50
	s_waitcnt lgkmcnt(0)
	s_bitcmp1_b32 s23, 0
	s_cselect_b64 s[2:3], -1, 0
	s_xor_b64 s[0:1], s[2:3], -1
	s_and_b64 vcc, exec, s[2:3]
	s_cbranch_vccnz .LBB86_2
; %bb.1:
	s_load_dword s16, s[16:17], 0x0
.LBB86_2:
	s_andn2_b64 vcc, exec, s[0:1]
	s_cbranch_vccnz .LBB86_4
; %bb.3:
	s_load_dword s20, s[20:21], 0x0
.LBB86_4:
	s_waitcnt lgkmcnt(0)
	v_cmp_neq_f32_e64 s[0:1], s16, 0
	v_cmp_neq_f32_e64 s[2:3], s20, 1.0
	s_or_b64 s[0:1], s[0:1], s[2:3]
	s_andn2_b64 vcc, exec, s[0:1]
	s_cbranch_vccnz .LBB86_10
; %bb.5:
	s_load_dwordx2 s[2:3], s[4:5], 0x20
	v_lshrrev_b32_e32 v1, 3, v0
	v_lshl_or_b32 v2, s6, 4, v1
	v_mov_b32_e32 v3, 0
	s_mov_b64 s[0:1], 0
	s_waitcnt lgkmcnt(0)
	s_cmp_lg_u64 s[2:3], 0
	s_cbranch_scc0 .LBB86_11
; %bb.6:
	v_cmp_gt_i64_e32 vcc, s[18:19], v[2:3]
                                        ; implicit-def: $vgpr12_vgpr13
	s_and_saveexec_b64 s[6:7], vcc
	s_xor_b64 s[6:7], exec, s[6:7]
                                        ; implicit-def: $sgpr18_sgpr19
	s_cbranch_execz .LBB86_8
; %bb.7:
	v_lshlrev_b64 v[4:5], 3, v[2:3]
	v_mov_b32_e32 v1, s3
	v_add_co_u32_e32 v4, vcc, s2, v4
	v_addc_co_u32_e32 v5, vcc, v1, v5, vcc
	global_load_dwordx2 v[4:5], v[4:5], off
	s_mov_b64 s[0:1], exec
	s_mov_b32 s19, 0
	s_waitcnt vmcnt(0)
	v_subrev_co_u32_e32 v12, vcc, s22, v4
	v_subbrev_co_u32_e32 v13, vcc, 0, v5, vcc
.LBB86_8:
	s_or_b64 exec, exec, s[6:7]
.LBB86_9:
	s_and_saveexec_b64 s[2:3], s[0:1]
	s_cbranch_execnz .LBB86_15
.LBB86_10:
	s_endpgm
.LBB86_11:
                                        ; implicit-def: $vgpr12_vgpr13
                                        ; implicit-def: $sgpr18_sgpr19
	s_cbranch_execz .LBB86_9
; %bb.12:
	s_load_dwordx2 s[2:3], s[4:5], 0x0
                                        ; implicit-def: $vgpr12_vgpr13
	s_waitcnt lgkmcnt(0)
	v_cmp_gt_i64_e32 vcc, s[2:3], v[2:3]
	s_and_saveexec_b64 s[2:3], vcc
                                        ; implicit-def: $sgpr18_sgpr19
; %bb.13:
	s_mov_b32 s19, 0
	s_or_b64 s[0:1], s[0:1], exec
	v_pk_mov_b32 v[12:13], v[2:3], v[2:3] op_sel:[0,1]
; %bb.14:
	s_or_b64 exec, exec, s[2:3]
	s_and_saveexec_b64 s[2:3], s[0:1]
	s_cbranch_execz .LBB86_10
.LBB86_15:
	s_load_dwordx8 s[8:15], s[4:5], 0x28
	v_lshlrev_b64 v[2:3], 3, v[12:13]
	v_and_b32_e32 v14, 7, v0
	v_mov_b32_e32 v0, s19
	v_mov_b32_e32 v23, 0
	s_waitcnt lgkmcnt(0)
	v_mov_b32_e32 v1, s9
	v_add_co_u32_e32 v4, vcc, s8, v2
	v_addc_co_u32_e32 v5, vcc, v1, v3, vcc
	v_add_co_u32_e32 v1, vcc, 8, v4
	global_load_dwordx2 v[26:27], v[4:5], off
	v_addc_co_u32_e32 v4, vcc, 0, v5, vcc
	v_mov_b32_e32 v5, s11
	v_add_co_u32_e32 v2, vcc, s10, v2
	s_cmp_eq_u64 s[10:11], 0
	v_addc_co_u32_e32 v3, vcc, v5, v3, vcc
	s_cselect_b64 vcc, -1, 0
	v_cndmask_b32_e32 v3, v3, v4, vcc
	v_cndmask_b32_e32 v2, v2, v1, vcc
	global_load_dwordx2 v[2:3], v[2:3], off
	s_load_dwordx2 s[6:7], s[4:5], 0x48
	s_load_dword s0, s[4:5], 0x8
	v_mov_b32_e32 v4, s15
	s_waitcnt lgkmcnt(0)
	s_cmp_eq_u32 s0, 1
	s_waitcnt vmcnt(1)
	v_subrev_co_u32_e32 v1, vcc, s22, v26
	v_subb_co_u32_e32 v5, vcc, v27, v0, vcc
	v_add_co_u32_e32 v16, vcc, v1, v14
	v_addc_co_u32_e32 v17, vcc, 0, v5, vcc
	s_waitcnt vmcnt(0)
	v_subrev_co_u32_e32 v18, vcc, s22, v2
	v_subb_co_u32_e32 v19, vcc, v3, v0, vcc
	v_lshlrev_b64 v[0:1], 4, v[16:17]
	v_add_co_u32_e32 v20, vcc, s14, v0
	v_addc_co_u32_e32 v21, vcc, v4, v1, vcc
	v_cmp_lt_i64_e64 s[0:1], v[16:17], v[18:19]
	s_cbranch_scc1 .LBB86_27
; %bb.16:
	v_mov_b32_e32 v22, 0
	v_mov_b32_e32 v25, 0
	;; [unrolled: 1-line block ×3, first 2 shown]
	s_and_saveexec_b64 s[8:9], s[0:1]
	s_cbranch_execz .LBB86_26
; %bb.17:
	v_or_b32_e32 v0, 8, v14
	v_mov_b32_e32 v1, s19
	v_subrev_co_u32_e32 v0, vcc, s22, v0
	v_subb_co_u32_e32 v1, vcc, 0, v1, vcc
	v_add_co_u32_e32 v0, vcc, v0, v26
	v_addc_co_u32_e32 v1, vcc, v1, v27, vcc
	v_cmp_gt_i64_e32 vcc, v[0:1], v[18:19]
	v_cndmask_b32_e32 v1, v19, v1, vcc
	v_cndmask_b32_e32 v0, v18, v0, vcc
	v_mov_b32_e32 v4, s19
	v_sub_co_u32_e32 v5, vcc, s22, v14
	v_not_b32_e32 v3, v26
	v_subbrev_co_u32_e32 v4, vcc, 0, v4, vcc
	v_not_b32_e32 v2, v27
	v_add_co_u32_e32 v3, vcc, v5, v3
	v_addc_co_u32_e32 v2, vcc, v4, v2, vcc
	v_add_co_u32_e32 v0, vcc, v3, v0
	v_addc_co_u32_e32 v1, vcc, v2, v1, vcc
	v_lshrrev_b32_e32 v2, 3, v0
	v_add_u32_e32 v2, 1, v2
	v_and_b32_e32 v2, 3, v2
	v_mov_b32_e32 v24, 0
	v_cmp_ne_u32_e32 vcc, 0, v2
	v_mov_b32_e32 v25, v24
	v_mov_b32_e32 v22, v24
	;; [unrolled: 1-line block ×3, first 2 shown]
	v_pk_mov_b32 v[28:29], v[16:17], v[16:17] op_sel:[0,1]
	v_pk_mov_b32 v[30:31], v[20:21], v[20:21] op_sel:[0,1]
	s_and_saveexec_b64 s[2:3], vcc
	s_cbranch_execz .LBB86_21
; %bb.18:
	v_lshlrev_b64 v[4:5], 3, v[16:17]
	v_mov_b32_e32 v3, 0
	v_mov_b32_e32 v6, s13
	v_add_co_u32_e32 v4, vcc, s12, v4
	v_addc_co_u32_e32 v5, vcc, v6, v5, vcc
	v_lshlrev_b32_e32 v2, 1, v2
	s_mov_b64 s[10:11], 0
	v_mov_b32_e32 v6, s19
	v_mov_b32_e32 v7, s7
	s_movk_i32 s14, 0x80
	v_pk_mov_b32 v[30:31], v[20:21], v[20:21] op_sel:[0,1]
	v_pk_mov_b32 v[28:29], v[16:17], v[16:17] op_sel:[0,1]
	v_mov_b32_e32 v23, v3
	v_mov_b32_e32 v22, v3
	;; [unrolled: 1-line block ×4, first 2 shown]
.LBB86_19:                              ; =>This Inner Loop Header: Depth=1
	global_load_dwordx2 v[32:33], v[4:5], off
	global_load_dwordx4 v[8:11], v[30:31], off
	s_waitcnt vmcnt(1)
	v_subrev_co_u32_e32 v32, vcc, s22, v32
	v_subb_co_u32_e32 v33, vcc, v33, v6, vcc
	v_lshlrev_b64 v[32:33], 2, v[32:33]
	v_add_co_u32_e32 v32, vcc, s6, v32
	v_addc_co_u32_e32 v33, vcc, v7, v33, vcc
	global_load_dword v15, v[32:33], off
	s_waitcnt vmcnt(1)
	v_bfe_i32 v32, v8, 0, 8
	v_lshrrev_b32_e32 v33, 8, v8
	v_lshrrev_b32_e32 v34, 16, v8
	;; [unrolled: 1-line block ×6, first 2 shown]
	v_add_co_u32_e32 v30, vcc, s14, v30
	v_bfe_i32 v35, v9, 0, 8
	v_lshrrev_b32_e32 v9, 24, v9
	v_bfe_i32 v38, v10, 0, 8
	v_lshrrev_b32_e32 v40, 16, v10
	v_lshrrev_b32_e32 v10, 24, v10
	;; [unrolled: 1-line block ×4, first 2 shown]
	v_bfe_i32 v44, v33, 0, 8
	v_bfe_i32 v45, v8, 0, 8
	;; [unrolled: 1-line block ×5, first 2 shown]
	v_addc_co_u32_e32 v31, vcc, 0, v31, vcc
	v_bfe_i32 v41, v11, 0, 8
	v_lshrrev_b32_e32 v11, 24, v11
	v_bfe_i32 v37, v9, 0, 8
	v_bfe_i32 v47, v10, 0, 8
	;; [unrolled: 1-line block ×4, first 2 shown]
	v_cvt_f32_i32_sdwa v8, sext(v32) dst_sel:DWORD dst_unused:UNUSED_PAD src0_sel:WORD_0
	v_cvt_f32_i32_sdwa v9, sext(v35) dst_sel:DWORD dst_unused:UNUSED_PAD src0_sel:WORD_0
	;; [unrolled: 1-line block ×7, first 2 shown]
	v_add_co_u32_e32 v28, vcc, 8, v28
	v_bfe_i32 v43, v11, 0, 8
	v_cvt_f32_i32_sdwa v11, sext(v41) dst_sel:DWORD dst_unused:UNUSED_PAD src0_sel:WORD_0
	v_cvt_f32_i32_sdwa v41, sext(v42) dst_sel:DWORD dst_unused:UNUSED_PAD src0_sel:WORD_0
	;; [unrolled: 1-line block ×3, first 2 shown]
	v_addc_co_u32_e32 v29, vcc, 0, v29, vcc
	v_bfe_i32 v34, v34, 0, 8
	v_bfe_i32 v40, v40, 0, 8
	v_cvt_f32_i32_sdwa v33, sext(v33) dst_sel:DWORD dst_unused:UNUSED_PAD src0_sel:WORD_0
	v_cvt_f32_i32_sdwa v39, sext(v39) dst_sel:DWORD dst_unused:UNUSED_PAD src0_sel:WORD_0
	v_add_co_u32_e32 v4, vcc, 64, v4
	v_cvt_f32_i32_sdwa v34, sext(v34) dst_sel:DWORD dst_unused:UNUSED_PAD src0_sel:WORD_0
	v_cvt_f32_i32_sdwa v40, sext(v40) dst_sel:DWORD dst_unused:UNUSED_PAD src0_sel:WORD_0
	v_addc_co_u32_e32 v5, vcc, 0, v5, vcc
	v_cvt_f32_i32_sdwa v37, sext(v37) dst_sel:DWORD dst_unused:UNUSED_PAD src0_sel:WORD_0
	v_cvt_f32_i32_sdwa v43, sext(v43) dst_sel:DWORD dst_unused:UNUSED_PAD src0_sel:WORD_0
	v_add_co_u32_e32 v2, vcc, -2, v2
	v_addc_co_u32_e32 v3, vcc, -1, v3, vcc
	v_cmp_eq_u64_e32 vcc, 0, v[2:3]
	s_or_b64 s[10:11], vcc, s[10:11]
	s_waitcnt vmcnt(0)
	v_lshrrev_b32_e32 v44, 16, v15
	v_bfe_i32 v45, v15, 0, 8
	v_lshrrev_b32_e32 v46, 8, v15
	v_bfe_i32 v46, v46, 0, 8
	v_bfe_i32 v47, v44, 0, 8
	v_cvt_f32_i32_sdwa v44, sext(v45) dst_sel:DWORD dst_unused:UNUSED_PAD src0_sel:WORD_0
	v_lshrrev_b32_e32 v15, 24, v15
	v_cvt_f32_i32_sdwa v46, sext(v46) dst_sel:DWORD dst_unused:UNUSED_PAD src0_sel:WORD_0
	v_bfe_i32 v15, v15, 0, 8
	v_cvt_f32_i32_sdwa v48, sext(v47) dst_sel:DWORD dst_unused:UNUSED_PAD src0_sel:WORD_0
	v_cvt_f32_i32_sdwa v50, sext(v15) dst_sel:DWORD dst_unused:UNUSED_PAD src0_sel:WORD_0
	v_pk_fma_f32 v[8:9], v[8:9], v[44:45], v[24:25] op_sel_hi:[1,0,1]
	v_pk_fma_f32 v[10:11], v[10:11], v[44:45], v[22:23] op_sel_hi:[1,0,1]
	;; [unrolled: 1-line block ×8, first 2 shown]
	s_andn2_b64 exec, exec, s[10:11]
	s_cbranch_execnz .LBB86_19
; %bb.20:
	s_or_b64 exec, exec, s[10:11]
.LBB86_21:
	s_or_b64 exec, exec, s[2:3]
	v_cmp_lt_u64_e32 vcc, 23, v[0:1]
	s_and_saveexec_b64 s[10:11], vcc
	s_cbranch_execz .LBB86_25
; %bb.22:
	v_lshlrev_b64 v[0:1], 3, v[28:29]
	v_mov_b32_e32 v2, s13
	v_add_co_u32_e32 v0, vcc, s12, v0
	v_addc_co_u32_e32 v1, vcc, v1, v2, vcc
	v_add_co_u32_e32 v32, vcc, 0x80, v0
	v_addc_co_u32_e32 v33, vcc, 0, v1, vcc
	s_mov_b64 s[14:15], 0
	v_mov_b32_e32 v15, s19
	v_mov_b32_e32 v42, s7
.LBB86_23:                              ; =>This Inner Loop Header: Depth=1
	global_load_dwordx4 v[0:3], v[30:31], off
	global_load_dwordx4 v[4:7], v[30:31], off offset:128
	global_load_dwordx2 v[40:41], v[32:33], off offset:-128
	global_load_dwordx2 v[38:39], v[32:33], off offset:-64
	global_load_dwordx2 v[36:37], v[32:33], off
	global_load_dwordx2 v[34:35], v[32:33], off offset:64
	global_load_dwordx4 v[44:47], v[30:31], off offset:256
	global_load_dwordx4 v[8:11], v[30:31], off offset:384
	s_waitcnt vmcnt(7)
	v_bfe_i32 v43, v0, 0, 8
	v_lshrrev_b32_e32 v48, 8, v0
	v_lshrrev_b32_e32 v49, 16, v0
	v_lshrrev_b32_e32 v50, 24, v0
	s_waitcnt vmcnt(5)
	v_subrev_co_u32_e32 v0, vcc, s22, v40
	v_bfe_i32 v51, v1, 0, 8
	v_lshrrev_b32_e32 v52, 8, v1
	v_lshrrev_b32_e32 v53, 16, v1
	v_lshrrev_b32_e32 v54, 24, v1
	v_subb_co_u32_e32 v1, vcc, v41, v15, vcc
	v_bfe_i32 v55, v2, 0, 8
	v_lshrrev_b32_e32 v56, 8, v2
	v_lshrrev_b32_e32 v57, 16, v2
	v_lshrrev_b32_e32 v58, 24, v2
	s_waitcnt vmcnt(4)
	v_subrev_co_u32_e32 v2, vcc, s22, v38
	v_bfe_i32 v59, v3, 0, 8
	v_lshrrev_b32_e32 v60, 8, v3
	v_lshrrev_b32_e32 v61, 16, v3
	v_lshrrev_b32_e32 v62, 24, v3
	v_subb_co_u32_e32 v3, vcc, v39, v15, vcc
	;; [unrolled: 11-line block ×4, first 2 shown]
	v_lshlrev_b64 v[0:1], 2, v[0:1]
	v_add_co_u32_e32 v0, vcc, s6, v0
	v_addc_co_u32_e32 v1, vcc, v42, v1, vcc
	v_cvt_f32_i32_sdwa v34, sext(v43) dst_sel:DWORD dst_unused:UNUSED_PAD src0_sel:WORD_0
	global_load_dword v43, v[0:1], off
	v_lshlrev_b64 v[2:3], 2, v[2:3]
	v_add_co_u32_e32 v2, vcc, s6, v2
	v_addc_co_u32_e32 v3, vcc, v42, v3, vcc
	global_load_dword v79, v[2:3], off
	v_lshlrev_b64 v[4:5], 2, v[4:5]
	v_add_co_u32_e32 v4, vcc, s6, v4
	v_lshlrev_b64 v[6:7], 2, v[6:7]
	v_addc_co_u32_e32 v5, vcc, v42, v5, vcc
	v_add_co_u32_e32 v6, vcc, s6, v6
	v_addc_co_u32_e32 v7, vcc, v42, v7, vcc
	global_load_dword v80, v[4:5], off
	global_load_dword v81, v[6:7], off
	v_cvt_f32_i32_sdwa v35, sext(v51) dst_sel:DWORD dst_unused:UNUSED_PAD src0_sel:WORD_0
	v_cvt_f32_i32_sdwa v4, sext(v55) dst_sel:DWORD dst_unused:UNUSED_PAD src0_sel:WORD_0
	;; [unrolled: 1-line block ×3, first 2 shown]
	s_waitcnt vmcnt(5)
	v_bfe_i32 v7, v46, 0, 8
	v_bfe_i32 v36, v44, 0, 8
	v_lshrrev_b32_e32 v37, 8, v44
	v_lshrrev_b32_e32 v51, 8, v46
	;; [unrolled: 1-line block ×4, first 2 shown]
	s_waitcnt vmcnt(4)
	v_bfe_i32 v84, v10, 0, 8
	v_lshrrev_b32_e32 v38, 16, v44
	v_lshrrev_b32_e32 v39, 24, v44
	v_lshrrev_b32_e32 v44, 16, v45
	v_bfe_i32 v40, v45, 0, 8
	v_lshrrev_b32_e32 v41, 8, v45
	v_lshrrev_b32_e32 v45, 24, v45
	v_bfe_i32 v59, v47, 0, 8
	v_lshrrev_b32_e32 v82, 8, v47
	v_lshrrev_b32_e32 v83, 16, v47
	;; [unrolled: 1-line block ×3, first 2 shown]
	v_bfe_i32 v51, v51, 0, 8
	v_bfe_i32 v82, v82, 0, 8
	;; [unrolled: 1-line block ×4, first 2 shown]
	v_add_co_u32_e32 v28, vcc, 32, v28
	v_addc_co_u32_e32 v29, vcc, 0, v29, vcc
	v_add_co_u32_e32 v32, vcc, 0x100, v32
	v_addc_co_u32_e32 v33, vcc, 0, v33, vcc
	v_cmp_ge_i64_e64 s[2:3], v[28:29], v[18:19]
	v_add_co_u32_e32 v30, vcc, 0x200, v30
	v_addc_co_u32_e32 v31, vcc, 0, v31, vcc
	s_or_b64 s[14:15], s[2:3], s[14:15]
	s_waitcnt vmcnt(3)
	v_bfe_i32 v0, v43, 0, 8
	v_cvt_f32_i32_sdwa v0, sext(v0) dst_sel:DWORD dst_unused:UNUSED_PAD src0_sel:WORD_0
	v_lshrrev_b32_e32 v6, 8, v43
	v_bfe_i32 v6, v6, 0, 8
	v_cvt_f32_i32_sdwa v6, sext(v6) dst_sel:DWORD dst_unused:UNUSED_PAD src0_sel:WORD_0
	v_pk_fma_f32 v[2:3], v[34:35], v[0:1], v[24:25] op_sel_hi:[1,0,1]
	v_pk_fma_f32 v[0:1], v[4:5], v[0:1], v[22:23] op_sel_hi:[1,0,1]
	v_bfe_i32 v4, v48, 0, 8
	v_bfe_i32 v5, v52, 0, 8
	v_cvt_f32_i32_sdwa v5, sext(v5) dst_sel:DWORD dst_unused:UNUSED_PAD src0_sel:WORD_0
	v_cvt_f32_i32_sdwa v4, sext(v4) dst_sel:DWORD dst_unused:UNUSED_PAD src0_sel:WORD_0
	v_bfe_i32 v48, v8, 0, 8
	v_lshrrev_b32_e32 v52, 8, v8
	v_cvt_f32_i32_sdwa v35, sext(v75) dst_sel:DWORD dst_unused:UNUSED_PAD src0_sel:WORD_0
	v_pk_fma_f32 v[2:3], v[4:5], v[6:7], v[2:3] op_sel_hi:[1,0,1]
	v_bfe_i32 v4, v56, 0, 8
	v_bfe_i32 v5, v60, 0, 8
	v_cvt_f32_i32_sdwa v5, sext(v5) dst_sel:DWORD dst_unused:UNUSED_PAD src0_sel:WORD_0
	v_cvt_f32_i32_sdwa v4, sext(v4) dst_sel:DWORD dst_unused:UNUSED_PAD src0_sel:WORD_0
	v_lshrrev_b32_e32 v56, 16, v8
	v_lshrrev_b32_e32 v60, 24, v8
	v_cvt_f32_i32_sdwa v8, sext(v36) dst_sel:DWORD dst_unused:UNUSED_PAD src0_sel:WORD_0
	v_pk_fma_f32 v[0:1], v[4:5], v[6:7], v[0:1] op_sel_hi:[1,0,1]
	v_lshrrev_b32_e32 v6, 16, v43
	v_bfe_i32 v4, v49, 0, 8
	v_bfe_i32 v5, v53, 0, 8
	;; [unrolled: 1-line block ×3, first 2 shown]
	v_cvt_f32_i32_sdwa v5, sext(v5) dst_sel:DWORD dst_unused:UNUSED_PAD src0_sel:WORD_0
	v_cvt_f32_i32_sdwa v4, sext(v4) dst_sel:DWORD dst_unused:UNUSED_PAD src0_sel:WORD_0
	;; [unrolled: 1-line block ×4, first 2 shown]
	v_bfe_i32 v71, v78, 0, 8
	v_bfe_i32 v78, v55, 0, 8
	v_pk_fma_f32 v[2:3], v[4:5], v[6:7], v[2:3] op_sel_hi:[1,0,1]
	v_bfe_i32 v4, v57, 0, 8
	v_bfe_i32 v5, v61, 0, 8
	v_cvt_f32_i32_sdwa v5, sext(v5) dst_sel:DWORD dst_unused:UNUSED_PAD src0_sel:WORD_0
	v_cvt_f32_i32_sdwa v4, sext(v4) dst_sel:DWORD dst_unused:UNUSED_PAD src0_sel:WORD_0
	v_bfe_i32 v55, v46, 0, 8
	v_bfe_i32 v49, v9, 0, 8
	v_lshrrev_b32_e32 v53, 8, v9
	v_pk_fma_f32 v[0:1], v[4:5], v[6:7], v[0:1] op_sel_hi:[1,0,1]
	v_lshrrev_b32_e32 v6, 24, v43
	v_bfe_i32 v4, v50, 0, 8
	v_bfe_i32 v5, v54, 0, 8
	;; [unrolled: 1-line block ×3, first 2 shown]
	v_cvt_f32_i32_sdwa v5, sext(v5) dst_sel:DWORD dst_unused:UNUSED_PAD src0_sel:WORD_0
	v_cvt_f32_i32_sdwa v4, sext(v4) dst_sel:DWORD dst_unused:UNUSED_PAD src0_sel:WORD_0
	;; [unrolled: 1-line block ×3, first 2 shown]
	v_lshrrev_b32_e32 v43, 16, v11
	v_bfe_i32 v54, v64, 0, 8
	v_bfe_i32 v64, v65, 0, 8
	v_pk_fma_f32 v[22:23], v[4:5], v[6:7], v[2:3] op_sel_hi:[1,0,1]
	v_bfe_i32 v2, v58, 0, 8
	v_bfe_i32 v3, v62, 0, 8
	v_cvt_f32_i32_sdwa v3, sext(v3) dst_sel:DWORD dst_unused:UNUSED_PAD src0_sel:WORD_0
	v_cvt_f32_i32_sdwa v2, sext(v2) dst_sel:DWORD dst_unused:UNUSED_PAD src0_sel:WORD_0
	v_bfe_i32 v65, v66, 0, 8
	v_bfe_i32 v66, v69, 0, 8
	;; [unrolled: 1-line block ×6, first 2 shown]
	v_cvt_f32_i32_sdwa v36, sext(v54) dst_sel:DWORD dst_unused:UNUSED_PAD src0_sel:WORD_0
	v_cvt_f32_i32_sdwa v54, sext(v69) dst_sel:DWORD dst_unused:UNUSED_PAD src0_sel:WORD_0
	;; [unrolled: 1-line block ×3, first 2 shown]
	s_waitcnt vmcnt(2)
	v_bfe_i32 v43, v79, 0, 8
	v_lshrrev_b32_e32 v4, 8, v10
	v_lshrrev_b32_e32 v5, 16, v10
	v_pk_fma_f32 v[24:25], v[2:3], v[6:7], v[0:1] op_sel_hi:[1,0,1]
	v_lshrrev_b32_e32 v0, 24, v10
	v_bfe_i32 v6, v11, 0, 8
	v_lshrrev_b32_e32 v1, 8, v11
	v_lshrrev_b32_e32 v50, 24, v11
	v_cvt_f32_i32_sdwa v11, sext(v67) dst_sel:DWORD dst_unused:UNUSED_PAD src0_sel:WORD_0
	v_cvt_f32_i32_sdwa v10, sext(v63) dst_sel:DWORD dst_unused:UNUSED_PAD src0_sel:WORD_0
	v_cvt_f32_i32_sdwa v46, sext(v72) dst_sel:DWORD dst_unused:UNUSED_PAD src0_sel:WORD_0
	v_cvt_f32_i32_sdwa v72, sext(v43) dst_sel:DWORD dst_unused:UNUSED_PAD src0_sel:WORD_0
	v_bfe_i32 v58, v68, 0, 8
	v_bfe_i32 v68, v73, 0, 8
	;; [unrolled: 1-line block ×4, first 2 shown]
	v_cvt_f32_i32_sdwa v0, sext(v48) dst_sel:DWORD dst_unused:UNUSED_PAD src0_sel:WORD_0
	v_cvt_f32_i32_sdwa v48, sext(v73) dst_sel:DWORD dst_unused:UNUSED_PAD src0_sel:WORD_0
	v_lshrrev_b32_e32 v73, 8, v79
	v_pk_fma_f32 v[10:11], v[10:11], v[72:73], v[22:23] op_sel_hi:[1,0,1]
	v_pk_fma_f32 v[22:23], v[34:35], v[72:73], v[24:25] op_sel_hi:[1,0,1]
	v_bfe_i32 v24, v73, 0, 8
	v_cvt_f32_i32_sdwa v37, sext(v58) dst_sel:DWORD dst_unused:UNUSED_PAD src0_sel:WORD_0
	v_cvt_f32_i32_sdwa v24, sext(v24) dst_sel:DWORD dst_unused:UNUSED_PAD src0_sel:WORD_0
	v_bfe_i32 v63, v76, 0, 8
	v_bfe_i32 v74, v39, 0, 8
	v_cvt_f32_i32_sdwa v39, sext(v63) dst_sel:DWORD dst_unused:UNUSED_PAD src0_sel:WORD_0
	v_cvt_f32_i32_sdwa v38, sext(v62) dst_sel:DWORD dst_unused:UNUSED_PAD src0_sel:WORD_0
	v_lshrrev_b32_e32 v43, 16, v79
	s_waitcnt vmcnt(1)
	v_bfe_i32 v25, v80, 0, 8
	v_bfe_i32 v76, v44, 0, 8
	v_lshrrev_b32_e32 v34, 8, v80
	v_pk_fma_f32 v[10:11], v[36:37], v[24:25], v[10:11] op_sel_hi:[1,0,1]
	s_waitcnt vmcnt(0)
	v_bfe_i32 v36, v81, 0, 8
	v_bfe_i32 v43, v43, 0, 8
	v_lshrrev_b32_e32 v57, 16, v9
	v_lshrrev_b32_e32 v61, 24, v9
	v_bfe_i32 v67, v70, 0, 8
	v_bfe_i32 v70, v77, 0, 8
	;; [unrolled: 1-line block ×3, first 2 shown]
	v_cvt_f32_i32_sdwa v9, sext(v40) dst_sel:DWORD dst_unused:UNUSED_PAD src0_sel:WORD_0
	v_bfe_i32 v92, v5, 0, 8
	v_bfe_i32 v94, v1, 0, 8
	v_cvt_f32_i32_sdwa v1, sext(v49) dst_sel:DWORD dst_unused:UNUSED_PAD src0_sel:WORD_0
	v_cvt_f32_i32_sdwa v5, sext(v6) dst_sel:DWORD dst_unused:UNUSED_PAD src0_sel:WORD_0
	v_cvt_f32_i32_sdwa v6, sext(v74) dst_sel:DWORD dst_unused:UNUSED_PAD src0_sel:WORD_0
	v_cvt_f32_i32_sdwa v41, sext(v66) dst_sel:DWORD dst_unused:UNUSED_PAD src0_sel:WORD_0
	v_cvt_f32_i32_sdwa v40, sext(v64) dst_sel:DWORD dst_unused:UNUSED_PAD src0_sel:WORD_0
	v_cvt_f32_i32_sdwa v49, sext(v76) dst_sel:DWORD dst_unused:UNUSED_PAD src0_sel:WORD_0
	v_lshrrev_b32_e32 v74, 24, v79
	v_bfe_i32 v76, v34, 0, 8
	v_cvt_f32_i32_sdwa v34, sext(v36) dst_sel:DWORD dst_unused:UNUSED_PAD src0_sel:WORD_0
	v_cvt_f32_i32_sdwa v36, sext(v43) dst_sel:DWORD dst_unused:UNUSED_PAD src0_sel:WORD_0
	v_bfe_i32 v86, v52, 0, 8
	v_bfe_i32 v88, v60, 0, 8
	;; [unrolled: 1-line block ×3, first 2 shown]
	v_cvt_f32_i32_sdwa v53, sext(v70) dst_sel:DWORD dst_unused:UNUSED_PAD src0_sel:WORD_0
	v_cvt_f32_i32_sdwa v52, sext(v68) dst_sel:DWORD dst_unused:UNUSED_PAD src0_sel:WORD_0
	v_bfe_i32 v74, v74, 0, 8
	v_bfe_i32 v77, v45, 0, 8
	;; [unrolled: 1-line block ×3, first 2 shown]
	v_cvt_f32_i32_sdwa v45, sext(v67) dst_sel:DWORD dst_unused:UNUSED_PAD src0_sel:WORD_0
	v_cvt_f32_i32_sdwa v44, sext(v65) dst_sel:DWORD dst_unused:UNUSED_PAD src0_sel:WORD_0
	;; [unrolled: 1-line block ×4, first 2 shown]
	v_lshrrev_b32_e32 v72, 16, v81
	v_lshrrev_b32_e32 v37, 8, v81
	v_pk_fma_f32 v[22:23], v[38:39], v[24:25], v[22:23] op_sel_hi:[1,0,1]
	v_cvt_f32_i32_sdwa v38, sext(v74) dst_sel:DWORD dst_unused:UNUSED_PAD src0_sel:WORD_0
	v_cvt_f32_i32_sdwa v3, sext(v59) dst_sel:DWORD dst_unused:UNUSED_PAD src0_sel:WORD_0
	;; [unrolled: 1-line block ×4, first 2 shown]
	v_lshrrev_b32_e32 v75, 16, v80
	v_cvt_f32_i32_sdwa v24, sext(v25) dst_sel:DWORD dst_unused:UNUSED_PAD src0_sel:WORD_0
	v_bfe_i32 v25, v37, 0, 8
	v_bfe_i32 v37, v72, 0, 8
	;; [unrolled: 1-line block ×4, first 2 shown]
	v_cvt_f32_i32_sdwa v57, sext(v82) dst_sel:DWORD dst_unused:UNUSED_PAD src0_sel:WORD_0
	v_cvt_f32_i32_sdwa v56, sext(v51) dst_sel:DWORD dst_unused:UNUSED_PAD src0_sel:WORD_0
	v_lshrrev_b32_e32 v35, 24, v80
	v_lshrrev_b32_e32 v73, 24, v81
	v_bfe_i32 v75, v75, 0, 8
	v_pk_fma_f32 v[10:11], v[40:41], v[36:37], v[10:11] op_sel_hi:[1,0,1]
	v_cvt_f32_i32_sdwa v40, sext(v76) dst_sel:DWORD dst_unused:UNUSED_PAD src0_sel:WORD_0
	v_cvt_f32_i32_sdwa v59, sext(v83) dst_sel:DWORD dst_unused:UNUSED_PAD src0_sel:WORD_0
	v_cvt_f32_i32_sdwa v58, sext(v78) dst_sel:DWORD dst_unused:UNUSED_PAD src0_sel:WORD_0
	v_bfe_i32 v35, v35, 0, 8
	v_bfe_i32 v39, v73, 0, 8
	v_cvt_f32_i32_sdwa v72, sext(v75) dst_sel:DWORD dst_unused:UNUSED_PAD src0_sel:WORD_0
	v_pk_fma_f32 v[22:23], v[52:53], v[36:37], v[22:23] op_sel_hi:[1,0,1]
	v_cvt_f32_i32_sdwa v7, sext(v77) dst_sel:DWORD dst_unused:UNUSED_PAD src0_sel:WORD_0
	v_cvt_f32_i32_sdwa v51, sext(v85) dst_sel:DWORD dst_unused:UNUSED_PAD src0_sel:WORD_0
	;; [unrolled: 1-line block ×3, first 2 shown]
	v_pk_fma_f32 v[10:11], v[44:45], v[38:39], v[10:11] op_sel_hi:[1,0,1]
	v_pk_fma_f32 v[22:23], v[54:55], v[38:39], v[22:23] op_sel_hi:[1,0,1]
	v_bfe_i32 v91, v4, 0, 8
	v_cvt_f32_i32_sdwa v4, sext(v84) dst_sel:DWORD dst_unused:UNUSED_PAD src0_sel:WORD_0
	v_pk_fma_f32 v[8:9], v[8:9], v[24:25], v[10:11] op_sel_hi:[1,0,1]
	v_pk_fma_f32 v[2:3], v[2:3], v[24:25], v[22:23] op_sel_hi:[1,0,1]
	v_bfe_i32 v90, v61, 0, 8
	v_cvt_f32_i32_sdwa v61, sext(v60) dst_sel:DWORD dst_unused:UNUSED_PAD src0_sel:WORD_0
	v_cvt_f32_i32_sdwa v60, sext(v86) dst_sel:DWORD dst_unused:UNUSED_PAD src0_sel:WORD_0
	;; [unrolled: 1-line block ×5, first 2 shown]
	v_pk_fma_f32 v[8:9], v[46:47], v[40:41], v[8:9] op_sel_hi:[1,0,1]
	v_pk_fma_f32 v[2:3], v[56:57], v[40:41], v[2:3] op_sel_hi:[1,0,1]
	v_cvt_f32_i32_sdwa v63, sext(v89) dst_sel:DWORD dst_unused:UNUSED_PAD src0_sel:WORD_0
	v_cvt_f32_i32_sdwa v62, sext(v87) dst_sel:DWORD dst_unused:UNUSED_PAD src0_sel:WORD_0
	;; [unrolled: 1-line block ×4, first 2 shown]
	v_pk_fma_f32 v[8:9], v[48:49], v[72:73], v[8:9] op_sel_hi:[1,0,1]
	v_pk_fma_f32 v[2:3], v[58:59], v[72:73], v[2:3] op_sel_hi:[1,0,1]
	v_cvt_f32_i32_sdwa v65, sext(v90) dst_sel:DWORD dst_unused:UNUSED_PAD src0_sel:WORD_0
	v_cvt_f32_i32_sdwa v64, sext(v88) dst_sel:DWORD dst_unused:UNUSED_PAD src0_sel:WORD_0
	;; [unrolled: 1-line block ×5, first 2 shown]
	v_pk_fma_f32 v[6:7], v[6:7], v[36:37], v[8:9] op_sel_hi:[1,0,1]
	v_pk_fma_f32 v[2:3], v[50:51], v[36:37], v[2:3] op_sel_hi:[1,0,1]
	;; [unrolled: 1-line block ×10, first 2 shown]
	s_andn2_b64 exec, exec, s[14:15]
	s_cbranch_execnz .LBB86_23
; %bb.24:
	s_or_b64 exec, exec, s[14:15]
.LBB86_25:
	s_or_b64 exec, exec, s[10:11]
.LBB86_26:
	s_or_b64 exec, exec, s[8:9]
	s_cbranch_execz .LBB86_28
	s_branch .LBB86_39
.LBB86_27:
                                        ; implicit-def: $vgpr23
                                        ; implicit-def: $vgpr25
.LBB86_28:
	v_mov_b32_e32 v23, 0
	v_mov_b32_e32 v22, 0
	;; [unrolled: 1-line block ×4, first 2 shown]
	s_and_saveexec_b64 s[2:3], s[0:1]
	s_cbranch_execz .LBB86_38
; %bb.29:
	v_or_b32_e32 v0, 8, v14
	v_mov_b32_e32 v1, s19
	v_subrev_co_u32_e32 v0, vcc, s22, v0
	v_subb_co_u32_e32 v1, vcc, 0, v1, vcc
	v_add_co_u32_e32 v0, vcc, v0, v26
	v_addc_co_u32_e32 v1, vcc, v1, v27, vcc
	v_cmp_gt_i64_e32 vcc, v[0:1], v[18:19]
	v_cndmask_b32_e32 v1, v19, v1, vcc
	v_cndmask_b32_e32 v0, v18, v0, vcc
	v_mov_b32_e32 v4, s19
	v_sub_co_u32_e32 v5, vcc, s22, v14
	v_not_b32_e32 v3, v26
	v_subbrev_co_u32_e32 v4, vcc, 0, v4, vcc
	v_not_b32_e32 v2, v27
	v_add_co_u32_e32 v3, vcc, v5, v3
	v_addc_co_u32_e32 v2, vcc, v4, v2, vcc
	v_add_co_u32_e32 v0, vcc, v3, v0
	v_addc_co_u32_e32 v1, vcc, v2, v1, vcc
	v_lshrrev_b32_e32 v2, 3, v0
	v_add_u32_e32 v2, 1, v2
	v_and_b32_e32 v2, 3, v2
	v_mov_b32_e32 v24, 0
	v_cmp_ne_u32_e32 vcc, 0, v2
	v_mov_b32_e32 v25, v24
	v_mov_b32_e32 v22, v24
	v_mov_b32_e32 v23, v24
	s_and_saveexec_b64 s[0:1], vcc
	s_cbranch_execz .LBB86_33
; %bb.30:
	v_lshlrev_b64 v[4:5], 3, v[16:17]
	v_mov_b32_e32 v3, 0
	v_mov_b32_e32 v6, s13
	v_add_co_u32_e32 v4, vcc, s12, v4
	v_addc_co_u32_e32 v5, vcc, v6, v5, vcc
	v_lshlrev_b32_e32 v2, 1, v2
	s_mov_b64 s[8:9], 0
	v_mov_b32_e32 v6, s19
	v_mov_b32_e32 v7, s7
	s_movk_i32 s10, 0x80
	v_mov_b32_e32 v23, v3
	v_mov_b32_e32 v22, v3
	;; [unrolled: 1-line block ×4, first 2 shown]
.LBB86_31:                              ; =>This Inner Loop Header: Depth=1
	global_load_dwordx2 v[26:27], v[4:5], off
	global_load_dwordx4 v[8:11], v[20:21], off
	s_waitcnt vmcnt(1)
	v_subrev_co_u32_e32 v26, vcc, s22, v26
	v_subb_co_u32_e32 v27, vcc, v27, v6, vcc
	v_lshlrev_b64 v[26:27], 2, v[26:27]
	v_add_co_u32_e32 v26, vcc, s6, v26
	v_addc_co_u32_e32 v27, vcc, v7, v27, vcc
	global_load_dword v15, v[26:27], off
	s_waitcnt vmcnt(1)
	v_bfe_i32 v26, v8, 0, 8
	v_lshrrev_b32_e32 v27, 8, v8
	v_lshrrev_b32_e32 v28, 16, v8
	;; [unrolled: 1-line block ×8, first 2 shown]
	v_add_co_u32_e32 v20, vcc, s10, v20
	v_bfe_i32 v30, v10, 0, 8
	v_lshrrev_b32_e32 v10, 24, v10
	v_bfe_i32 v33, v11, 0, 8
	v_lshrrev_b32_e32 v35, 8, v9
	;; [unrolled: 2-line block ×3, first 2 shown]
	v_bfe_i32 v27, v27, 0, 8
	v_bfe_i32 v38, v28, 0, 8
	v_bfe_i32 v39, v8, 0, 8
	v_bfe_i32 v29, v29, 0, 8
	v_bfe_i32 v40, v31, 0, 8
	v_bfe_i32 v32, v32, 0, 8
	v_bfe_i32 v42, v34, 0, 8
	v_bfe_i32 v34, v37, 0, 8
	v_addc_co_u32_e32 v21, vcc, 0, v21, vcc
	v_lshrrev_b32_e32 v11, 24, v11
	v_bfe_i32 v41, v10, 0, 8
	v_cvt_f32_i32_sdwa v8, sext(v26) dst_sel:DWORD dst_unused:UNUSED_PAD src0_sel:WORD_0
	v_cvt_f32_i32_sdwa v26, sext(v30) dst_sel:DWORD dst_unused:UNUSED_PAD src0_sel:WORD_0
	;; [unrolled: 1-line block ×3, first 2 shown]
	v_bfe_i32 v33, v9, 0, 8
	v_cvt_f32_i32_sdwa v9, sext(v27) dst_sel:DWORD dst_unused:UNUSED_PAD src0_sel:WORD_0
	v_cvt_f32_i32_sdwa v30, sext(v38) dst_sel:DWORD dst_unused:UNUSED_PAD src0_sel:WORD_0
	;; [unrolled: 1-line block ×7, first 2 shown]
	v_add_co_u32_e32 v16, vcc, 8, v16
	v_bfe_i32 v43, v11, 0, 8
	v_bfe_i32 v11, v35, 0, 8
	v_cvt_f32_i32_sdwa v35, sext(v41) dst_sel:DWORD dst_unused:UNUSED_PAD src0_sel:WORD_0
	v_addc_co_u32_e32 v17, vcc, 0, v17, vcc
	v_cvt_f32_i32_sdwa v10, sext(v36) dst_sel:DWORD dst_unused:UNUSED_PAD src0_sel:WORD_0
	v_cvt_f32_i32_sdwa v11, sext(v11) dst_sel:DWORD dst_unused:UNUSED_PAD src0_sel:WORD_0
	;; [unrolled: 1-line block ×3, first 2 shown]
	v_add_co_u32_e32 v4, vcc, 64, v4
	v_cvt_f32_i32_sdwa v36, sext(v42) dst_sel:DWORD dst_unused:UNUSED_PAD src0_sel:WORD_0
	v_addc_co_u32_e32 v5, vcc, 0, v5, vcc
	v_cvt_f32_i32_sdwa v37, sext(v43) dst_sel:DWORD dst_unused:UNUSED_PAD src0_sel:WORD_0
	v_add_co_u32_e32 v2, vcc, -2, v2
	v_addc_co_u32_e32 v3, vcc, -1, v3, vcc
	v_cmp_eq_u64_e32 vcc, 0, v[2:3]
	s_or_b64 s[8:9], vcc, s[8:9]
	s_waitcnt vmcnt(0)
	v_lshrrev_b32_e32 v38, 16, v15
	v_bfe_i32 v39, v15, 0, 8
	v_lshrrev_b32_e32 v40, 8, v15
	v_bfe_i32 v40, v40, 0, 8
	v_bfe_i32 v41, v38, 0, 8
	v_cvt_f32_i32_sdwa v38, sext(v39) dst_sel:DWORD dst_unused:UNUSED_PAD src0_sel:WORD_0
	v_lshrrev_b32_e32 v15, 24, v15
	v_cvt_f32_i32_sdwa v40, sext(v40) dst_sel:DWORD dst_unused:UNUSED_PAD src0_sel:WORD_0
	v_bfe_i32 v15, v15, 0, 8
	v_cvt_f32_i32_sdwa v42, sext(v41) dst_sel:DWORD dst_unused:UNUSED_PAD src0_sel:WORD_0
	v_cvt_f32_i32_sdwa v44, sext(v15) dst_sel:DWORD dst_unused:UNUSED_PAD src0_sel:WORD_0
	v_pk_fma_f32 v[8:9], v[8:9], v[38:39], v[24:25] op_sel_hi:[1,0,1]
	v_pk_fma_f32 v[22:23], v[30:31], v[38:39], v[22:23] op_sel_hi:[1,0,1]
	v_pk_fma_f32 v[8:9], v[10:11], v[40:41], v[8:9] op_sel_hi:[1,0,1]
	v_pk_fma_f32 v[10:11], v[32:33], v[40:41], v[22:23] op_sel_hi:[1,0,1]
	v_pk_fma_f32 v[8:9], v[26:27], v[42:43], v[8:9] op_sel_hi:[1,0,1]
	v_pk_fma_f32 v[10:11], v[34:35], v[42:43], v[10:11] op_sel_hi:[1,0,1]
	v_pk_fma_f32 v[24:25], v[28:29], v[44:45], v[8:9] op_sel_hi:[1,0,1]
	v_pk_fma_f32 v[22:23], v[36:37], v[44:45], v[10:11] op_sel_hi:[1,0,1]
	s_andn2_b64 exec, exec, s[8:9]
	s_cbranch_execnz .LBB86_31
; %bb.32:
	s_or_b64 exec, exec, s[8:9]
.LBB86_33:
	s_or_b64 exec, exec, s[0:1]
	v_cmp_lt_u64_e32 vcc, 23, v[0:1]
	s_and_saveexec_b64 s[8:9], vcc
	s_cbranch_execz .LBB86_37
; %bb.34:
	v_lshlrev_b64 v[0:1], 3, v[16:17]
	v_mov_b32_e32 v2, s13
	v_add_co_u32_e32 v0, vcc, s12, v0
	v_addc_co_u32_e32 v1, vcc, v1, v2, vcc
	v_add_co_u32_e32 v8, vcc, 0x80, v0
	v_addc_co_u32_e32 v9, vcc, 0, v1, vcc
	s_mov_b64 s[10:11], 0
	v_mov_b32_e32 v15, s19
	v_mov_b32_e32 v26, s7
.LBB86_35:                              ; =>This Inner Loop Header: Depth=1
	global_load_dwordx2 v[10:11], v[8:9], off offset:-128
	global_load_dwordx4 v[0:3], v[20:21], off
	global_load_dwordx4 v[28:31], v[20:21], off offset:128
	global_load_dwordx2 v[36:37], v[8:9], off offset:-64
	global_load_dwordx2 v[38:39], v[8:9], off
	global_load_dwordx2 v[40:41], v[8:9], off offset:64
	global_load_dwordx4 v[32:35], v[20:21], off offset:256
	global_load_dwordx4 v[4:7], v[20:21], off offset:384
	s_waitcnt vmcnt(7)
	v_subrev_co_u32_e32 v10, vcc, s22, v10
	v_subb_co_u32_e32 v11, vcc, v11, v15, vcc
	s_waitcnt vmcnt(5)
	v_lshrrev_b32_e32 v48, 8, v28
	v_bfe_i32 v49, v28, 0, 8
	v_lshrrev_b32_e32 v50, 16, v28
	v_lshrrev_b32_e32 v51, 24, v28
	s_waitcnt vmcnt(4)
	v_subrev_co_u32_e32 v28, vcc, s22, v36
	v_lshrrev_b32_e32 v52, 8, v29
	v_bfe_i32 v53, v29, 0, 8
	v_lshrrev_b32_e32 v54, 16, v29
	v_lshrrev_b32_e32 v55, 24, v29
	v_subb_co_u32_e32 v29, vcc, v37, v15, vcc
	v_lshrrev_b32_e32 v56, 8, v30
	v_bfe_i32 v57, v30, 0, 8
	v_lshrrev_b32_e32 v58, 16, v30
	v_lshrrev_b32_e32 v59, 24, v30
	s_waitcnt vmcnt(3)
	v_subrev_co_u32_e32 v30, vcc, s22, v38
	v_lshrrev_b32_e32 v60, 8, v31
	v_bfe_i32 v61, v31, 0, 8
	v_lshrrev_b32_e32 v62, 16, v31
	v_lshrrev_b32_e32 v63, 24, v31
	v_subb_co_u32_e32 v31, vcc, v39, v15, vcc
	s_waitcnt vmcnt(2)
	v_subrev_co_u32_e32 v36, vcc, s22, v40
	v_bfe_i32 v27, v0, 0, 8
	v_lshrrev_b32_e32 v42, 8, v0
	v_lshrrev_b32_e32 v43, 16, v0
	;; [unrolled: 1-line block ×3, first 2 shown]
	v_subb_co_u32_e32 v37, vcc, v41, v15, vcc
	v_lshrrev_b32_e32 v65, 8, v1
	v_bfe_i32 v66, v1, 0, 8
	v_lshrrev_b32_e32 v70, 16, v1
	v_lshrrev_b32_e32 v71, 24, v1
	v_lshlrev_b64 v[0:1], 2, v[10:11]
	v_add_co_u32_e32 v0, vcc, s6, v0
	v_addc_co_u32_e32 v1, vcc, v26, v1, vcc
	v_lshrrev_b32_e32 v45, 8, v2
	v_bfe_i32 v46, v2, 0, 8
	v_lshrrev_b32_e32 v47, 16, v2
	v_lshrrev_b32_e32 v64, 24, v2
	;; [unrolled: 1-line block ×3, first 2 shown]
	v_bfe_i32 v39, v3, 0, 8
	v_lshrrev_b32_e32 v40, 16, v3
	v_lshrrev_b32_e32 v41, 24, v3
	v_lshlrev_b64 v[2:3], 2, v[28:29]
	v_lshlrev_b64 v[28:29], 2, v[36:37]
	global_load_dword v37, v[0:1], off
	v_add_co_u32_e32 v2, vcc, s6, v2
	v_addc_co_u32_e32 v3, vcc, v26, v3, vcc
	global_load_dword v72, v[2:3], off
	v_lshlrev_b64 v[10:11], 2, v[30:31]
	v_add_co_u32_e32 v10, vcc, s6, v10
	v_addc_co_u32_e32 v11, vcc, v26, v11, vcc
	v_add_co_u32_e32 v28, vcc, s6, v28
	v_addc_co_u32_e32 v29, vcc, v26, v29, vcc
	global_load_dword v73, v[10:11], off
	global_load_dword v74, v[28:29], off
	v_bfe_i32 v31, v42, 0, 8
	v_cvt_f32_i32_sdwa v30, sext(v27) dst_sel:DWORD dst_unused:UNUSED_PAD src0_sel:WORD_0
	v_cvt_f32_i32_sdwa v31, sext(v31) dst_sel:DWORD dst_unused:UNUSED_PAD src0_sel:WORD_0
	v_bfe_i32 v11, v44, 0, 8
	v_cvt_f32_i32_sdwa v11, sext(v11) dst_sel:DWORD dst_unused:UNUSED_PAD src0_sel:WORD_0
	s_waitcnt vmcnt(4)
	v_lshrrev_b32_e32 v44, 8, v5
	v_lshrrev_b32_e32 v67, 8, v32
	v_bfe_i32 v68, v32, 0, 8
	v_lshrrev_b32_e32 v69, 16, v32
	v_lshrrev_b32_e32 v32, 24, v32
	v_bfe_i32 v27, v33, 0, 8
	v_lshrrev_b32_e32 v42, 16, v33
	v_lshrrev_b32_e32 v76, 16, v4
	;; [unrolled: 1-line block ×3, first 2 shown]
	v_bfe_i32 v75, v7, 0, 8
	v_lshrrev_b32_e32 v28, 16, v34
	v_lshrrev_b32_e32 v29, 24, v34
	;; [unrolled: 1-line block ×4, first 2 shown]
	v_add_co_u32_e32 v16, vcc, 32, v16
	v_addc_co_u32_e32 v17, vcc, 0, v17, vcc
	v_add_co_u32_e32 v8, vcc, 0x100, v8
	v_addc_co_u32_e32 v9, vcc, 0, v9, vcc
	v_cmp_ge_i64_e64 s[0:1], v[16:17], v[18:19]
	v_add_co_u32_e32 v20, vcc, 0x200, v20
	v_addc_co_u32_e32 v21, vcc, 0, v21, vcc
	s_or_b64 s[10:11], s[0:1], s[10:11]
	s_waitcnt vmcnt(3)
	v_bfe_i32 v0, v37, 0, 8
	v_cvt_f32_i32_sdwa v0, sext(v0) dst_sel:DWORD dst_unused:UNUSED_PAD src0_sel:WORD_0
	v_pk_fma_f32 v[2:3], v[30:31], v[0:1], v[24:25] op_sel_hi:[1,0,1]
	v_bfe_i32 v1, v43, 0, 8
	v_cvt_f32_i32_sdwa v10, sext(v1) dst_sel:DWORD dst_unused:UNUSED_PAD src0_sel:WORD_0
	v_lshrrev_b32_e32 v30, 8, v35
	v_lshrrev_b32_e32 v25, 8, v34
	v_bfe_i32 v31, v34, 0, 8
	v_pk_fma_f32 v[0:1], v[10:11], v[0:1], v[22:23] op_sel_hi:[1,0,1]
	v_lshrrev_b32_e32 v22, 8, v37
	v_bfe_i32 v11, v65, 0, 8
	v_bfe_i32 v22, v22, 0, 8
	v_cvt_f32_i32_sdwa v10, sext(v66) dst_sel:DWORD dst_unused:UNUSED_PAD src0_sel:WORD_0
	v_cvt_f32_i32_sdwa v11, sext(v11) dst_sel:DWORD dst_unused:UNUSED_PAD src0_sel:WORD_0
	;; [unrolled: 1-line block ×3, first 2 shown]
	v_bfe_i32 v65, v5, 0, 8
	v_lshrrev_b32_e32 v66, 16, v5
	v_bfe_i32 v66, v66, 0, 8
	v_pk_fma_f32 v[2:3], v[10:11], v[22:23], v[2:3] op_sel_hi:[1,0,1]
	v_bfe_i32 v10, v70, 0, 8
	v_bfe_i32 v11, v71, 0, 8
	v_cvt_f32_i32_sdwa v11, sext(v11) dst_sel:DWORD dst_unused:UNUSED_PAD src0_sel:WORD_0
	v_cvt_f32_i32_sdwa v10, sext(v10) dst_sel:DWORD dst_unused:UNUSED_PAD src0_sel:WORD_0
	v_lshrrev_b32_e32 v70, 24, v5
	v_bfe_i32 v5, v45, 0, 8
	v_lshrrev_b32_e32 v45, 8, v6
	v_pk_fma_f32 v[0:1], v[10:11], v[22:23], v[0:1] op_sel_hi:[1,0,1]
	v_cvt_f32_i32_sdwa v11, sext(v5) dst_sel:DWORD dst_unused:UNUSED_PAD src0_sel:WORD_0
	v_lshrrev_b32_e32 v5, 16, v37
	v_bfe_i32 v5, v5, 0, 8
	v_cvt_f32_i32_sdwa v10, sext(v46) dst_sel:DWORD dst_unused:UNUSED_PAD src0_sel:WORD_0
	v_cvt_f32_i32_sdwa v22, sext(v5) dst_sel:DWORD dst_unused:UNUSED_PAD src0_sel:WORD_0
	v_bfe_i32 v5, v47, 0, 8
	v_lshrrev_b32_e32 v46, 16, v6
	v_lshrrev_b32_e32 v47, 24, v6
	v_pk_fma_f32 v[2:3], v[10:11], v[22:23], v[2:3] op_sel_hi:[1,0,1]
	v_bfe_i32 v10, v64, 0, 8
	v_cvt_f32_i32_sdwa v11, sext(v10) dst_sel:DWORD dst_unused:UNUSED_PAD src0_sel:WORD_0
	v_cvt_f32_i32_sdwa v10, sext(v5) dst_sel:DWORD dst_unused:UNUSED_PAD src0_sel:WORD_0
	v_bfe_i32 v5, v38, 0, 8
	v_bfe_i32 v64, v6, 0, 8
	v_lshrrev_b32_e32 v38, 24, v7
	v_pk_fma_f32 v[0:1], v[10:11], v[22:23], v[0:1] op_sel_hi:[1,0,1]
	v_cvt_f32_i32_sdwa v11, sext(v5) dst_sel:DWORD dst_unused:UNUSED_PAD src0_sel:WORD_0
	v_lshrrev_b32_e32 v5, 24, v37
	v_bfe_i32 v5, v5, 0, 8
	v_cvt_f32_i32_sdwa v10, sext(v39) dst_sel:DWORD dst_unused:UNUSED_PAD src0_sel:WORD_0
	v_cvt_f32_i32_sdwa v6, sext(v5) dst_sel:DWORD dst_unused:UNUSED_PAD src0_sel:WORD_0
	v_bfe_i32 v5, v40, 0, 8
	v_bfe_i32 v40, v4, 0, 8
	;; [unrolled: 1-line block ×3, first 2 shown]
	v_pk_fma_f32 v[2:3], v[10:11], v[6:7], v[2:3] op_sel_hi:[1,0,1]
	v_bfe_i32 v10, v41, 0, 8
	v_cvt_f32_i32_sdwa v11, sext(v10) dst_sel:DWORD dst_unused:UNUSED_PAD src0_sel:WORD_0
	v_cvt_f32_i32_sdwa v10, sext(v5) dst_sel:DWORD dst_unused:UNUSED_PAD src0_sel:WORD_0
	v_bfe_i32 v5, v48, 0, 8
	v_cvt_f32_i32_sdwa v38, sext(v40) dst_sel:DWORD dst_unused:UNUSED_PAD src0_sel:WORD_0
	v_lshrrev_b32_e32 v39, 8, v4
	v_pk_fma_f32 v[0:1], v[10:11], v[6:7], v[0:1] op_sel_hi:[1,0,1]
	v_bfe_i32 v11, v51, 0, 8
	v_bfe_i32 v51, v58, 0, 8
	;; [unrolled: 1-line block ×3, first 2 shown]
	v_cvt_f32_i32_sdwa v32, sext(v27) dst_sel:DWORD dst_unused:UNUSED_PAD src0_sel:WORD_0
	v_bfe_i32 v27, v44, 0, 8
	v_cvt_f32_i32_sdwa v6, sext(v53) dst_sel:DWORD dst_unused:UNUSED_PAD src0_sel:WORD_0
	v_bfe_i32 v53, v60, 0, 8
	v_bfe_i32 v60, v42, 0, 8
	v_cvt_f32_i32_sdwa v40, sext(v51) dst_sel:DWORD dst_unused:UNUSED_PAD src0_sel:WORD_0
	v_cvt_f32_i32_sdwa v51, sext(v27) dst_sel:DWORD dst_unused:UNUSED_PAD src0_sel:WORD_0
	s_waitcnt vmcnt(2)
	v_bfe_i32 v27, v72, 0, 8
	v_cvt_f32_i32_sdwa v4, sext(v49) dst_sel:DWORD dst_unused:UNUSED_PAD src0_sel:WORD_0
	v_cvt_f32_i32_sdwa v5, sext(v5) dst_sel:DWORD dst_unused:UNUSED_PAD src0_sel:WORD_0
	v_bfe_i32 v79, v46, 0, 8
	v_cvt_f32_i32_sdwa v46, sext(v60) dst_sel:DWORD dst_unused:UNUSED_PAD src0_sel:WORD_0
	v_cvt_f32_i32_sdwa v60, sext(v66) dst_sel:DWORD dst_unused:UNUSED_PAD src0_sel:WORD_0
	;; [unrolled: 1-line block ×3, first 2 shown]
	v_lshrrev_b32_e32 v71, 8, v7
	v_lshrrev_b32_e32 v37, 16, v7
	v_bfe_i32 v7, v50, 0, 8
	v_bfe_i32 v50, v56, 0, 8
	;; [unrolled: 1-line block ×5, first 2 shown]
	v_cvt_f32_i32_sdwa v37, sext(v67) dst_sel:DWORD dst_unused:UNUSED_PAD src0_sel:WORD_0
	v_lshrrev_b32_e32 v67, 8, v72
	v_bfe_i32 v41, v52, 0, 8
	v_pk_fma_f32 v[2:3], v[4:5], v[66:67], v[2:3] op_sel_hi:[1,0,1]
	v_bfe_i32 v4, v67, 0, 8
	v_bfe_i32 v48, v54, 0, 8
	;; [unrolled: 1-line block ×3, first 2 shown]
	v_cvt_f32_i32_sdwa v23, sext(v11) dst_sel:DWORD dst_unused:UNUSED_PAD src0_sel:WORD_0
	v_cvt_f32_i32_sdwa v22, sext(v7) dst_sel:DWORD dst_unused:UNUSED_PAD src0_sel:WORD_0
	v_cvt_f32_i32_sdwa v7, sext(v41) dst_sel:DWORD dst_unused:UNUSED_PAD src0_sel:WORD_0
	v_cvt_f32_i32_sdwa v4, sext(v4) dst_sel:DWORD dst_unused:UNUSED_PAD src0_sel:WORD_0
	v_bfe_i32 v54, v62, 0, 8
	v_bfe_i32 v55, v63, 0, 8
	;; [unrolled: 1-line block ×4, first 2 shown]
	v_cvt_f32_i32_sdwa v29, sext(v49) dst_sel:DWORD dst_unused:UNUSED_PAD src0_sel:WORD_0
	v_cvt_f32_i32_sdwa v28, sext(v48) dst_sel:DWORD dst_unused:UNUSED_PAD src0_sel:WORD_0
	v_lshrrev_b32_e32 v5, 16, v72
	v_pk_fma_f32 v[0:1], v[22:23], v[66:67], v[0:1] op_sel_hi:[1,0,1]
	s_waitcnt vmcnt(1)
	v_bfe_i32 v22, v73, 0, 8
	v_pk_fma_f32 v[2:3], v[6:7], v[4:5], v[2:3] op_sel_hi:[1,0,1]
	v_bfe_i32 v5, v5, 0, 8
	v_bfe_i32 v52, v59, 0, 8
	v_cvt_f32_i32_sdwa v10, sext(v57) dst_sel:DWORD dst_unused:UNUSED_PAD src0_sel:WORD_0
	v_cvt_f32_i32_sdwa v11, sext(v50) dst_sel:DWORD dst_unused:UNUSED_PAD src0_sel:WORD_0
	v_lshrrev_b32_e32 v27, 24, v72
	v_pk_fma_f32 v[0:1], v[28:29], v[4:5], v[0:1] op_sel_hi:[1,0,1]
	v_cvt_f32_i32_sdwa v4, sext(v22) dst_sel:DWORD dst_unused:UNUSED_PAD src0_sel:WORD_0
	v_cvt_f32_i32_sdwa v22, sext(v5) dst_sel:DWORD dst_unused:UNUSED_PAD src0_sel:WORD_0
	v_bfe_i32 v43, v35, 0, 8
	v_lshrrev_b32_e32 v34, 16, v35
	v_lshrrev_b32_e32 v35, 24, v35
	v_bfe_i32 v42, v25, 0, 8
	v_cvt_f32_i32_sdwa v41, sext(v52) dst_sel:DWORD dst_unused:UNUSED_PAD src0_sel:WORD_0
	v_bfe_i32 v27, v27, 0, 8
	v_cvt_f32_i32_sdwa v24, sext(v61) dst_sel:DWORD dst_unused:UNUSED_PAD src0_sel:WORD_0
	v_bfe_i32 v57, v69, 0, 8
	v_bfe_i32 v59, v36, 0, 8
	v_bfe_i32 v61, v33, 0, 8
	v_bfe_i32 v78, v35, 0, 8
	v_cvt_f32_i32_sdwa v30, sext(v68) dst_sel:DWORD dst_unused:UNUSED_PAD src0_sel:WORD_0
	v_cvt_f32_i32_sdwa v25, sext(v53) dst_sel:DWORD dst_unused:UNUSED_PAD src0_sel:WORD_0
	;; [unrolled: 1-line block ×3, first 2 shown]
	v_bfe_i32 v68, v70, 0, 8
	v_cvt_f32_i32_sdwa v35, sext(v42) dst_sel:DWORD dst_unused:UNUSED_PAD src0_sel:WORD_0
	v_cvt_f32_i32_sdwa v43, sext(v55) dst_sel:DWORD dst_unused:UNUSED_PAD src0_sel:WORD_0
	;; [unrolled: 1-line block ×3, first 2 shown]
	v_lshrrev_b32_e32 v23, 8, v73
	v_cvt_f32_i32_sdwa v28, sext(v27) dst_sel:DWORD dst_unused:UNUSED_PAD src0_sel:WORD_0
	v_bfe_i32 v69, v34, 0, 8
	v_cvt_f32_i32_sdwa v34, sext(v31) dst_sel:DWORD dst_unused:UNUSED_PAD src0_sel:WORD_0
	v_cvt_f32_i32_sdwa v31, sext(v56) dst_sel:DWORD dst_unused:UNUSED_PAD src0_sel:WORD_0
	v_bfe_i32 v70, v45, 0, 8
	v_bfe_i32 v80, v47, 0, 8
	v_cvt_f32_i32_sdwa v45, sext(v58) dst_sel:DWORD dst_unused:UNUSED_PAD src0_sel:WORD_0
	v_cvt_f32_i32_sdwa v44, sext(v57) dst_sel:DWORD dst_unused:UNUSED_PAD src0_sel:WORD_0
	;; [unrolled: 1-line block ×4, first 2 shown]
	v_lshrrev_b32_e32 v68, 16, v73
	v_bfe_i32 v23, v23, 0, 8
	v_cvt_f32_i32_sdwa v33, sext(v59) dst_sel:DWORD dst_unused:UNUSED_PAD src0_sel:WORD_0
	v_cvt_f32_i32_sdwa v52, sext(v69) dst_sel:DWORD dst_unused:UNUSED_PAD src0_sel:WORD_0
	v_lshrrev_b32_e32 v66, 24, v73
	s_waitcnt vmcnt(0)
	v_lshrrev_b32_e32 v69, 16, v74
	v_bfe_i32 v68, v68, 0, 8
	v_pk_fma_f32 v[2:3], v[10:11], v[22:23], v[2:3] op_sel_hi:[1,0,1]
	v_cvt_f32_i32_sdwa v10, sext(v23) dst_sel:DWORD dst_unused:UNUSED_PAD src0_sel:WORD_0
	v_cvt_f32_i32_sdwa v49, sext(v63) dst_sel:DWORD dst_unused:UNUSED_PAD src0_sel:WORD_0
	;; [unrolled: 1-line block ×4, first 2 shown]
	v_bfe_i32 v70, v66, 0, 8
	v_bfe_i32 v29, v69, 0, 8
	v_cvt_f32_i32_sdwa v66, sext(v68) dst_sel:DWORD dst_unused:UNUSED_PAD src0_sel:WORD_0
	v_pk_fma_f32 v[0:1], v[40:41], v[22:23], v[0:1] op_sel_hi:[1,0,1]
	v_bfe_i32 v39, v39, 0, 8
	v_cvt_f32_i32_sdwa v53, sext(v78) dst_sel:DWORD dst_unused:UNUSED_PAD src0_sel:WORD_0
	v_bfe_i32 v58, v76, 0, 8
	v_bfe_i32 v59, v77, 0, 8
	;; [unrolled: 1-line block ×3, first 2 shown]
	v_lshrrev_b32_e32 v7, 8, v74
	v_cvt_f32_i32_sdwa v22, sext(v70) dst_sel:DWORD dst_unused:UNUSED_PAD src0_sel:WORD_0
	v_pk_fma_f32 v[2:3], v[24:25], v[28:29], v[2:3] op_sel_hi:[1,0,1]
	v_pk_fma_f32 v[0:1], v[42:43], v[28:29], v[0:1] op_sel_hi:[1,0,1]
	v_cvt_f32_i32_sdwa v39, sext(v39) dst_sel:DWORD dst_unused:UNUSED_PAD src0_sel:WORD_0
	v_cvt_f32_i32_sdwa v59, sext(v59) dst_sel:DWORD dst_unused:UNUSED_PAD src0_sel:WORD_0
	;; [unrolled: 1-line block ×3, first 2 shown]
	v_lshrrev_b32_e32 v67, 24, v74
	v_bfe_i32 v7, v7, 0, 8
	v_cvt_f32_i32_sdwa v6, sext(v6) dst_sel:DWORD dst_unused:UNUSED_PAD src0_sel:WORD_0
	v_pk_fma_f32 v[2:3], v[30:31], v[4:5], v[2:3] op_sel_hi:[1,0,1]
	v_pk_fma_f32 v[0:1], v[44:45], v[4:5], v[0:1] op_sel_hi:[1,0,1]
	v_cvt_f32_i32_sdwa v50, sext(v65) dst_sel:DWORD dst_unused:UNUSED_PAD src0_sel:WORD_0
	v_bfe_i32 v67, v67, 0, 8
	v_cvt_f32_i32_sdwa v40, sext(v7) dst_sel:DWORD dst_unused:UNUSED_PAD src0_sel:WORD_0
	v_pk_fma_f32 v[2:3], v[32:33], v[10:11], v[2:3] op_sel_hi:[1,0,1]
	v_pk_fma_f32 v[0:1], v[46:47], v[10:11], v[0:1] op_sel_hi:[1,0,1]
	v_bfe_i32 v71, v71, 0, 8
	v_cvt_f32_i32_sdwa v54, sext(v64) dst_sel:DWORD dst_unused:UNUSED_PAD src0_sel:WORD_0
	v_cvt_f32_i32_sdwa v63, sext(v80) dst_sel:DWORD dst_unused:UNUSED_PAD src0_sel:WORD_0
	;; [unrolled: 1-line block ×4, first 2 shown]
	v_pk_fma_f32 v[2:3], v[34:35], v[66:67], v[2:3] op_sel_hi:[1,0,1]
	v_pk_fma_f32 v[0:1], v[48:49], v[66:67], v[0:1] op_sel_hi:[1,0,1]
	v_cvt_f32_i32_sdwa v56, sext(v75) dst_sel:DWORD dst_unused:UNUSED_PAD src0_sel:WORD_0
	v_cvt_f32_i32_sdwa v57, sext(v71) dst_sel:DWORD dst_unused:UNUSED_PAD src0_sel:WORD_0
	;; [unrolled: 1-line block ×5, first 2 shown]
	v_pk_fma_f32 v[2:3], v[36:37], v[22:23], v[2:3] op_sel_hi:[1,0,1]
	v_pk_fma_f32 v[0:1], v[52:53], v[22:23], v[0:1] op_sel_hi:[1,0,1]
	;; [unrolled: 1-line block ×10, first 2 shown]
	s_andn2_b64 exec, exec, s[10:11]
	s_cbranch_execnz .LBB86_35
; %bb.36:
	s_or_b64 exec, exec, s[10:11]
.LBB86_37:
	s_or_b64 exec, exec, s[8:9]
.LBB86_38:
	s_or_b64 exec, exec, s[2:3]
.LBB86_39:
	v_mov_b32_dpp v0, v24 row_shr:1 row_mask:0xf bank_mask:0xf
	v_mov_b32_dpp v1, v25 row_shr:1 row_mask:0xf bank_mask:0xf
	;; [unrolled: 1-line block ×4, first 2 shown]
	v_pk_add_f32 v[0:1], v[24:25], v[0:1]
	v_pk_add_f32 v[4:5], v[22:23], v[4:5]
	v_cmp_eq_u32_e32 vcc, 7, v14
	v_mov_b32_dpp v2, v0 row_shr:2 row_mask:0xf bank_mask:0xf
	v_mov_b32_dpp v3, v1 row_shr:2 row_mask:0xf bank_mask:0xf
	;; [unrolled: 1-line block ×4, first 2 shown]
	v_pk_add_f32 v[0:1], v[0:1], v[2:3]
	v_pk_add_f32 v[4:5], v[4:5], v[6:7]
	s_nop 0
	v_mov_b32_dpp v2, v0 row_shr:4 row_mask:0xf bank_mask:0xe
	v_mov_b32_dpp v3, v1 row_shr:4 row_mask:0xf bank_mask:0xe
	;; [unrolled: 1-line block ×4, first 2 shown]
	s_and_b64 exec, exec, vcc
	s_cbranch_execz .LBB86_10
; %bb.40:
	s_load_dwordx2 s[0:1], s[4:5], 0x58
	v_cmp_eq_f32_e64 s[2:3], s20, 0
	v_pk_add_f32 v[2:3], v[0:1], v[2:3]
	v_pk_add_f32 v[0:1], v[4:5], v[6:7]
	s_and_b64 vcc, exec, s[2:3]
	v_lshlrev_b64 v[4:5], 4, v[12:13]
	s_cbranch_vccz .LBB86_42
; %bb.41:
	s_waitcnt lgkmcnt(0)
	v_mov_b32_e32 v6, s1
	v_add_co_u32_e32 v10, vcc, s0, v4
	v_addc_co_u32_e32 v11, vcc, v6, v5, vcc
	v_pk_mul_f32 v[6:7], s[16:17], v[2:3] op_sel_hi:[0,1]
	v_pk_mul_f32 v[8:9], s[16:17], v[0:1] op_sel_hi:[0,1]
	global_store_dwordx4 v[10:11], v[6:9], off
	s_cbranch_execnz .LBB86_10
	s_branch .LBB86_43
.LBB86_42:
.LBB86_43:
	s_waitcnt lgkmcnt(0)
	v_mov_b32_e32 v6, s1
	v_add_co_u32_e32 v8, vcc, s0, v4
	v_addc_co_u32_e32 v9, vcc, v6, v5, vcc
	global_load_dwordx4 v[4:7], v[8:9], off
	v_pk_mul_f32 v[2:3], s[16:17], v[2:3] op_sel_hi:[0,1]
	v_pk_mul_f32 v[10:11], s[16:17], v[0:1] op_sel_hi:[0,1]
	s_waitcnt vmcnt(0)
	v_pk_fma_f32 v[0:1], s[20:21], v[4:5], v[2:3] op_sel_hi:[0,1,1]
	v_pk_fma_f32 v[2:3], s[20:21], v[6:7], v[10:11] op_sel_hi:[0,1,1]
	global_store_dwordx4 v[8:9], v[0:3], off
	s_endpgm
	.section	.rodata,"a",@progbits
	.p2align	6, 0x0
	.amdhsa_kernel _ZN9rocsparseL18bsrxmvn_4x4_kernelILj128ELj8EfllaafEEvT3_20rocsparse_direction_NS_24const_host_device_scalarIT1_EES1_PKS1_PKT2_SA_S7_PKT4_PKT5_S5_PT6_21rocsparse_index_base_b
		.amdhsa_group_segment_fixed_size 0
		.amdhsa_private_segment_fixed_size 0
		.amdhsa_kernarg_size 104
		.amdhsa_user_sgpr_count 6
		.amdhsa_user_sgpr_private_segment_buffer 1
		.amdhsa_user_sgpr_dispatch_ptr 0
		.amdhsa_user_sgpr_queue_ptr 0
		.amdhsa_user_sgpr_kernarg_segment_ptr 1
		.amdhsa_user_sgpr_dispatch_id 0
		.amdhsa_user_sgpr_flat_scratch_init 0
		.amdhsa_user_sgpr_kernarg_preload_length 0
		.amdhsa_user_sgpr_kernarg_preload_offset 0
		.amdhsa_user_sgpr_private_segment_size 0
		.amdhsa_uses_dynamic_stack 0
		.amdhsa_system_sgpr_private_segment_wavefront_offset 0
		.amdhsa_system_sgpr_workgroup_id_x 1
		.amdhsa_system_sgpr_workgroup_id_y 0
		.amdhsa_system_sgpr_workgroup_id_z 0
		.amdhsa_system_sgpr_workgroup_info 0
		.amdhsa_system_vgpr_workitem_id 0
		.amdhsa_next_free_vgpr 96
		.amdhsa_next_free_sgpr 24
		.amdhsa_accum_offset 96
		.amdhsa_reserve_vcc 1
		.amdhsa_reserve_flat_scratch 0
		.amdhsa_float_round_mode_32 0
		.amdhsa_float_round_mode_16_64 0
		.amdhsa_float_denorm_mode_32 3
		.amdhsa_float_denorm_mode_16_64 3
		.amdhsa_dx10_clamp 1
		.amdhsa_ieee_mode 1
		.amdhsa_fp16_overflow 0
		.amdhsa_tg_split 0
		.amdhsa_exception_fp_ieee_invalid_op 0
		.amdhsa_exception_fp_denorm_src 0
		.amdhsa_exception_fp_ieee_div_zero 0
		.amdhsa_exception_fp_ieee_overflow 0
		.amdhsa_exception_fp_ieee_underflow 0
		.amdhsa_exception_fp_ieee_inexact 0
		.amdhsa_exception_int_div_zero 0
	.end_amdhsa_kernel
	.section	.text._ZN9rocsparseL18bsrxmvn_4x4_kernelILj128ELj8EfllaafEEvT3_20rocsparse_direction_NS_24const_host_device_scalarIT1_EES1_PKS1_PKT2_SA_S7_PKT4_PKT5_S5_PT6_21rocsparse_index_base_b,"axG",@progbits,_ZN9rocsparseL18bsrxmvn_4x4_kernelILj128ELj8EfllaafEEvT3_20rocsparse_direction_NS_24const_host_device_scalarIT1_EES1_PKS1_PKT2_SA_S7_PKT4_PKT5_S5_PT6_21rocsparse_index_base_b,comdat
.Lfunc_end86:
	.size	_ZN9rocsparseL18bsrxmvn_4x4_kernelILj128ELj8EfllaafEEvT3_20rocsparse_direction_NS_24const_host_device_scalarIT1_EES1_PKS1_PKT2_SA_S7_PKT4_PKT5_S5_PT6_21rocsparse_index_base_b, .Lfunc_end86-_ZN9rocsparseL18bsrxmvn_4x4_kernelILj128ELj8EfllaafEEvT3_20rocsparse_direction_NS_24const_host_device_scalarIT1_EES1_PKS1_PKT2_SA_S7_PKT4_PKT5_S5_PT6_21rocsparse_index_base_b
                                        ; -- End function
	.section	.AMDGPU.csdata,"",@progbits
; Kernel info:
; codeLenInByte = 6580
; NumSgprs: 28
; NumVgprs: 96
; NumAgprs: 0
; TotalNumVgprs: 96
; ScratchSize: 0
; MemoryBound: 0
; FloatMode: 240
; IeeeMode: 1
; LDSByteSize: 0 bytes/workgroup (compile time only)
; SGPRBlocks: 3
; VGPRBlocks: 11
; NumSGPRsForWavesPerEU: 28
; NumVGPRsForWavesPerEU: 96
; AccumOffset: 96
; Occupancy: 5
; WaveLimiterHint : 1
; COMPUTE_PGM_RSRC2:SCRATCH_EN: 0
; COMPUTE_PGM_RSRC2:USER_SGPR: 6
; COMPUTE_PGM_RSRC2:TRAP_HANDLER: 0
; COMPUTE_PGM_RSRC2:TGID_X_EN: 1
; COMPUTE_PGM_RSRC2:TGID_Y_EN: 0
; COMPUTE_PGM_RSRC2:TGID_Z_EN: 0
; COMPUTE_PGM_RSRC2:TIDIG_COMP_CNT: 0
; COMPUTE_PGM_RSRC3_GFX90A:ACCUM_OFFSET: 23
; COMPUTE_PGM_RSRC3_GFX90A:TG_SPLIT: 0
	.section	.text._ZN9rocsparseL18bsrxmvn_4x4_kernelILj128ELj16EfllaafEEvT3_20rocsparse_direction_NS_24const_host_device_scalarIT1_EES1_PKS1_PKT2_SA_S7_PKT4_PKT5_S5_PT6_21rocsparse_index_base_b,"axG",@progbits,_ZN9rocsparseL18bsrxmvn_4x4_kernelILj128ELj16EfllaafEEvT3_20rocsparse_direction_NS_24const_host_device_scalarIT1_EES1_PKS1_PKT2_SA_S7_PKT4_PKT5_S5_PT6_21rocsparse_index_base_b,comdat
	.globl	_ZN9rocsparseL18bsrxmvn_4x4_kernelILj128ELj16EfllaafEEvT3_20rocsparse_direction_NS_24const_host_device_scalarIT1_EES1_PKS1_PKT2_SA_S7_PKT4_PKT5_S5_PT6_21rocsparse_index_base_b ; -- Begin function _ZN9rocsparseL18bsrxmvn_4x4_kernelILj128ELj16EfllaafEEvT3_20rocsparse_direction_NS_24const_host_device_scalarIT1_EES1_PKS1_PKT2_SA_S7_PKT4_PKT5_S5_PT6_21rocsparse_index_base_b
	.p2align	8
	.type	_ZN9rocsparseL18bsrxmvn_4x4_kernelILj128ELj16EfllaafEEvT3_20rocsparse_direction_NS_24const_host_device_scalarIT1_EES1_PKS1_PKT2_SA_S7_PKT4_PKT5_S5_PT6_21rocsparse_index_base_b,@function
_ZN9rocsparseL18bsrxmvn_4x4_kernelILj128ELj16EfllaafEEvT3_20rocsparse_direction_NS_24const_host_device_scalarIT1_EES1_PKS1_PKT2_SA_S7_PKT4_PKT5_S5_PT6_21rocsparse_index_base_b: ; @_ZN9rocsparseL18bsrxmvn_4x4_kernelILj128ELj16EfllaafEEvT3_20rocsparse_direction_NS_24const_host_device_scalarIT1_EES1_PKS1_PKT2_SA_S7_PKT4_PKT5_S5_PT6_21rocsparse_index_base_b
; %bb.0:
	s_load_dwordx2 s[22:23], s[4:5], 0x60
	s_load_dwordx4 s[16:19], s[4:5], 0x10
	s_load_dwordx2 s[20:21], s[4:5], 0x50
	s_waitcnt lgkmcnt(0)
	s_bitcmp1_b32 s23, 0
	s_cselect_b64 s[2:3], -1, 0
	s_xor_b64 s[0:1], s[2:3], -1
	s_and_b64 vcc, exec, s[2:3]
	s_cbranch_vccnz .LBB87_2
; %bb.1:
	s_load_dword s16, s[16:17], 0x0
.LBB87_2:
	s_andn2_b64 vcc, exec, s[0:1]
	s_cbranch_vccnz .LBB87_4
; %bb.3:
	s_load_dword s20, s[20:21], 0x0
.LBB87_4:
	s_waitcnt lgkmcnt(0)
	v_cmp_neq_f32_e64 s[0:1], s16, 0
	v_cmp_neq_f32_e64 s[2:3], s20, 1.0
	s_or_b64 s[0:1], s[0:1], s[2:3]
	s_andn2_b64 vcc, exec, s[0:1]
	s_cbranch_vccnz .LBB87_10
; %bb.5:
	s_load_dwordx2 s[2:3], s[4:5], 0x20
	v_lshrrev_b32_e32 v1, 4, v0
	v_lshl_or_b32 v2, s6, 3, v1
	v_mov_b32_e32 v3, 0
	s_mov_b64 s[0:1], 0
	s_waitcnt lgkmcnt(0)
	s_cmp_lg_u64 s[2:3], 0
	s_cbranch_scc0 .LBB87_11
; %bb.6:
	v_cmp_gt_i64_e32 vcc, s[18:19], v[2:3]
                                        ; implicit-def: $vgpr12_vgpr13
	s_and_saveexec_b64 s[6:7], vcc
	s_xor_b64 s[6:7], exec, s[6:7]
                                        ; implicit-def: $sgpr18_sgpr19
	s_cbranch_execz .LBB87_8
; %bb.7:
	v_lshlrev_b64 v[4:5], 3, v[2:3]
	v_mov_b32_e32 v1, s3
	v_add_co_u32_e32 v4, vcc, s2, v4
	v_addc_co_u32_e32 v5, vcc, v1, v5, vcc
	global_load_dwordx2 v[4:5], v[4:5], off
	s_mov_b64 s[0:1], exec
	s_mov_b32 s19, 0
	s_waitcnt vmcnt(0)
	v_subrev_co_u32_e32 v12, vcc, s22, v4
	v_subbrev_co_u32_e32 v13, vcc, 0, v5, vcc
.LBB87_8:
	s_or_b64 exec, exec, s[6:7]
.LBB87_9:
	s_and_saveexec_b64 s[2:3], s[0:1]
	s_cbranch_execnz .LBB87_15
.LBB87_10:
	s_endpgm
.LBB87_11:
                                        ; implicit-def: $vgpr12_vgpr13
                                        ; implicit-def: $sgpr18_sgpr19
	s_cbranch_execz .LBB87_9
; %bb.12:
	s_load_dwordx2 s[2:3], s[4:5], 0x0
                                        ; implicit-def: $vgpr12_vgpr13
	s_waitcnt lgkmcnt(0)
	v_cmp_gt_i64_e32 vcc, s[2:3], v[2:3]
	s_and_saveexec_b64 s[2:3], vcc
                                        ; implicit-def: $sgpr18_sgpr19
; %bb.13:
	s_mov_b32 s19, 0
	s_or_b64 s[0:1], s[0:1], exec
	v_pk_mov_b32 v[12:13], v[2:3], v[2:3] op_sel:[0,1]
; %bb.14:
	s_or_b64 exec, exec, s[2:3]
	s_and_saveexec_b64 s[2:3], s[0:1]
	s_cbranch_execz .LBB87_10
.LBB87_15:
	s_load_dwordx8 s[8:15], s[4:5], 0x28
	v_lshlrev_b64 v[2:3], 3, v[12:13]
	v_and_b32_e32 v14, 15, v0
	v_mov_b32_e32 v0, s19
	v_mov_b32_e32 v23, 0
	s_waitcnt lgkmcnt(0)
	v_mov_b32_e32 v1, s9
	v_add_co_u32_e32 v4, vcc, s8, v2
	v_addc_co_u32_e32 v5, vcc, v1, v3, vcc
	v_add_co_u32_e32 v1, vcc, 8, v4
	global_load_dwordx2 v[26:27], v[4:5], off
	v_addc_co_u32_e32 v4, vcc, 0, v5, vcc
	v_mov_b32_e32 v5, s11
	v_add_co_u32_e32 v2, vcc, s10, v2
	s_cmp_eq_u64 s[10:11], 0
	v_addc_co_u32_e32 v3, vcc, v5, v3, vcc
	s_cselect_b64 vcc, -1, 0
	v_cndmask_b32_e32 v3, v3, v4, vcc
	v_cndmask_b32_e32 v2, v2, v1, vcc
	global_load_dwordx2 v[2:3], v[2:3], off
	s_load_dwordx2 s[6:7], s[4:5], 0x48
	s_load_dword s0, s[4:5], 0x8
	v_mov_b32_e32 v4, s15
	s_waitcnt lgkmcnt(0)
	s_cmp_eq_u32 s0, 1
	s_waitcnt vmcnt(1)
	v_subrev_co_u32_e32 v1, vcc, s22, v26
	v_subb_co_u32_e32 v5, vcc, v27, v0, vcc
	v_add_co_u32_e32 v16, vcc, v1, v14
	v_addc_co_u32_e32 v17, vcc, 0, v5, vcc
	s_waitcnt vmcnt(0)
	v_subrev_co_u32_e32 v18, vcc, s22, v2
	v_subb_co_u32_e32 v19, vcc, v3, v0, vcc
	v_lshlrev_b64 v[0:1], 4, v[16:17]
	v_add_co_u32_e32 v20, vcc, s14, v0
	v_addc_co_u32_e32 v21, vcc, v4, v1, vcc
	v_cmp_lt_i64_e64 s[0:1], v[16:17], v[18:19]
	s_cbranch_scc1 .LBB87_27
; %bb.16:
	v_mov_b32_e32 v22, 0
	v_mov_b32_e32 v25, 0
	;; [unrolled: 1-line block ×3, first 2 shown]
	s_and_saveexec_b64 s[8:9], s[0:1]
	s_cbranch_execz .LBB87_26
; %bb.17:
	v_or_b32_e32 v0, 16, v14
	v_mov_b32_e32 v1, s19
	v_subrev_co_u32_e32 v0, vcc, s22, v0
	v_subb_co_u32_e32 v1, vcc, 0, v1, vcc
	v_add_co_u32_e32 v0, vcc, v0, v26
	v_addc_co_u32_e32 v1, vcc, v1, v27, vcc
	v_cmp_gt_i64_e32 vcc, v[0:1], v[18:19]
	v_cndmask_b32_e32 v1, v19, v1, vcc
	v_cndmask_b32_e32 v0, v18, v0, vcc
	v_mov_b32_e32 v4, s19
	v_sub_co_u32_e32 v5, vcc, s22, v14
	v_not_b32_e32 v3, v26
	v_subbrev_co_u32_e32 v4, vcc, 0, v4, vcc
	v_not_b32_e32 v2, v27
	v_add_co_u32_e32 v3, vcc, v5, v3
	v_addc_co_u32_e32 v2, vcc, v4, v2, vcc
	v_add_co_u32_e32 v0, vcc, v3, v0
	v_addc_co_u32_e32 v1, vcc, v2, v1, vcc
	v_lshrrev_b32_e32 v2, 4, v0
	v_add_u32_e32 v2, 1, v2
	v_and_b32_e32 v2, 3, v2
	v_mov_b32_e32 v24, 0
	v_cmp_ne_u32_e32 vcc, 0, v2
	v_mov_b32_e32 v25, v24
	v_mov_b32_e32 v22, v24
	;; [unrolled: 1-line block ×3, first 2 shown]
	v_pk_mov_b32 v[28:29], v[16:17], v[16:17] op_sel:[0,1]
	v_pk_mov_b32 v[30:31], v[20:21], v[20:21] op_sel:[0,1]
	s_and_saveexec_b64 s[10:11], vcc
	s_cbranch_execz .LBB87_21
; %bb.18:
	v_lshlrev_b64 v[4:5], 3, v[16:17]
	v_mov_b32_e32 v3, 0
	v_mov_b32_e32 v6, s13
	v_add_co_u32_e32 v4, vcc, s12, v4
	v_addc_co_u32_e32 v5, vcc, v6, v5, vcc
	v_lshlrev_b32_e32 v2, 1, v2
	s_mov_b64 s[14:15], 0
	v_mov_b32_e32 v6, s19
	v_mov_b32_e32 v7, s7
	s_movk_i32 s17, 0x100
	v_pk_mov_b32 v[30:31], v[20:21], v[20:21] op_sel:[0,1]
	v_pk_mov_b32 v[28:29], v[16:17], v[16:17] op_sel:[0,1]
	v_mov_b32_e32 v23, v3
	v_mov_b32_e32 v22, v3
	;; [unrolled: 1-line block ×4, first 2 shown]
.LBB87_19:                              ; =>This Inner Loop Header: Depth=1
	global_load_dwordx2 v[32:33], v[4:5], off
	global_load_dwordx4 v[8:11], v[30:31], off
	v_add_co_u32_e64 v28, s[2:3], 16, v28
	v_addc_co_u32_e64 v29, s[2:3], 0, v29, s[2:3]
	v_add_co_u32_e64 v2, s[2:3], -2, v2
	v_addc_co_u32_e64 v3, s[2:3], -1, v3, s[2:3]
	v_cmp_eq_u64_e64 s[2:3], 0, v[2:3]
	s_or_b64 s[14:15], s[2:3], s[14:15]
	s_waitcnt vmcnt(1)
	v_subrev_co_u32_e32 v32, vcc, s22, v32
	v_subb_co_u32_e32 v33, vcc, v33, v6, vcc
	v_lshlrev_b64 v[32:33], 2, v[32:33]
	v_add_co_u32_e32 v32, vcc, s6, v32
	v_addc_co_u32_e32 v33, vcc, v7, v33, vcc
	global_load_dword v15, v[32:33], off
	s_waitcnt vmcnt(1)
	v_lshrrev_b32_e32 v37, 16, v9
	v_lshrrev_b32_e32 v42, 8, v11
	;; [unrolled: 1-line block ×4, first 2 shown]
	v_bfe_i32 v35, v9, 0, 8
	v_lshrrev_b32_e32 v36, 8, v9
	v_lshrrev_b32_e32 v9, 24, v9
	;; [unrolled: 1-line block ×3, first 2 shown]
	v_bfe_i32 v41, v11, 0, 8
	v_lshrrev_b32_e32 v11, 24, v11
	v_bfe_i32 v37, v37, 0, 8
	v_bfe_i32 v42, v42, 0, 8
	;; [unrolled: 1-line block ×4, first 2 shown]
	v_lshrrev_b32_e32 v34, 16, v8
	v_lshrrev_b32_e32 v8, 24, v8
	v_bfe_i32 v38, v10, 0, 8
	v_lshrrev_b32_e32 v39, 8, v10
	v_bfe_i32 v33, v33, 0, 8
	v_bfe_i32 v36, v36, 0, 8
	v_bfe_i32 v45, v9, 0, 8
	v_bfe_i32 v40, v40, 0, 8
	v_bfe_i32 v47, v11, 0, 8
	v_cvt_f32_i32_sdwa v49, sext(v35) dst_sel:DWORD dst_unused:UNUSED_PAD src0_sel:WORD_0
	v_cvt_f32_i32_sdwa v11, sext(v37) dst_sel:DWORD dst_unused:UNUSED_PAD src0_sel:WORD_0
	;; [unrolled: 1-line block ×4, first 2 shown]
	v_lshrrev_b32_e32 v10, 24, v10
	v_bfe_i32 v34, v34, 0, 8
	v_bfe_i32 v44, v8, 0, 8
	;; [unrolled: 1-line block ×3, first 2 shown]
	v_cvt_f32_i32_sdwa v48, sext(v32) dst_sel:DWORD dst_unused:UNUSED_PAD src0_sel:WORD_0
	v_cvt_f32_i32_sdwa v50, sext(v38) dst_sel:DWORD dst_unused:UNUSED_PAD src0_sel:WORD_0
	;; [unrolled: 1-line block ×7, first 2 shown]
	v_bfe_i32 v46, v10, 0, 8
	v_cvt_f32_i32_sdwa v10, sext(v34) dst_sel:DWORD dst_unused:UNUSED_PAD src0_sel:WORD_0
	v_cvt_f32_i32_sdwa v32, sext(v44) dst_sel:DWORD dst_unused:UNUSED_PAD src0_sel:WORD_0
	;; [unrolled: 1-line block ×5, first 2 shown]
	v_add_co_u32_e32 v30, vcc, s17, v30
	v_addc_co_u32_e32 v31, vcc, 0, v31, vcc
	v_add_co_u32_e32 v4, vcc, 0x80, v4
	v_addc_co_u32_e32 v5, vcc, 0, v5, vcc
	s_waitcnt vmcnt(0)
	v_bfe_i32 v42, v15, 0, 8
	v_lshrrev_b32_e32 v43, 8, v15
	v_lshrrev_b32_e32 v40, 16, v15
	v_bfe_i32 v43, v43, 0, 8
	v_cvt_f32_i32_sdwa v45, sext(v42) dst_sel:DWORD dst_unused:UNUSED_PAD src0_sel:WORD_0
	v_lshrrev_b32_e32 v15, 24, v15
	v_bfe_i32 v44, v40, 0, 8
	v_cvt_f32_i32_sdwa v40, sext(v43) dst_sel:DWORD dst_unused:UNUSED_PAD src0_sel:WORD_0
	v_bfe_i32 v15, v15, 0, 8
	v_cvt_f32_i32_sdwa v42, sext(v44) dst_sel:DWORD dst_unused:UNUSED_PAD src0_sel:WORD_0
	v_cvt_f32_i32_sdwa v44, sext(v15) dst_sel:DWORD dst_unused:UNUSED_PAD src0_sel:WORD_0
	v_fmac_f32_e32 v24, v48, v45
	v_fmac_f32_e32 v25, v49, v45
	;; [unrolled: 1-line block ×4, first 2 shown]
	v_pk_fma_f32 v[8:9], v[8:9], v[40:41], v[24:25] op_sel_hi:[1,0,1]
	v_pk_fma_f32 v[22:23], v[34:35], v[40:41], v[22:23] op_sel_hi:[1,0,1]
	;; [unrolled: 1-line block ×6, first 2 shown]
	s_andn2_b64 exec, exec, s[14:15]
	s_cbranch_execnz .LBB87_19
; %bb.20:
	s_or_b64 exec, exec, s[14:15]
.LBB87_21:
	s_or_b64 exec, exec, s[10:11]
	v_cmp_lt_u64_e32 vcc, 47, v[0:1]
	s_and_saveexec_b64 s[10:11], vcc
	s_cbranch_execz .LBB87_25
; %bb.22:
	v_lshlrev_b64 v[0:1], 3, v[28:29]
	v_mov_b32_e32 v2, s13
	v_add_co_u32_e32 v0, vcc, s12, v0
	v_addc_co_u32_e32 v1, vcc, v1, v2, vcc
	v_add_co_u32_e32 v32, vcc, 0x100, v0
	v_addc_co_u32_e32 v33, vcc, 0, v1, vcc
	s_mov_b64 s[14:15], 0
	v_mov_b32_e32 v15, s19
	v_mov_b32_e32 v34, s7
.LBB87_23:                              ; =>This Inner Loop Header: Depth=1
	global_load_dwordx4 v[0:3], v[30:31], off
	global_load_dwordx4 v[8:11], v[30:31], off offset:256
	global_load_dwordx4 v[36:39], v[30:31], off offset:512
	;; [unrolled: 1-line block ×3, first 2 shown]
	s_waitcnt vmcnt(3)
	v_bfe_i32 v35, v0, 0, 8
	v_lshrrev_b32_e32 v40, 8, v0
	v_lshrrev_b32_e32 v41, 16, v0
	v_lshrrev_b32_e32 v42, 24, v0
	v_bfe_i32 v43, v1, 0, 8
	v_lshrrev_b32_e32 v44, 8, v1
	v_lshrrev_b32_e32 v45, 16, v1
	v_lshrrev_b32_e32 v46, 24, v1
	;; [unrolled: 4-line block ×4, first 2 shown]
	s_waitcnt vmcnt(2)
	v_bfe_i32 v55, v8, 0, 8
	v_lshrrev_b32_e32 v56, 8, v8
	v_lshrrev_b32_e32 v57, 16, v8
	v_lshrrev_b32_e32 v58, 24, v8
	v_bfe_i32 v59, v9, 0, 8
	v_lshrrev_b32_e32 v60, 8, v9
	v_lshrrev_b32_e32 v61, 16, v9
	v_lshrrev_b32_e32 v62, 24, v9
	v_bfe_i32 v63, v10, 0, 8
	v_lshrrev_b32_e32 v64, 8, v10
	v_lshrrev_b32_e32 v65, 16, v10
	v_lshrrev_b32_e32 v66, 24, v10
	v_bfe_i32 v67, v11, 0, 8
	v_lshrrev_b32_e32 v68, 8, v11
	v_lshrrev_b32_e32 v69, 16, v11
	v_lshrrev_b32_e32 v70, 24, v11
	global_load_dwordx2 v[0:1], v[32:33], off offset:-256
	global_load_dwordx2 v[2:3], v[32:33], off offset:-128
	global_load_dwordx2 v[8:9], v[32:33], off
	global_load_dwordx2 v[10:11], v[32:33], off offset:128
	s_waitcnt vmcnt(5)
	v_bfe_i32 v79, v38, 0, 8
	v_lshrrev_b32_e32 v80, 8, v38
	v_lshrrev_b32_e32 v81, 16, v38
	v_lshrrev_b32_e32 v82, 24, v38
	v_bfe_i32 v71, v36, 0, 8
	v_lshrrev_b32_e32 v72, 8, v36
	v_lshrrev_b32_e32 v73, 16, v36
	v_lshrrev_b32_e32 v74, 24, v36
	;; [unrolled: 4-line block ×3, first 2 shown]
	v_bfe_i32 v36, v40, 0, 8
	v_bfe_i32 v37, v44, 0, 8
	v_cvt_f32_i32_sdwa v36, sext(v36) dst_sel:DWORD dst_unused:UNUSED_PAD src0_sel:WORD_0
	v_cvt_f32_i32_sdwa v37, sext(v37) dst_sel:DWORD dst_unused:UNUSED_PAD src0_sel:WORD_0
	s_waitcnt vmcnt(4)
	v_lshrrev_b32_e32 v40, 24, v4
	v_lshrrev_b32_e32 v44, 24, v5
	v_bfe_i32 v83, v39, 0, 8
	v_lshrrev_b32_e32 v84, 8, v39
	v_lshrrev_b32_e32 v85, 16, v39
	;; [unrolled: 1-line block ×3, first 2 shown]
	v_cvt_f32_i32_sdwa v39, sext(v67) dst_sel:DWORD dst_unused:UNUSED_PAD src0_sel:WORD_0
	v_bfe_i32 v67, v82, 0, 8
	s_waitcnt vmcnt(3)
	v_subrev_co_u32_e32 v0, vcc, s22, v0
	v_subb_co_u32_e32 v1, vcc, v1, v15, vcc
	s_waitcnt vmcnt(2)
	v_subrev_co_u32_e32 v2, vcc, s22, v2
	v_subb_co_u32_e32 v3, vcc, v3, v15, vcc
	;; [unrolled: 3-line block ×4, first 2 shown]
	v_lshlrev_b64 v[0:1], 2, v[0:1]
	v_add_co_u32_e32 v0, vcc, s6, v0
	v_addc_co_u32_e32 v1, vcc, v34, v1, vcc
	v_lshlrev_b64 v[2:3], 2, v[2:3]
	v_add_co_u32_e32 v2, vcc, s6, v2
	v_addc_co_u32_e32 v3, vcc, v34, v3, vcc
	;; [unrolled: 3-line block ×4, first 2 shown]
	global_load_dword v38, v[0:1], off
	global_load_dword v87, v[2:3], off
	;; [unrolled: 1-line block ×4, first 2 shown]
	v_cvt_f32_i32_sdwa v0, sext(v35) dst_sel:DWORD dst_unused:UNUSED_PAD src0_sel:WORD_0
	v_bfe_i32 v9, v52, 0, 8
	v_cvt_f32_i32_sdwa v9, sext(v9) dst_sel:DWORD dst_unused:UNUSED_PAD src0_sel:WORD_0
	v_bfe_i32 v10, v4, 0, 8
	v_lshrrev_b32_e32 v11, 8, v4
	v_lshrrev_b32_e32 v35, 16, v4
	v_bfe_i32 v4, v41, 0, 8
	v_bfe_i32 v41, v5, 0, 8
	;; [unrolled: 1-line block ×6, first 2 shown]
	v_add_co_u32_e32 v28, vcc, 64, v28
	v_addc_co_u32_e32 v29, vcc, 0, v29, vcc
	v_add_co_u32_e32 v32, vcc, 0x200, v32
	v_addc_co_u32_e32 v33, vcc, 0, v33, vcc
	v_cmp_ge_i64_e64 s[2:3], v[28:29], v[18:19]
	v_add_co_u32_e32 v30, vcc, 0x400, v30
	v_addc_co_u32_e32 v31, vcc, 0, v31, vcc
	s_or_b64 s[14:15], s[2:3], s[14:15]
	s_waitcnt vmcnt(3)
	v_bfe_i32 v1, v38, 0, 8
	v_cvt_f32_i32_sdwa v1, sext(v1) dst_sel:DWORD dst_unused:UNUSED_PAD src0_sel:WORD_0
	v_fmac_f32_e32 v24, v0, v1
	v_cvt_f32_i32_sdwa v0, sext(v43) dst_sel:DWORD dst_unused:UNUSED_PAD src0_sel:WORD_0
	v_lshrrev_b32_e32 v43, 8, v5
	v_fmac_f32_e32 v25, v0, v1
	v_cvt_f32_i32_sdwa v0, sext(v47) dst_sel:DWORD dst_unused:UNUSED_PAD src0_sel:WORD_0
	v_bfe_i32 v47, v56, 0, 8
	v_bfe_i32 v56, v66, 0, 8
	;; [unrolled: 1-line block ×3, first 2 shown]
	v_fmac_f32_e32 v22, v0, v1
	v_cvt_f32_i32_sdwa v0, sext(v51) dst_sel:DWORD dst_unused:UNUSED_PAD src0_sel:WORD_0
	v_bfe_i32 v51, v57, 0, 8
	v_bfe_i32 v57, v69, 0, 8
	;; [unrolled: 1-line block ×3, first 2 shown]
	v_fmac_f32_e32 v23, v0, v1
	v_lshrrev_b32_e32 v0, 8, v38
	v_bfe_i32 v0, v0, 0, 8
	v_cvt_f32_i32_sdwa v0, sext(v0) dst_sel:DWORD dst_unused:UNUSED_PAD src0_sel:WORD_0
	v_pk_fma_f32 v[2:3], v[36:37], v[0:1], v[24:25] op_sel_hi:[1,0,1]
	v_bfe_i32 v1, v48, 0, 8
	v_cvt_f32_i32_sdwa v8, sext(v1) dst_sel:DWORD dst_unused:UNUSED_PAD src0_sel:WORD_0
	v_cvt_f32_i32_sdwa v37, sext(v59) dst_sel:DWORD dst_unused:UNUSED_PAD src0_sel:WORD_0
	;; [unrolled: 1-line block ×3, first 2 shown]
	v_bfe_i32 v55, v65, 0, 8
	v_pk_fma_f32 v[0:1], v[8:9], v[0:1], v[22:23] op_sel_hi:[1,0,1]
	v_bfe_i32 v8, v45, 0, 8
	v_cvt_f32_i32_sdwa v9, sext(v8) dst_sel:DWORD dst_unused:UNUSED_PAD src0_sel:WORD_0
	v_cvt_f32_i32_sdwa v8, sext(v4) dst_sel:DWORD dst_unused:UNUSED_PAD src0_sel:WORD_0
	v_lshrrev_b32_e32 v4, 16, v38
	v_bfe_i32 v4, v4, 0, 8
	v_cvt_f32_i32_sdwa v4, sext(v4) dst_sel:DWORD dst_unused:UNUSED_PAD src0_sel:WORD_0
	v_bfe_i32 v59, v72, 0, 8
	v_bfe_i32 v65, v80, 0, 8
	;; [unrolled: 1-line block ×3, first 2 shown]
	v_pk_fma_f32 v[2:3], v[8:9], v[4:5], v[2:3] op_sel_hi:[1,0,1]
	v_bfe_i32 v8, v49, 0, 8
	v_bfe_i32 v9, v53, 0, 8
	v_cvt_f32_i32_sdwa v9, sext(v9) dst_sel:DWORD dst_unused:UNUSED_PAD src0_sel:WORD_0
	v_cvt_f32_i32_sdwa v8, sext(v8) dst_sel:DWORD dst_unused:UNUSED_PAD src0_sel:WORD_0
	v_bfe_i32 v49, v64, 0, 8
	v_bfe_i32 v64, v78, 0, 8
	;; [unrolled: 1-line block ×3, first 2 shown]
	v_pk_fma_f32 v[0:1], v[8:9], v[4:5], v[0:1] op_sel_hi:[1,0,1]
	v_lshrrev_b32_e32 v8, 24, v38
	v_lshrrev_b32_e32 v9, 16, v5
	v_bfe_i32 v4, v42, 0, 8
	v_bfe_i32 v5, v46, 0, 8
	;; [unrolled: 1-line block ×3, first 2 shown]
	v_cvt_f32_i32_sdwa v5, sext(v5) dst_sel:DWORD dst_unused:UNUSED_PAD src0_sel:WORD_0
	v_cvt_f32_i32_sdwa v4, sext(v4) dst_sel:DWORD dst_unused:UNUSED_PAD src0_sel:WORD_0
	;; [unrolled: 1-line block ×3, first 2 shown]
	v_lshrrev_b32_e32 v42, 16, v7
	v_bfe_i32 v80, v42, 0, 8
	v_cvt_f32_i32_sdwa v42, sext(v49) dst_sel:DWORD dst_unused:UNUSED_PAD src0_sel:WORD_0
	v_pk_fma_f32 v[22:23], v[4:5], v[8:9], v[2:3] op_sel_hi:[1,0,1]
	v_bfe_i32 v2, v50, 0, 8
	v_bfe_i32 v3, v54, 0, 8
	v_cvt_f32_i32_sdwa v3, sext(v3) dst_sel:DWORD dst_unused:UNUSED_PAD src0_sel:WORD_0
	v_cvt_f32_i32_sdwa v2, sext(v2) dst_sel:DWORD dst_unused:UNUSED_PAD src0_sel:WORD_0
	v_bfe_i32 v54, v62, 0, 8
	v_bfe_i32 v62, v76, 0, 8
	v_cvt_f32_i32_sdwa v49, sext(v62) dst_sel:DWORD dst_unused:UNUSED_PAD src0_sel:WORD_0
	v_cvt_f32_i32_sdwa v62, sext(v35) dst_sel:DWORD dst_unused:UNUSED_PAD src0_sel:WORD_0
	s_waitcnt vmcnt(2)
	v_bfe_i32 v35, v87, 0, 8
	v_pk_fma_f32 v[24:25], v[2:3], v[8:9], v[0:1] op_sel_hi:[1,0,1]
	v_bfe_i32 v61, v74, 0, 8
	v_bfe_i32 v74, v9, 0, 8
	v_cvt_f32_i32_sdwa v9, sext(v64) dst_sel:DWORD dst_unused:UNUSED_PAD src0_sel:WORD_0
	v_cvt_f32_i32_sdwa v64, sext(v72) dst_sel:DWORD dst_unused:UNUSED_PAD src0_sel:WORD_0
	;; [unrolled: 1-line block ×3, first 2 shown]
	v_lshrrev_b32_e32 v5, 16, v6
	v_bfe_i32 v8, v7, 0, 8
	v_bfe_i32 v48, v60, 0, 8
	;; [unrolled: 1-line block ×4, first 2 shown]
	v_cvt_f32_i32_sdwa v38, sext(v63) dst_sel:DWORD dst_unused:UNUSED_PAD src0_sel:WORD_0
	v_bfe_i32 v63, v77, 0, 8
	v_bfe_i32 v77, v5, 0, 8
	v_cvt_f32_i32_sdwa v5, sext(v8) dst_sel:DWORD dst_unused:UNUSED_PAD src0_sel:WORD_0
	v_cvt_f32_i32_sdwa v8, sext(v61) dst_sel:DWORD dst_unused:UNUSED_PAD src0_sel:WORD_0
	;; [unrolled: 1-line block ×3, first 2 shown]
	v_lshrrev_b32_e32 v73, 8, v87
	v_lshrrev_b32_e32 v1, 8, v7
	v_pk_fma_f32 v[22:23], v[36:37], v[72:73], v[22:23] op_sel_hi:[1,0,1]
	v_bfe_i32 v36, v73, 0, 8
	v_bfe_i32 v50, v68, 0, 8
	v_cvt_f32_i32_sdwa v2, sext(v79) dst_sel:DWORD dst_unused:UNUSED_PAD src0_sel:WORD_0
	v_bfe_i32 v79, v1, 0, 8
	v_cvt_f32_i32_sdwa v1, sext(v41) dst_sel:DWORD dst_unused:UNUSED_PAD src0_sel:WORD_0
	v_cvt_f32_i32_sdwa v41, sext(v48) dst_sel:DWORD dst_unused:UNUSED_PAD src0_sel:WORD_0
	;; [unrolled: 1-line block ×5, first 2 shown]
	v_lshrrev_b32_e32 v35, 16, v87
	v_lshrrev_b32_e32 v37, 24, v87
	v_bfe_i32 v45, v6, 0, 8
	v_lshrrev_b32_e32 v4, 8, v6
	v_pk_fma_f32 v[24:25], v[38:39], v[72:73], v[24:25] op_sel_hi:[1,0,1]
	s_waitcnt vmcnt(1)
	v_bfe_i32 v38, v88, 0, 8
	v_pk_fma_f32 v[22:23], v[40:41], v[36:37], v[22:23] op_sel_hi:[1,0,1]
	s_waitcnt vmcnt(0)
	v_bfe_i32 v40, v89, 0, 8
	v_bfe_i32 v35, v35, 0, 8
	;; [unrolled: 1-line block ×3, first 2 shown]
	v_lshrrev_b32_e32 v46, 24, v7
	v_cvt_f32_i32_sdwa v7, sext(v75) dst_sel:DWORD dst_unused:UNUSED_PAD src0_sel:WORD_0
	v_bfe_i32 v75, v44, 0, 8
	v_bfe_i32 v76, v4, 0, 8
	v_cvt_f32_i32_sdwa v4, sext(v45) dst_sel:DWORD dst_unused:UNUSED_PAD src0_sel:WORD_0
	v_cvt_f32_i32_sdwa v45, sext(v53) dst_sel:DWORD dst_unused:UNUSED_PAD src0_sel:WORD_0
	;; [unrolled: 1-line block ×3, first 2 shown]
	v_pk_fma_f32 v[24:25], v[42:43], v[36:37], v[24:25] op_sel_hi:[1,0,1]
	v_cvt_f32_i32_sdwa v36, sext(v38) dst_sel:DWORD dst_unused:UNUSED_PAD src0_sel:WORD_0
	v_cvt_f32_i32_sdwa v38, sext(v40) dst_sel:DWORD dst_unused:UNUSED_PAD src0_sel:WORD_0
	;; [unrolled: 1-line block ×5, first 2 shown]
	v_bfe_i32 v81, v46, 0, 8
	v_cvt_f32_i32_sdwa v47, sext(v54) dst_sel:DWORD dst_unused:UNUSED_PAD src0_sel:WORD_0
	v_cvt_f32_i32_sdwa v46, sext(v52) dst_sel:DWORD dst_unused:UNUSED_PAD src0_sel:WORD_0
	;; [unrolled: 1-line block ×4, first 2 shown]
	v_lshrrev_b32_e32 v39, 8, v88
	v_lshrrev_b32_e32 v41, 8, v89
	v_cvt_f32_i32_sdwa v42, sext(v37) dst_sel:DWORD dst_unused:UNUSED_PAD src0_sel:WORD_0
	v_lshrrev_b32_e32 v0, 24, v6
	v_bfe_i32 v68, v84, 0, 8
	v_cvt_f32_i32_sdwa v6, sext(v71) dst_sel:DWORD dst_unused:UNUSED_PAD src0_sel:WORD_0
	v_cvt_f32_i32_sdwa v3, sext(v83) dst_sel:DWORD dst_unused:UNUSED_PAD src0_sel:WORD_0
	v_bfe_i32 v71, v11, 0, 8
	v_cvt_f32_i32_sdwa v11, sext(v63) dst_sel:DWORD dst_unused:UNUSED_PAD src0_sel:WORD_0
	v_cvt_f32_i32_sdwa v63, sext(v74) dst_sel:DWORD dst_unused:UNUSED_PAD src0_sel:WORD_0
	v_lshrrev_b32_e32 v74, 16, v88
	v_bfe_i32 v39, v39, 0, 8
	v_bfe_i32 v41, v41, 0, 8
	v_cvt_f32_i32_sdwa v48, sext(v59) dst_sel:DWORD dst_unused:UNUSED_PAD src0_sel:WORD_0
	v_cvt_f32_i32_sdwa v55, sext(v68) dst_sel:DWORD dst_unused:UNUSED_PAD src0_sel:WORD_0
	;; [unrolled: 1-line block ×4, first 2 shown]
	v_lshrrev_b32_e32 v72, 24, v88
	v_lshrrev_b32_e32 v75, 16, v89
	v_bfe_i32 v74, v74, 0, 8
	v_pk_fma_f32 v[22:23], v[44:45], v[40:41], v[22:23] op_sel_hi:[1,0,1]
	v_cvt_f32_i32_sdwa v44, sext(v39) dst_sel:DWORD dst_unused:UNUSED_PAD src0_sel:WORD_0
	v_bfe_i32 v78, v0, 0, 8
	v_cvt_f32_i32_sdwa v0, sext(v10) dst_sel:DWORD dst_unused:UNUSED_PAD src0_sel:WORD_0
	v_cvt_f32_i32_sdwa v10, sext(v60) dst_sel:DWORD dst_unused:UNUSED_PAD src0_sel:WORD_0
	;; [unrolled: 1-line block ×5, first 2 shown]
	v_bfe_i32 v76, v72, 0, 8
	v_bfe_i32 v43, v75, 0, 8
	v_cvt_f32_i32_sdwa v72, sext(v74) dst_sel:DWORD dst_unused:UNUSED_PAD src0_sel:WORD_0
	v_pk_fma_f32 v[24:25], v[50:51], v[40:41], v[24:25] op_sel_hi:[1,0,1]
	v_cvt_f32_i32_sdwa v59, sext(v70) dst_sel:DWORD dst_unused:UNUSED_PAD src0_sel:WORD_0
	v_cvt_f32_i32_sdwa v58, sext(v67) dst_sel:DWORD dst_unused:UNUSED_PAD src0_sel:WORD_0
	;; [unrolled: 1-line block ×3, first 2 shown]
	v_pk_fma_f32 v[22:23], v[46:47], v[42:43], v[22:23] op_sel_hi:[1,0,1]
	v_pk_fma_f32 v[24:25], v[52:53], v[42:43], v[24:25] op_sel_hi:[1,0,1]
	v_lshrrev_b32_e32 v73, 24, v89
	v_pk_fma_f32 v[6:7], v[6:7], v[36:37], v[22:23] op_sel_hi:[1,0,1]
	v_pk_fma_f32 v[2:3], v[2:3], v[36:37], v[24:25] op_sel_hi:[1,0,1]
	v_cvt_f32_i32_sdwa v60, sext(v71) dst_sel:DWORD dst_unused:UNUSED_PAD src0_sel:WORD_0
	v_cvt_f32_i32_sdwa v67, sext(v79) dst_sel:DWORD dst_unused:UNUSED_PAD src0_sel:WORD_0
	v_bfe_i32 v73, v73, 0, 8
	v_cvt_f32_i32_sdwa v50, sext(v41) dst_sel:DWORD dst_unused:UNUSED_PAD src0_sel:WORD_0
	v_pk_fma_f32 v[6:7], v[48:49], v[44:45], v[6:7] op_sel_hi:[1,0,1]
	v_pk_fma_f32 v[2:3], v[54:55], v[44:45], v[2:3] op_sel_hi:[1,0,1]
	v_cvt_f32_i32_sdwa v69, sext(v80) dst_sel:DWORD dst_unused:UNUSED_PAD src0_sel:WORD_0
	v_cvt_f32_i32_sdwa v68, sext(v77) dst_sel:DWORD dst_unused:UNUSED_PAD src0_sel:WORD_0
	;; [unrolled: 1-line block ×3, first 2 shown]
	v_pk_fma_f32 v[6:7], v[10:11], v[72:73], v[6:7] op_sel_hi:[1,0,1]
	v_pk_fma_f32 v[2:3], v[56:57], v[72:73], v[2:3] op_sel_hi:[1,0,1]
	v_cvt_f32_i32_sdwa v71, sext(v81) dst_sel:DWORD dst_unused:UNUSED_PAD src0_sel:WORD_0
	v_cvt_f32_i32_sdwa v70, sext(v78) dst_sel:DWORD dst_unused:UNUSED_PAD src0_sel:WORD_0
	;; [unrolled: 1-line block ×3, first 2 shown]
	v_pk_fma_f32 v[6:7], v[8:9], v[40:41], v[6:7] op_sel_hi:[1,0,1]
	v_pk_fma_f32 v[2:3], v[58:59], v[40:41], v[2:3] op_sel_hi:[1,0,1]
	;; [unrolled: 1-line block ×10, first 2 shown]
	s_andn2_b64 exec, exec, s[14:15]
	s_cbranch_execnz .LBB87_23
; %bb.24:
	s_or_b64 exec, exec, s[14:15]
.LBB87_25:
	s_or_b64 exec, exec, s[10:11]
.LBB87_26:
	s_or_b64 exec, exec, s[8:9]
	s_cbranch_execz .LBB87_28
	s_branch .LBB87_39
.LBB87_27:
                                        ; implicit-def: $vgpr23
                                        ; implicit-def: $vgpr25
.LBB87_28:
	s_mov_b32 s8, 0
	v_mov_b32_e32 v23, 0
	v_mov_b32_e32 v22, 0
	;; [unrolled: 1-line block ×4, first 2 shown]
	s_and_saveexec_b64 s[2:3], s[0:1]
	s_cbranch_execz .LBB87_38
; %bb.29:
	v_or_b32_e32 v0, 16, v14
	v_mov_b32_e32 v1, s19
	v_subrev_co_u32_e32 v0, vcc, s22, v0
	v_subb_co_u32_e32 v1, vcc, 0, v1, vcc
	v_add_co_u32_e32 v0, vcc, v0, v26
	v_addc_co_u32_e32 v1, vcc, v1, v27, vcc
	v_cmp_gt_i64_e32 vcc, v[0:1], v[18:19]
	v_cndmask_b32_e32 v1, v19, v1, vcc
	v_cndmask_b32_e32 v0, v18, v0, vcc
	v_mov_b32_e32 v4, s19
	v_sub_co_u32_e32 v5, vcc, s22, v14
	v_not_b32_e32 v3, v26
	v_subbrev_co_u32_e32 v4, vcc, 0, v4, vcc
	v_not_b32_e32 v2, v27
	v_add_co_u32_e32 v3, vcc, v5, v3
	v_addc_co_u32_e32 v2, vcc, v4, v2, vcc
	v_add_co_u32_e32 v0, vcc, v3, v0
	v_addc_co_u32_e32 v1, vcc, v2, v1, vcc
	v_lshrrev_b32_e32 v2, 4, v0
	v_add_u32_e32 v2, 1, v2
	v_and_b32_e32 v2, 3, v2
	s_mov_b32 s9, s8
	v_cmp_ne_u32_e32 vcc, 0, v2
	v_pk_mov_b32 v[24:25], s[8:9], s[8:9] op_sel:[0,1]
	v_pk_mov_b32 v[22:23], s[8:9], s[8:9] op_sel:[0,1]
	s_and_saveexec_b64 s[8:9], vcc
	s_cbranch_execz .LBB87_33
; %bb.30:
	v_lshlrev_b64 v[4:5], 3, v[16:17]
	v_mov_b32_e32 v3, 0
	v_mov_b32_e32 v6, s13
	v_add_co_u32_e32 v4, vcc, s12, v4
	v_addc_co_u32_e32 v5, vcc, v6, v5, vcc
	v_lshlrev_b32_e32 v2, 1, v2
	s_mov_b64 s[10:11], 0
	v_mov_b32_e32 v6, s19
	v_mov_b32_e32 v7, s7
	s_movk_i32 s14, 0x100
	v_mov_b32_e32 v22, v3
	v_mov_b32_e32 v23, v3
	;; [unrolled: 1-line block ×4, first 2 shown]
.LBB87_31:                              ; =>This Inner Loop Header: Depth=1
	global_load_dwordx2 v[26:27], v[4:5], off
	global_load_dwordx4 v[8:11], v[20:21], off
	v_add_co_u32_e64 v16, s[0:1], 16, v16
	v_addc_co_u32_e64 v17, s[0:1], 0, v17, s[0:1]
	v_add_co_u32_e64 v2, s[0:1], -2, v2
	v_addc_co_u32_e64 v3, s[0:1], -1, v3, s[0:1]
	v_cmp_eq_u64_e64 s[0:1], 0, v[2:3]
	s_or_b64 s[10:11], s[0:1], s[10:11]
	s_waitcnt vmcnt(1)
	v_subrev_co_u32_e32 v26, vcc, s22, v26
	v_subb_co_u32_e32 v27, vcc, v27, v6, vcc
	v_lshlrev_b64 v[26:27], 2, v[26:27]
	v_add_co_u32_e32 v26, vcc, s6, v26
	v_addc_co_u32_e32 v27, vcc, v7, v27, vcc
	global_load_dword v15, v[26:27], off
	s_waitcnt vmcnt(1)
	v_lshrrev_b32_e32 v26, 8, v8
	v_lshrrev_b32_e32 v28, 16, v8
	v_bfe_i32 v27, v8, 0, 8
	v_lshrrev_b32_e32 v8, 24, v8
	v_bfe_i32 v29, v9, 0, 8
	v_lshrrev_b32_e32 v30, 8, v9
	v_lshrrev_b32_e32 v31, 16, v9
	;; [unrolled: 1-line block ×5, first 2 shown]
	v_bfe_i32 v39, v26, 0, 8
	v_bfe_i32 v40, v28, 0, 8
	;; [unrolled: 1-line block ×5, first 2 shown]
	v_cvt_f32_i32_sdwa v8, sext(v27) dst_sel:DWORD dst_unused:UNUSED_PAD src0_sel:WORD_0
	v_bfe_i32 v27, v35, 0, 8
	v_bfe_i32 v35, v38, 0, 8
	v_cvt_f32_i32_sdwa v9, sext(v39) dst_sel:DWORD dst_unused:UNUSED_PAD src0_sel:WORD_0
	v_cvt_f32_i32_sdwa v30, sext(v40) dst_sel:DWORD dst_unused:UNUSED_PAD src0_sel:WORD_0
	v_lshrrev_b32_e32 v32, 8, v11
	v_bfe_i32 v33, v11, 0, 8
	v_lshrrev_b32_e32 v34, 16, v11
	v_lshrrev_b32_e32 v11, 24, v11
	;; [unrolled: 1-line block ×3, first 2 shown]
	v_bfe_i32 v43, v31, 0, 8
	v_cvt_f32_i32_sdwa v31, sext(v41) dst_sel:DWORD dst_unused:UNUSED_PAD src0_sel:WORD_0
	v_bfe_i32 v36, v10, 0, 8
	v_bfe_i32 v45, v32, 0, 8
	;; [unrolled: 1-line block ×4, first 2 shown]
	v_cvt_f32_i32_sdwa v10, sext(v29) dst_sel:DWORD dst_unused:UNUSED_PAD src0_sel:WORD_0
	v_cvt_f32_i32_sdwa v28, sext(v33) dst_sel:DWORD dst_unused:UNUSED_PAD src0_sel:WORD_0
	v_bfe_i32 v34, v37, 0, 8
	v_cvt_f32_i32_sdwa v11, sext(v42) dst_sel:DWORD dst_unused:UNUSED_PAD src0_sel:WORD_0
	v_cvt_f32_i32_sdwa v32, sext(v43) dst_sel:DWORD dst_unused:UNUSED_PAD src0_sel:WORD_0
	;; [unrolled: 1-line block ×10, first 2 shown]
	v_add_co_u32_e32 v20, vcc, s14, v20
	v_addc_co_u32_e32 v21, vcc, 0, v21, vcc
	v_add_co_u32_e32 v4, vcc, 0x80, v4
	v_addc_co_u32_e32 v5, vcc, 0, v5, vcc
	s_waitcnt vmcnt(0)
	v_lshrrev_b32_e32 v38, 16, v15
	v_bfe_i32 v39, v15, 0, 8
	v_lshrrev_b32_e32 v40, 8, v15
	v_bfe_i32 v40, v40, 0, 8
	v_bfe_i32 v41, v38, 0, 8
	v_cvt_f32_i32_sdwa v38, sext(v39) dst_sel:DWORD dst_unused:UNUSED_PAD src0_sel:WORD_0
	v_lshrrev_b32_e32 v15, 24, v15
	v_cvt_f32_i32_sdwa v40, sext(v40) dst_sel:DWORD dst_unused:UNUSED_PAD src0_sel:WORD_0
	v_bfe_i32 v15, v15, 0, 8
	v_cvt_f32_i32_sdwa v42, sext(v41) dst_sel:DWORD dst_unused:UNUSED_PAD src0_sel:WORD_0
	v_cvt_f32_i32_sdwa v44, sext(v15) dst_sel:DWORD dst_unused:UNUSED_PAD src0_sel:WORD_0
	v_pk_fma_f32 v[8:9], v[8:9], v[38:39], v[24:25] op_sel_hi:[1,0,1]
	v_pk_fma_f32 v[22:23], v[30:31], v[38:39], v[22:23] op_sel_hi:[1,0,1]
	;; [unrolled: 1-line block ×8, first 2 shown]
	s_andn2_b64 exec, exec, s[10:11]
	s_cbranch_execnz .LBB87_31
; %bb.32:
	s_or_b64 exec, exec, s[10:11]
.LBB87_33:
	s_or_b64 exec, exec, s[8:9]
	v_cmp_lt_u64_e32 vcc, 47, v[0:1]
	s_and_saveexec_b64 s[8:9], vcc
	s_cbranch_execz .LBB87_37
; %bb.34:
	v_lshlrev_b64 v[0:1], 3, v[16:17]
	v_mov_b32_e32 v2, s13
	v_add_co_u32_e32 v0, vcc, s12, v0
	v_addc_co_u32_e32 v1, vcc, v1, v2, vcc
	v_add_co_u32_e32 v8, vcc, 0x100, v0
	v_addc_co_u32_e32 v9, vcc, 0, v1, vcc
	s_mov_b64 s[10:11], 0
	v_mov_b32_e32 v15, s19
	v_mov_b32_e32 v26, s7
	s_movk_i32 s7, 0x400
.LBB87_35:                              ; =>This Inner Loop Header: Depth=1
	global_load_dwordx2 v[10:11], v[8:9], off offset:-256
	global_load_dwordx4 v[0:3], v[20:21], off
	global_load_dwordx4 v[28:31], v[20:21], off offset:256
	global_load_dwordx2 v[36:37], v[8:9], off offset:-128
	global_load_dwordx2 v[38:39], v[8:9], off
	global_load_dwordx2 v[40:41], v[8:9], off offset:128
	global_load_dwordx4 v[32:35], v[20:21], off offset:512
	global_load_dwordx4 v[4:7], v[20:21], off offset:768
	v_add_co_u32_e64 v16, s[0:1], 64, v16
	v_addc_co_u32_e64 v17, s[0:1], 0, v17, s[0:1]
	v_cmp_ge_i64_e64 s[0:1], v[16:17], v[18:19]
	s_or_b64 s[10:11], s[0:1], s[10:11]
	s_waitcnt vmcnt(7)
	v_subrev_co_u32_e32 v10, vcc, s22, v10
	v_subb_co_u32_e32 v11, vcc, v11, v15, vcc
	s_waitcnt vmcnt(6)
	v_lshrrev_b32_e32 v27, 8, v0
	v_bfe_i32 v42, v0, 0, 8
	v_lshrrev_b32_e32 v43, 16, v0
	v_lshrrev_b32_e32 v44, 24, v0
	s_waitcnt vmcnt(4)
	v_subrev_co_u32_e32 v0, vcc, s22, v36
	v_bfe_i32 v45, v1, 0, 8
	v_lshrrev_b32_e32 v46, 8, v1
	v_lshrrev_b32_e32 v47, 16, v1
	;; [unrolled: 1-line block ×3, first 2 shown]
	v_subb_co_u32_e32 v1, vcc, v37, v15, vcc
	v_lshrrev_b32_e32 v48, 8, v28
	v_bfe_i32 v49, v28, 0, 8
	v_lshrrev_b32_e32 v50, 16, v28
	v_lshrrev_b32_e32 v51, 24, v28
	s_waitcnt vmcnt(3)
	v_subrev_co_u32_e32 v28, vcc, s22, v38
	v_lshrrev_b32_e32 v52, 8, v29
	v_bfe_i32 v53, v29, 0, 8
	v_lshrrev_b32_e32 v54, 16, v29
	v_lshrrev_b32_e32 v55, 24, v29
	v_subb_co_u32_e32 v29, vcc, v39, v15, vcc
	v_lshrrev_b32_e32 v56, 8, v30
	v_bfe_i32 v57, v30, 0, 8
	v_lshrrev_b32_e32 v58, 16, v30
	v_lshrrev_b32_e32 v59, 24, v30
	s_waitcnt vmcnt(2)
	v_subrev_co_u32_e32 v30, vcc, s22, v40
	v_lshrrev_b32_e32 v60, 8, v31
	v_bfe_i32 v61, v31, 0, 8
	v_lshrrev_b32_e32 v62, 16, v31
	v_lshrrev_b32_e32 v63, 24, v31
	v_subb_co_u32_e32 v31, vcc, v41, v15, vcc
	v_lshrrev_b32_e32 v36, 8, v3
	v_bfe_i32 v37, v3, 0, 8
	v_lshrrev_b32_e32 v38, 16, v3
	v_lshrrev_b32_e32 v39, 24, v3
	;; [unrolled: 1-line block ×3, first 2 shown]
	v_bfe_i32 v41, v2, 0, 8
	v_lshrrev_b32_e32 v68, 16, v2
	v_lshrrev_b32_e32 v69, 24, v2
	v_lshlrev_b64 v[2:3], 2, v[10:11]
	v_add_co_u32_e32 v2, vcc, s6, v2
	v_addc_co_u32_e32 v3, vcc, v26, v3, vcc
	v_lshlrev_b64 v[10:11], 2, v[28:29]
	v_lshlrev_b64 v[28:29], 2, v[30:31]
	v_cvt_f32_i32_sdwa v30, sext(v42) dst_sel:DWORD dst_unused:UNUSED_PAD src0_sel:WORD_0
	global_load_dword v42, v[2:3], off
	v_lshlrev_b64 v[0:1], 2, v[0:1]
	v_add_co_u32_e32 v0, vcc, s6, v0
	v_addc_co_u32_e32 v1, vcc, v26, v1, vcc
	global_load_dword v72, v[0:1], off
	v_add_co_u32_e32 v10, vcc, s6, v10
	v_addc_co_u32_e32 v11, vcc, v26, v11, vcc
	v_add_co_u32_e32 v28, vcc, s6, v28
	v_addc_co_u32_e32 v29, vcc, v26, v29, vcc
	global_load_dword v73, v[10:11], off
	global_load_dword v74, v[28:29], off
	v_bfe_i32 v27, v27, 0, 8
	v_cvt_f32_i32_sdwa v31, sext(v27) dst_sel:DWORD dst_unused:UNUSED_PAD src0_sel:WORD_0
	v_bfe_i32 v10, v44, 0, 8
	v_cvt_f32_i32_sdwa v11, sext(v10) dst_sel:DWORD dst_unused:UNUSED_PAD src0_sel:WORD_0
	s_waitcnt vmcnt(4)
	v_bfe_i32 v44, v4, 0, 8
	v_lshrrev_b32_e32 v65, 8, v32
	v_bfe_i32 v66, v32, 0, 8
	v_lshrrev_b32_e32 v67, 16, v32
	v_lshrrev_b32_e32 v32, 24, v32
	v_lshrrev_b32_e32 v70, 8, v33
	v_bfe_i32 v27, v33, 0, 8
	v_lshrrev_b32_e32 v71, 16, v33
	v_lshrrev_b32_e32 v33, 24, v33
	;; [unrolled: 1-line block ×6, first 2 shown]
	v_bfe_i32 v75, v7, 0, 8
	v_add_co_u32_e32 v20, vcc, s7, v20
	v_addc_co_u32_e32 v21, vcc, 0, v21, vcc
	v_add_co_u32_e32 v8, vcc, 0x200, v8
	v_addc_co_u32_e32 v9, vcc, 0, v9, vcc
	s_waitcnt vmcnt(3)
	v_bfe_i32 v0, v42, 0, 8
	v_cvt_f32_i32_sdwa v0, sext(v0) dst_sel:DWORD dst_unused:UNUSED_PAD src0_sel:WORD_0
	v_pk_fma_f32 v[2:3], v[30:31], v[0:1], v[24:25] op_sel_hi:[1,0,1]
	v_bfe_i32 v1, v43, 0, 8
	v_cvt_f32_i32_sdwa v10, sext(v1) dst_sel:DWORD dst_unused:UNUSED_PAD src0_sel:WORD_0
	v_lshrrev_b32_e32 v30, 8, v35
	v_cvt_f32_i32_sdwa v24, sext(v61) dst_sel:DWORD dst_unused:UNUSED_PAD src0_sel:WORD_0
	v_bfe_i32 v61, v33, 0, 8
	v_pk_fma_f32 v[0:1], v[10:11], v[0:1], v[22:23] op_sel_hi:[1,0,1]
	v_lshrrev_b32_e32 v22, 8, v42
	v_bfe_i32 v11, v46, 0, 8
	v_bfe_i32 v22, v22, 0, 8
	v_cvt_f32_i32_sdwa v10, sext(v45) dst_sel:DWORD dst_unused:UNUSED_PAD src0_sel:WORD_0
	v_cvt_f32_i32_sdwa v11, sext(v11) dst_sel:DWORD dst_unused:UNUSED_PAD src0_sel:WORD_0
	;; [unrolled: 1-line block ×3, first 2 shown]
	v_lshrrev_b32_e32 v45, 8, v4
	v_lshrrev_b32_e32 v46, 16, v4
	;; [unrolled: 1-line block ×3, first 2 shown]
	v_pk_fma_f32 v[2:3], v[10:11], v[22:23], v[2:3] op_sel_hi:[1,0,1]
	v_bfe_i32 v10, v47, 0, 8
	v_bfe_i32 v11, v64, 0, 8
	v_cvt_f32_i32_sdwa v10, sext(v10) dst_sel:DWORD dst_unused:UNUSED_PAD src0_sel:WORD_0
	v_cvt_f32_i32_sdwa v11, sext(v11) dst_sel:DWORD dst_unused:UNUSED_PAD src0_sel:WORD_0
	v_lshrrev_b32_e32 v47, 24, v4
	v_bfe_i32 v4, v40, 0, 8
	v_lshrrev_b32_e32 v40, 8, v6
	v_pk_fma_f32 v[0:1], v[10:11], v[22:23], v[0:1] op_sel_hi:[1,0,1]
	v_cvt_f32_i32_sdwa v11, sext(v4) dst_sel:DWORD dst_unused:UNUSED_PAD src0_sel:WORD_0
	v_lshrrev_b32_e32 v4, 16, v42
	v_bfe_i32 v4, v4, 0, 8
	v_cvt_f32_i32_sdwa v10, sext(v41) dst_sel:DWORD dst_unused:UNUSED_PAD src0_sel:WORD_0
	v_cvt_f32_i32_sdwa v4, sext(v4) dst_sel:DWORD dst_unused:UNUSED_PAD src0_sel:WORD_0
	v_bfe_i32 v41, v6, 0, 8
	v_lshrrev_b32_e32 v64, 16, v6
	v_bfe_i32 v31, v34, 0, 8
	v_pk_fma_f32 v[2:3], v[10:11], v[4:5], v[2:3] op_sel_hi:[1,0,1]
	v_bfe_i32 v10, v68, 0, 8
	v_bfe_i32 v11, v69, 0, 8
	v_cvt_f32_i32_sdwa v11, sext(v11) dst_sel:DWORD dst_unused:UNUSED_PAD src0_sel:WORD_0
	v_cvt_f32_i32_sdwa v10, sext(v10) dst_sel:DWORD dst_unused:UNUSED_PAD src0_sel:WORD_0
	v_lshrrev_b32_e32 v68, 24, v6
	v_bfe_i32 v6, v38, 0, 8
	v_lshrrev_b32_e32 v34, 16, v35
	v_pk_fma_f32 v[0:1], v[10:11], v[4:5], v[0:1] op_sel_hi:[1,0,1]
	v_bfe_i32 v4, v36, 0, 8
	v_cvt_f32_i32_sdwa v11, sext(v4) dst_sel:DWORD dst_unused:UNUSED_PAD src0_sel:WORD_0
	v_lshrrev_b32_e32 v4, 24, v42
	v_bfe_i32 v4, v4, 0, 8
	v_cvt_f32_i32_sdwa v10, sext(v37) dst_sel:DWORD dst_unused:UNUSED_PAD src0_sel:WORD_0
	v_cvt_f32_i32_sdwa v4, sext(v4) dst_sel:DWORD dst_unused:UNUSED_PAD src0_sel:WORD_0
	v_bfe_i32 v42, v5, 0, 8
	v_bfe_i32 v36, v52, 0, 8
	;; [unrolled: 1-line block ×3, first 2 shown]
	v_pk_fma_f32 v[2:3], v[10:11], v[4:5], v[2:3] op_sel_hi:[1,0,1]
	v_bfe_i32 v10, v39, 0, 8
	v_cvt_f32_i32_sdwa v11, sext(v10) dst_sel:DWORD dst_unused:UNUSED_PAD src0_sel:WORD_0
	v_cvt_f32_i32_sdwa v10, sext(v6) dst_sel:DWORD dst_unused:UNUSED_PAD src0_sel:WORD_0
	v_lshrrev_b32_e32 v39, 8, v5
	v_cvt_f32_i32_sdwa v6, sext(v53) dst_sel:DWORD dst_unused:UNUSED_PAD src0_sel:WORD_0
	v_bfe_i32 v53, v60, 0, 8
	v_pk_fma_f32 v[0:1], v[10:11], v[4:5], v[0:1] op_sel_hi:[1,0,1]
	v_bfe_i32 v5, v48, 0, 8
	v_bfe_i32 v11, v51, 0, 8
	;; [unrolled: 1-line block ×7, first 2 shown]
	v_cvt_f32_i32_sdwa v32, sext(v27) dst_sel:DWORD dst_unused:UNUSED_PAD src0_sel:WORD_0
	v_bfe_i32 v27, v45, 0, 8
	v_cvt_f32_i32_sdwa v4, sext(v49) dst_sel:DWORD dst_unused:UNUSED_PAD src0_sel:WORD_0
	v_bfe_i32 v49, v55, 0, 8
	v_bfe_i32 v55, v63, 0, 8
	;; [unrolled: 1-line block ×3, first 2 shown]
	v_cvt_f32_i32_sdwa v28, sext(v48) dst_sel:DWORD dst_unused:UNUSED_PAD src0_sel:WORD_0
	v_cvt_f32_i32_sdwa v33, sext(v59) dst_sel:DWORD dst_unused:UNUSED_PAD src0_sel:WORD_0
	v_bfe_i32 v59, v39, 0, 8
	v_cvt_f32_i32_sdwa v48, sext(v60) dst_sel:DWORD dst_unused:UNUSED_PAD src0_sel:WORD_0
	v_cvt_f32_i32_sdwa v39, sext(v27) dst_sel:DWORD dst_unused:UNUSED_PAD src0_sel:WORD_0
	v_bfe_i32 v27, v76, 0, 8
	v_bfe_i32 v60, v77, 0, 8
	v_lshrrev_b32_e32 v69, 8, v7
	v_lshrrev_b32_e32 v37, 16, v7
	;; [unrolled: 1-line block ×3, first 2 shown]
	v_bfe_i32 v7, v50, 0, 8
	v_bfe_i32 v50, v56, 0, 8
	v_cvt_f32_i32_sdwa v10, sext(v57) dst_sel:DWORD dst_unused:UNUSED_PAD src0_sel:WORD_0
	v_bfe_i32 v56, v65, 0, 8
	v_bfe_i32 v57, v67, 0, 8
	v_bfe_i32 v65, v29, 0, 8
	v_bfe_i32 v67, v30, 0, 8
	v_cvt_f32_i32_sdwa v29, sext(v49) dst_sel:DWORD dst_unused:UNUSED_PAD src0_sel:WORD_0
	v_cvt_f32_i32_sdwa v30, sext(v66) dst_sel:DWORD dst_unused:UNUSED_PAD src0_sel:WORD_0
	v_bfe_i32 v66, v47, 0, 8
	v_cvt_f32_i32_sdwa v49, sext(v61) dst_sel:DWORD dst_unused:UNUSED_PAD src0_sel:WORD_0
	v_cvt_f32_i32_sdwa v61, sext(v60) dst_sel:DWORD dst_unused:UNUSED_PAD src0_sel:WORD_0
	;; [unrolled: 1-line block ×3, first 2 shown]
	s_waitcnt vmcnt(2)
	v_bfe_i32 v27, v72, 0, 8
	v_cvt_f32_i32_sdwa v5, sext(v5) dst_sel:DWORD dst_unused:UNUSED_PAD src0_sel:WORD_0
	v_bfe_i32 v70, v34, 0, 8
	v_cvt_f32_i32_sdwa v34, sext(v31) dst_sel:DWORD dst_unused:UNUSED_PAD src0_sel:WORD_0
	v_cvt_f32_i32_sdwa v31, sext(v56) dst_sel:DWORD dst_unused:UNUSED_PAD src0_sel:WORD_0
	v_bfe_i32 v56, v46, 0, 8
	v_cvt_f32_i32_sdwa v46, sext(v57) dst_sel:DWORD dst_unused:UNUSED_PAD src0_sel:WORD_0
	v_cvt_f32_i32_sdwa v57, sext(v66) dst_sel:DWORD dst_unused:UNUSED_PAD src0_sel:WORD_0
	;; [unrolled: 1-line block ×3, first 2 shown]
	v_bfe_i32 v79, v37, 0, 8
	v_cvt_f32_i32_sdwa v37, sext(v67) dst_sel:DWORD dst_unused:UNUSED_PAD src0_sel:WORD_0
	v_lshrrev_b32_e32 v67, 8, v72
	v_pk_fma_f32 v[2:3], v[4:5], v[66:67], v[2:3] op_sel_hi:[1,0,1]
	v_bfe_i32 v4, v67, 0, 8
	v_cvt_f32_i32_sdwa v23, sext(v11) dst_sel:DWORD dst_unused:UNUSED_PAD src0_sel:WORD_0
	v_cvt_f32_i32_sdwa v22, sext(v7) dst_sel:DWORD dst_unused:UNUSED_PAD src0_sel:WORD_0
	;; [unrolled: 1-line block ×4, first 2 shown]
	v_lshrrev_b32_e32 v5, 16, v72
	v_pk_fma_f32 v[0:1], v[22:23], v[66:67], v[0:1] op_sel_hi:[1,0,1]
	s_waitcnt vmcnt(1)
	v_bfe_i32 v22, v73, 0, 8
	v_pk_fma_f32 v[2:3], v[6:7], v[4:5], v[2:3] op_sel_hi:[1,0,1]
	v_bfe_i32 v5, v5, 0, 8
	v_bfe_i32 v43, v35, 0, 8
	v_cvt_f32_i32_sdwa v11, sext(v50) dst_sel:DWORD dst_unused:UNUSED_PAD src0_sel:WORD_0
	v_lshrrev_b32_e32 v27, 24, v72
	v_pk_fma_f32 v[0:1], v[28:29], v[4:5], v[0:1] op_sel_hi:[1,0,1]
	v_cvt_f32_i32_sdwa v4, sext(v22) dst_sel:DWORD dst_unused:UNUSED_PAD src0_sel:WORD_0
	v_cvt_f32_i32_sdwa v22, sext(v5) dst_sel:DWORD dst_unused:UNUSED_PAD src0_sel:WORD_0
	v_bfe_i32 v54, v62, 0, 8
	v_cvt_f32_i32_sdwa v36, sext(v43) dst_sel:DWORD dst_unused:UNUSED_PAD src0_sel:WORD_0
	v_bfe_i32 v78, v40, 0, 8
	v_cvt_f32_i32_sdwa v40, sext(v42) dst_sel:DWORD dst_unused:UNUSED_PAD src0_sel:WORD_0
	v_cvt_f32_i32_sdwa v43, sext(v52) dst_sel:DWORD dst_unused:UNUSED_PAD src0_sel:WORD_0
	;; [unrolled: 1-line block ×3, first 2 shown]
	v_bfe_i32 v27, v27, 0, 8
	v_bfe_i32 v62, v25, 0, 8
	v_cvt_f32_i32_sdwa v25, sext(v53) dst_sel:DWORD dst_unused:UNUSED_PAD src0_sel:WORD_0
	v_bfe_i32 v68, v68, 0, 8
	v_bfe_i32 v80, v38, 0, 8
	v_cvt_f32_i32_sdwa v38, sext(v44) dst_sel:DWORD dst_unused:UNUSED_PAD src0_sel:WORD_0
	v_cvt_f32_i32_sdwa v45, sext(v55) dst_sel:DWORD dst_unused:UNUSED_PAD src0_sel:WORD_0
	;; [unrolled: 1-line block ×3, first 2 shown]
	v_lshrrev_b32_e32 v23, 8, v73
	v_cvt_f32_i32_sdwa v28, sext(v27) dst_sel:DWORD dst_unused:UNUSED_PAD src0_sel:WORD_0
	v_bfe_i32 v69, v69, 0, 8
	v_cvt_f32_i32_sdwa v47, sext(v58) dst_sel:DWORD dst_unused:UNUSED_PAD src0_sel:WORD_0
	v_cvt_f32_i32_sdwa v50, sext(v63) dst_sel:DWORD dst_unused:UNUSED_PAD src0_sel:WORD_0
	;; [unrolled: 1-line block ×3, first 2 shown]
	v_lshrrev_b32_e32 v68, 16, v73
	v_bfe_i32 v23, v23, 0, 8
	v_lshrrev_b32_e32 v35, 24, v35
	v_cvt_f32_i32_sdwa v54, sext(v41) dst_sel:DWORD dst_unused:UNUSED_PAD src0_sel:WORD_0
	v_cvt_f32_i32_sdwa v41, sext(v59) dst_sel:DWORD dst_unused:UNUSED_PAD src0_sel:WORD_0
	;; [unrolled: 1-line block ×3, first 2 shown]
	v_lshrrev_b32_e32 v66, 24, v73
	s_waitcnt vmcnt(0)
	v_lshrrev_b32_e32 v69, 16, v74
	v_bfe_i32 v68, v68, 0, 8
	v_pk_fma_f32 v[2:3], v[10:11], v[22:23], v[2:3] op_sel_hi:[1,0,1]
	v_cvt_f32_i32_sdwa v10, sext(v23) dst_sel:DWORD dst_unused:UNUSED_PAD src0_sel:WORD_0
	v_bfe_i32 v71, v35, 0, 8
	v_cvt_f32_i32_sdwa v35, sext(v62) dst_sel:DWORD dst_unused:UNUSED_PAD src0_sel:WORD_0
	v_cvt_f32_i32_sdwa v51, sext(v65) dst_sel:DWORD dst_unused:UNUSED_PAD src0_sel:WORD_0
	;; [unrolled: 1-line block ×3, first 2 shown]
	v_bfe_i32 v70, v66, 0, 8
	v_bfe_i32 v29, v69, 0, 8
	v_cvt_f32_i32_sdwa v66, sext(v68) dst_sel:DWORD dst_unused:UNUSED_PAD src0_sel:WORD_0
	v_pk_fma_f32 v[0:1], v[42:43], v[22:23], v[0:1] op_sel_hi:[1,0,1]
	v_cvt_f32_i32_sdwa v53, sext(v71) dst_sel:DWORD dst_unused:UNUSED_PAD src0_sel:WORD_0
	v_bfe_i32 v6, v74, 0, 8
	v_lshrrev_b32_e32 v7, 8, v74
	v_cvt_f32_i32_sdwa v22, sext(v70) dst_sel:DWORD dst_unused:UNUSED_PAD src0_sel:WORD_0
	v_pk_fma_f32 v[2:3], v[24:25], v[28:29], v[2:3] op_sel_hi:[1,0,1]
	v_pk_fma_f32 v[0:1], v[44:45], v[28:29], v[0:1] op_sel_hi:[1,0,1]
	v_cvt_f32_i32_sdwa v56, sext(v56) dst_sel:DWORD dst_unused:UNUSED_PAD src0_sel:WORD_0
	v_lshrrev_b32_e32 v67, 24, v74
	v_bfe_i32 v7, v7, 0, 8
	v_cvt_f32_i32_sdwa v6, sext(v6) dst_sel:DWORD dst_unused:UNUSED_PAD src0_sel:WORD_0
	v_pk_fma_f32 v[2:3], v[30:31], v[4:5], v[2:3] op_sel_hi:[1,0,1]
	v_pk_fma_f32 v[0:1], v[46:47], v[4:5], v[0:1] op_sel_hi:[1,0,1]
	v_bfe_i32 v64, v64, 0, 8
	v_bfe_i32 v67, v67, 0, 8
	v_cvt_f32_i32_sdwa v42, sext(v7) dst_sel:DWORD dst_unused:UNUSED_PAD src0_sel:WORD_0
	v_pk_fma_f32 v[2:3], v[32:33], v[10:11], v[2:3] op_sel_hi:[1,0,1]
	v_pk_fma_f32 v[0:1], v[48:49], v[10:11], v[0:1] op_sel_hi:[1,0,1]
	v_cvt_f32_i32_sdwa v55, sext(v78) dst_sel:DWORD dst_unused:UNUSED_PAD src0_sel:WORD_0
	v_cvt_f32_i32_sdwa v62, sext(v64) dst_sel:DWORD dst_unused:UNUSED_PAD src0_sel:WORD_0
	;; [unrolled: 1-line block ×3, first 2 shown]
	v_pk_fma_f32 v[2:3], v[34:35], v[66:67], v[2:3] op_sel_hi:[1,0,1]
	v_pk_fma_f32 v[0:1], v[50:51], v[66:67], v[0:1] op_sel_hi:[1,0,1]
	v_cvt_f32_i32_sdwa v58, sext(v75) dst_sel:DWORD dst_unused:UNUSED_PAD src0_sel:WORD_0
	v_cvt_f32_i32_sdwa v65, sext(v80) dst_sel:DWORD dst_unused:UNUSED_PAD src0_sel:WORD_0
	;; [unrolled: 1-line block ×4, first 2 shown]
	v_pk_fma_f32 v[2:3], v[36:37], v[22:23], v[2:3] op_sel_hi:[1,0,1]
	v_pk_fma_f32 v[0:1], v[52:53], v[22:23], v[0:1] op_sel_hi:[1,0,1]
	;; [unrolled: 1-line block ×10, first 2 shown]
	s_andn2_b64 exec, exec, s[10:11]
	s_cbranch_execnz .LBB87_35
; %bb.36:
	s_or_b64 exec, exec, s[10:11]
.LBB87_37:
	s_or_b64 exec, exec, s[8:9]
.LBB87_38:
	s_or_b64 exec, exec, s[2:3]
.LBB87_39:
	v_mov_b32_dpp v0, v24 row_shr:1 row_mask:0xf bank_mask:0xf
	v_mov_b32_dpp v1, v25 row_shr:1 row_mask:0xf bank_mask:0xf
	;; [unrolled: 1-line block ×4, first 2 shown]
	v_pk_add_f32 v[0:1], v[24:25], v[0:1]
	v_pk_add_f32 v[4:5], v[22:23], v[4:5]
	v_cmp_eq_u32_e32 vcc, 15, v14
	v_mov_b32_dpp v2, v0 row_shr:2 row_mask:0xf bank_mask:0xf
	v_mov_b32_dpp v3, v1 row_shr:2 row_mask:0xf bank_mask:0xf
	;; [unrolled: 1-line block ×4, first 2 shown]
	v_pk_add_f32 v[0:1], v[0:1], v[2:3]
	v_pk_add_f32 v[4:5], v[4:5], v[6:7]
	s_nop 0
	v_mov_b32_dpp v2, v0 row_shr:4 row_mask:0xf bank_mask:0xe
	v_mov_b32_dpp v3, v1 row_shr:4 row_mask:0xf bank_mask:0xe
	;; [unrolled: 1-line block ×4, first 2 shown]
	v_pk_add_f32 v[0:1], v[0:1], v[2:3]
	v_pk_add_f32 v[4:5], v[4:5], v[6:7]
	s_nop 0
	v_mov_b32_dpp v2, v0 row_shr:8 row_mask:0xf bank_mask:0xc
	v_mov_b32_dpp v3, v1 row_shr:8 row_mask:0xf bank_mask:0xc
	;; [unrolled: 1-line block ×4, first 2 shown]
	s_and_b64 exec, exec, vcc
	s_cbranch_execz .LBB87_10
; %bb.40:
	s_load_dwordx2 s[0:1], s[4:5], 0x58
	v_cmp_eq_f32_e64 s[2:3], s20, 0
	v_pk_add_f32 v[2:3], v[0:1], v[2:3]
	v_pk_add_f32 v[0:1], v[4:5], v[6:7]
	s_and_b64 vcc, exec, s[2:3]
	v_lshlrev_b64 v[4:5], 4, v[12:13]
	s_cbranch_vccz .LBB87_42
; %bb.41:
	s_waitcnt lgkmcnt(0)
	v_mov_b32_e32 v6, s1
	v_add_co_u32_e32 v10, vcc, s0, v4
	v_addc_co_u32_e32 v11, vcc, v6, v5, vcc
	v_pk_mul_f32 v[6:7], s[16:17], v[2:3] op_sel_hi:[0,1]
	v_pk_mul_f32 v[8:9], s[16:17], v[0:1] op_sel_hi:[0,1]
	global_store_dwordx4 v[10:11], v[6:9], off
	s_cbranch_execnz .LBB87_10
	s_branch .LBB87_43
.LBB87_42:
.LBB87_43:
	s_waitcnt lgkmcnt(0)
	v_mov_b32_e32 v6, s1
	v_add_co_u32_e32 v8, vcc, s0, v4
	v_addc_co_u32_e32 v9, vcc, v6, v5, vcc
	global_load_dwordx4 v[4:7], v[8:9], off
	v_pk_mul_f32 v[2:3], s[16:17], v[2:3] op_sel_hi:[0,1]
	v_pk_mul_f32 v[10:11], s[16:17], v[0:1] op_sel_hi:[0,1]
	s_waitcnt vmcnt(0)
	v_pk_fma_f32 v[0:1], s[20:21], v[4:5], v[2:3] op_sel_hi:[0,1,1]
	v_pk_fma_f32 v[2:3], s[20:21], v[6:7], v[10:11] op_sel_hi:[0,1,1]
	global_store_dwordx4 v[8:9], v[0:3], off
	s_endpgm
	.section	.rodata,"a",@progbits
	.p2align	6, 0x0
	.amdhsa_kernel _ZN9rocsparseL18bsrxmvn_4x4_kernelILj128ELj16EfllaafEEvT3_20rocsparse_direction_NS_24const_host_device_scalarIT1_EES1_PKS1_PKT2_SA_S7_PKT4_PKT5_S5_PT6_21rocsparse_index_base_b
		.amdhsa_group_segment_fixed_size 0
		.amdhsa_private_segment_fixed_size 0
		.amdhsa_kernarg_size 104
		.amdhsa_user_sgpr_count 6
		.amdhsa_user_sgpr_private_segment_buffer 1
		.amdhsa_user_sgpr_dispatch_ptr 0
		.amdhsa_user_sgpr_queue_ptr 0
		.amdhsa_user_sgpr_kernarg_segment_ptr 1
		.amdhsa_user_sgpr_dispatch_id 0
		.amdhsa_user_sgpr_flat_scratch_init 0
		.amdhsa_user_sgpr_kernarg_preload_length 0
		.amdhsa_user_sgpr_kernarg_preload_offset 0
		.amdhsa_user_sgpr_private_segment_size 0
		.amdhsa_uses_dynamic_stack 0
		.amdhsa_system_sgpr_private_segment_wavefront_offset 0
		.amdhsa_system_sgpr_workgroup_id_x 1
		.amdhsa_system_sgpr_workgroup_id_y 0
		.amdhsa_system_sgpr_workgroup_id_z 0
		.amdhsa_system_sgpr_workgroup_info 0
		.amdhsa_system_vgpr_workitem_id 0
		.amdhsa_next_free_vgpr 90
		.amdhsa_next_free_sgpr 24
		.amdhsa_accum_offset 92
		.amdhsa_reserve_vcc 1
		.amdhsa_reserve_flat_scratch 0
		.amdhsa_float_round_mode_32 0
		.amdhsa_float_round_mode_16_64 0
		.amdhsa_float_denorm_mode_32 3
		.amdhsa_float_denorm_mode_16_64 3
		.amdhsa_dx10_clamp 1
		.amdhsa_ieee_mode 1
		.amdhsa_fp16_overflow 0
		.amdhsa_tg_split 0
		.amdhsa_exception_fp_ieee_invalid_op 0
		.amdhsa_exception_fp_denorm_src 0
		.amdhsa_exception_fp_ieee_div_zero 0
		.amdhsa_exception_fp_ieee_overflow 0
		.amdhsa_exception_fp_ieee_underflow 0
		.amdhsa_exception_fp_ieee_inexact 0
		.amdhsa_exception_int_div_zero 0
	.end_amdhsa_kernel
	.section	.text._ZN9rocsparseL18bsrxmvn_4x4_kernelILj128ELj16EfllaafEEvT3_20rocsparse_direction_NS_24const_host_device_scalarIT1_EES1_PKS1_PKT2_SA_S7_PKT4_PKT5_S5_PT6_21rocsparse_index_base_b,"axG",@progbits,_ZN9rocsparseL18bsrxmvn_4x4_kernelILj128ELj16EfllaafEEvT3_20rocsparse_direction_NS_24const_host_device_scalarIT1_EES1_PKS1_PKT2_SA_S7_PKT4_PKT5_S5_PT6_21rocsparse_index_base_b,comdat
.Lfunc_end87:
	.size	_ZN9rocsparseL18bsrxmvn_4x4_kernelILj128ELj16EfllaafEEvT3_20rocsparse_direction_NS_24const_host_device_scalarIT1_EES1_PKS1_PKT2_SA_S7_PKT4_PKT5_S5_PT6_21rocsparse_index_base_b, .Lfunc_end87-_ZN9rocsparseL18bsrxmvn_4x4_kernelILj128ELj16EfllaafEEvT3_20rocsparse_direction_NS_24const_host_device_scalarIT1_EES1_PKS1_PKT2_SA_S7_PKT4_PKT5_S5_PT6_21rocsparse_index_base_b
                                        ; -- End function
	.section	.AMDGPU.csdata,"",@progbits
; Kernel info:
; codeLenInByte = 6700
; NumSgprs: 28
; NumVgprs: 90
; NumAgprs: 0
; TotalNumVgprs: 90
; ScratchSize: 0
; MemoryBound: 0
; FloatMode: 240
; IeeeMode: 1
; LDSByteSize: 0 bytes/workgroup (compile time only)
; SGPRBlocks: 3
; VGPRBlocks: 11
; NumSGPRsForWavesPerEU: 28
; NumVGPRsForWavesPerEU: 90
; AccumOffset: 92
; Occupancy: 5
; WaveLimiterHint : 1
; COMPUTE_PGM_RSRC2:SCRATCH_EN: 0
; COMPUTE_PGM_RSRC2:USER_SGPR: 6
; COMPUTE_PGM_RSRC2:TRAP_HANDLER: 0
; COMPUTE_PGM_RSRC2:TGID_X_EN: 1
; COMPUTE_PGM_RSRC2:TGID_Y_EN: 0
; COMPUTE_PGM_RSRC2:TGID_Z_EN: 0
; COMPUTE_PGM_RSRC2:TIDIG_COMP_CNT: 0
; COMPUTE_PGM_RSRC3_GFX90A:ACCUM_OFFSET: 22
; COMPUTE_PGM_RSRC3_GFX90A:TG_SPLIT: 0
	.section	.text._ZN9rocsparseL18bsrxmvn_4x4_kernelILj128ELj32EfllaafEEvT3_20rocsparse_direction_NS_24const_host_device_scalarIT1_EES1_PKS1_PKT2_SA_S7_PKT4_PKT5_S5_PT6_21rocsparse_index_base_b,"axG",@progbits,_ZN9rocsparseL18bsrxmvn_4x4_kernelILj128ELj32EfllaafEEvT3_20rocsparse_direction_NS_24const_host_device_scalarIT1_EES1_PKS1_PKT2_SA_S7_PKT4_PKT5_S5_PT6_21rocsparse_index_base_b,comdat
	.globl	_ZN9rocsparseL18bsrxmvn_4x4_kernelILj128ELj32EfllaafEEvT3_20rocsparse_direction_NS_24const_host_device_scalarIT1_EES1_PKS1_PKT2_SA_S7_PKT4_PKT5_S5_PT6_21rocsparse_index_base_b ; -- Begin function _ZN9rocsparseL18bsrxmvn_4x4_kernelILj128ELj32EfllaafEEvT3_20rocsparse_direction_NS_24const_host_device_scalarIT1_EES1_PKS1_PKT2_SA_S7_PKT4_PKT5_S5_PT6_21rocsparse_index_base_b
	.p2align	8
	.type	_ZN9rocsparseL18bsrxmvn_4x4_kernelILj128ELj32EfllaafEEvT3_20rocsparse_direction_NS_24const_host_device_scalarIT1_EES1_PKS1_PKT2_SA_S7_PKT4_PKT5_S5_PT6_21rocsparse_index_base_b,@function
_ZN9rocsparseL18bsrxmvn_4x4_kernelILj128ELj32EfllaafEEvT3_20rocsparse_direction_NS_24const_host_device_scalarIT1_EES1_PKS1_PKT2_SA_S7_PKT4_PKT5_S5_PT6_21rocsparse_index_base_b: ; @_ZN9rocsparseL18bsrxmvn_4x4_kernelILj128ELj32EfllaafEEvT3_20rocsparse_direction_NS_24const_host_device_scalarIT1_EES1_PKS1_PKT2_SA_S7_PKT4_PKT5_S5_PT6_21rocsparse_index_base_b
; %bb.0:
	s_load_dwordx2 s[22:23], s[4:5], 0x60
	s_load_dwordx4 s[16:19], s[4:5], 0x10
	s_load_dwordx2 s[20:21], s[4:5], 0x50
	s_waitcnt lgkmcnt(0)
	s_bitcmp1_b32 s23, 0
	s_cselect_b64 s[2:3], -1, 0
	s_xor_b64 s[0:1], s[2:3], -1
	s_and_b64 vcc, exec, s[2:3]
	s_cbranch_vccnz .LBB88_2
; %bb.1:
	s_load_dword s16, s[16:17], 0x0
.LBB88_2:
	s_andn2_b64 vcc, exec, s[0:1]
	s_cbranch_vccnz .LBB88_4
; %bb.3:
	s_load_dword s20, s[20:21], 0x0
.LBB88_4:
	s_waitcnt lgkmcnt(0)
	v_cmp_neq_f32_e64 s[0:1], s16, 0
	v_cmp_neq_f32_e64 s[2:3], s20, 1.0
	s_or_b64 s[0:1], s[0:1], s[2:3]
	s_andn2_b64 vcc, exec, s[0:1]
	s_cbranch_vccnz .LBB88_10
; %bb.5:
	s_load_dwordx2 s[2:3], s[4:5], 0x20
	v_lshrrev_b32_e32 v1, 5, v0
	v_lshl_or_b32 v2, s6, 2, v1
	v_mov_b32_e32 v3, 0
	s_mov_b64 s[0:1], 0
	s_waitcnt lgkmcnt(0)
	s_cmp_lg_u64 s[2:3], 0
	s_cbranch_scc0 .LBB88_11
; %bb.6:
	v_cmp_gt_i64_e32 vcc, s[18:19], v[2:3]
                                        ; implicit-def: $vgpr12_vgpr13
	s_and_saveexec_b64 s[6:7], vcc
	s_xor_b64 s[6:7], exec, s[6:7]
                                        ; implicit-def: $sgpr18_sgpr19
	s_cbranch_execz .LBB88_8
; %bb.7:
	v_lshlrev_b64 v[4:5], 3, v[2:3]
	v_mov_b32_e32 v1, s3
	v_add_co_u32_e32 v4, vcc, s2, v4
	v_addc_co_u32_e32 v5, vcc, v1, v5, vcc
	global_load_dwordx2 v[4:5], v[4:5], off
	s_mov_b64 s[0:1], exec
	s_mov_b32 s19, 0
	s_waitcnt vmcnt(0)
	v_subrev_co_u32_e32 v12, vcc, s22, v4
	v_subbrev_co_u32_e32 v13, vcc, 0, v5, vcc
.LBB88_8:
	s_or_b64 exec, exec, s[6:7]
.LBB88_9:
	s_and_saveexec_b64 s[2:3], s[0:1]
	s_cbranch_execnz .LBB88_15
.LBB88_10:
	s_endpgm
.LBB88_11:
                                        ; implicit-def: $vgpr12_vgpr13
                                        ; implicit-def: $sgpr18_sgpr19
	s_cbranch_execz .LBB88_9
; %bb.12:
	s_load_dwordx2 s[2:3], s[4:5], 0x0
                                        ; implicit-def: $vgpr12_vgpr13
	s_waitcnt lgkmcnt(0)
	v_cmp_gt_i64_e32 vcc, s[2:3], v[2:3]
	s_and_saveexec_b64 s[2:3], vcc
                                        ; implicit-def: $sgpr18_sgpr19
; %bb.13:
	s_mov_b32 s19, 0
	s_or_b64 s[0:1], s[0:1], exec
	v_pk_mov_b32 v[12:13], v[2:3], v[2:3] op_sel:[0,1]
; %bb.14:
	s_or_b64 exec, exec, s[2:3]
	s_and_saveexec_b64 s[2:3], s[0:1]
	s_cbranch_execz .LBB88_10
.LBB88_15:
	s_load_dwordx8 s[8:15], s[4:5], 0x28
	v_lshlrev_b64 v[2:3], 3, v[12:13]
	v_and_b32_e32 v14, 31, v0
	v_mov_b32_e32 v0, s19
	v_mov_b32_e32 v23, 0
	s_waitcnt lgkmcnt(0)
	v_mov_b32_e32 v1, s9
	v_add_co_u32_e32 v4, vcc, s8, v2
	v_addc_co_u32_e32 v5, vcc, v1, v3, vcc
	v_add_co_u32_e32 v1, vcc, 8, v4
	global_load_dwordx2 v[26:27], v[4:5], off
	v_addc_co_u32_e32 v4, vcc, 0, v5, vcc
	v_mov_b32_e32 v5, s11
	v_add_co_u32_e32 v2, vcc, s10, v2
	s_cmp_eq_u64 s[10:11], 0
	v_addc_co_u32_e32 v3, vcc, v5, v3, vcc
	s_cselect_b64 vcc, -1, 0
	v_cndmask_b32_e32 v3, v3, v4, vcc
	v_cndmask_b32_e32 v2, v2, v1, vcc
	global_load_dwordx2 v[2:3], v[2:3], off
	s_load_dwordx2 s[6:7], s[4:5], 0x48
	s_load_dword s0, s[4:5], 0x8
	v_mov_b32_e32 v4, s15
	s_waitcnt lgkmcnt(0)
	s_cmp_eq_u32 s0, 1
	s_waitcnt vmcnt(1)
	v_subrev_co_u32_e32 v1, vcc, s22, v26
	v_subb_co_u32_e32 v5, vcc, v27, v0, vcc
	v_add_co_u32_e32 v16, vcc, v1, v14
	v_addc_co_u32_e32 v17, vcc, 0, v5, vcc
	s_waitcnt vmcnt(0)
	v_subrev_co_u32_e32 v18, vcc, s22, v2
	v_subb_co_u32_e32 v19, vcc, v3, v0, vcc
	v_lshlrev_b64 v[0:1], 4, v[16:17]
	v_add_co_u32_e32 v20, vcc, s14, v0
	v_addc_co_u32_e32 v21, vcc, v4, v1, vcc
	v_cmp_lt_i64_e64 s[0:1], v[16:17], v[18:19]
	s_cbranch_scc1 .LBB88_27
; %bb.16:
	v_mov_b32_e32 v22, 0
	v_mov_b32_e32 v25, 0
	;; [unrolled: 1-line block ×3, first 2 shown]
	s_and_saveexec_b64 s[8:9], s[0:1]
	s_cbranch_execz .LBB88_26
; %bb.17:
	v_or_b32_e32 v0, 32, v14
	v_mov_b32_e32 v1, s19
	v_subrev_co_u32_e32 v0, vcc, s22, v0
	v_subb_co_u32_e32 v1, vcc, 0, v1, vcc
	v_add_co_u32_e32 v0, vcc, v0, v26
	v_addc_co_u32_e32 v1, vcc, v1, v27, vcc
	v_cmp_gt_i64_e32 vcc, v[0:1], v[18:19]
	v_cndmask_b32_e32 v1, v19, v1, vcc
	v_cndmask_b32_e32 v0, v18, v0, vcc
	v_mov_b32_e32 v4, s19
	v_sub_co_u32_e32 v5, vcc, s22, v14
	v_not_b32_e32 v3, v26
	v_subbrev_co_u32_e32 v4, vcc, 0, v4, vcc
	v_not_b32_e32 v2, v27
	v_add_co_u32_e32 v3, vcc, v5, v3
	v_addc_co_u32_e32 v2, vcc, v4, v2, vcc
	v_add_co_u32_e32 v0, vcc, v3, v0
	v_addc_co_u32_e32 v1, vcc, v2, v1, vcc
	v_lshrrev_b32_e32 v2, 5, v0
	v_add_u32_e32 v2, 1, v2
	v_and_b32_e32 v2, 3, v2
	v_mov_b32_e32 v24, 0
	v_cmp_ne_u32_e32 vcc, 0, v2
	v_mov_b32_e32 v25, v24
	v_mov_b32_e32 v22, v24
	;; [unrolled: 1-line block ×3, first 2 shown]
	v_pk_mov_b32 v[28:29], v[16:17], v[16:17] op_sel:[0,1]
	v_pk_mov_b32 v[30:31], v[20:21], v[20:21] op_sel:[0,1]
	s_and_saveexec_b64 s[10:11], vcc
	s_cbranch_execz .LBB88_21
; %bb.18:
	v_lshlrev_b64 v[4:5], 3, v[16:17]
	v_mov_b32_e32 v3, 0
	v_mov_b32_e32 v6, s13
	v_add_co_u32_e32 v4, vcc, s12, v4
	v_addc_co_u32_e32 v5, vcc, v6, v5, vcc
	v_lshlrev_b32_e32 v2, 1, v2
	s_mov_b64 s[14:15], 0
	v_mov_b32_e32 v6, s19
	v_mov_b32_e32 v7, s7
	s_movk_i32 s17, 0x200
	v_pk_mov_b32 v[30:31], v[20:21], v[20:21] op_sel:[0,1]
	v_pk_mov_b32 v[28:29], v[16:17], v[16:17] op_sel:[0,1]
	v_mov_b32_e32 v23, v3
	v_mov_b32_e32 v22, v3
	;; [unrolled: 1-line block ×4, first 2 shown]
.LBB88_19:                              ; =>This Inner Loop Header: Depth=1
	global_load_dwordx2 v[32:33], v[4:5], off
	global_load_dwordx4 v[8:11], v[30:31], off
	v_add_co_u32_e64 v28, s[2:3], 32, v28
	v_addc_co_u32_e64 v29, s[2:3], 0, v29, s[2:3]
	v_add_co_u32_e64 v2, s[2:3], -2, v2
	v_addc_co_u32_e64 v3, s[2:3], -1, v3, s[2:3]
	v_cmp_eq_u64_e64 s[2:3], 0, v[2:3]
	s_or_b64 s[14:15], s[2:3], s[14:15]
	s_waitcnt vmcnt(1)
	v_subrev_co_u32_e32 v32, vcc, s22, v32
	v_subb_co_u32_e32 v33, vcc, v33, v6, vcc
	v_lshlrev_b64 v[32:33], 2, v[32:33]
	v_add_co_u32_e32 v32, vcc, s6, v32
	v_addc_co_u32_e32 v33, vcc, v7, v33, vcc
	global_load_dword v15, v[32:33], off
	s_waitcnt vmcnt(1)
	v_lshrrev_b32_e32 v40, 16, v10
	v_bfe_i32 v32, v8, 0, 8
	v_lshrrev_b32_e32 v36, 8, v9
	v_lshrrev_b32_e32 v37, 16, v9
	v_bfe_i32 v38, v10, 0, 8
	v_lshrrev_b32_e32 v39, 8, v10
	;; [unrolled: 3-line block ×3, first 2 shown]
	v_bfe_i32 v35, v9, 0, 8
	v_lshrrev_b32_e32 v9, 24, v9
	v_bfe_i32 v41, v11, 0, 8
	v_bfe_i32 v36, v36, 0, 8
	v_bfe_i32 v37, v37, 0, 8
	v_bfe_i32 v39, v39, 0, 8
	v_bfe_i32 v42, v42, 0, 8
	v_cvt_f32_i32_sdwa v48, sext(v32) dst_sel:DWORD dst_unused:UNUSED_PAD src0_sel:WORD_0
	v_cvt_f32_i32_sdwa v50, sext(v38) dst_sel:DWORD dst_unused:UNUSED_PAD src0_sel:WORD_0
	;; [unrolled: 1-line block ×3, first 2 shown]
	v_lshrrev_b32_e32 v34, 16, v8
	v_lshrrev_b32_e32 v43, 16, v11
	v_bfe_i32 v33, v33, 0, 8
	v_bfe_i32 v45, v9, 0, 8
	v_cvt_f32_i32_sdwa v49, sext(v35) dst_sel:DWORD dst_unused:UNUSED_PAD src0_sel:WORD_0
	v_cvt_f32_i32_sdwa v41, sext(v41) dst_sel:DWORD dst_unused:UNUSED_PAD src0_sel:WORD_0
	;; [unrolled: 1-line block ×6, first 2 shown]
	v_lshrrev_b32_e32 v8, 24, v8
	v_lshrrev_b32_e32 v10, 24, v10
	;; [unrolled: 1-line block ×3, first 2 shown]
	v_bfe_i32 v34, v34, 0, 8
	v_bfe_i32 v43, v43, 0, 8
	v_cvt_f32_i32_sdwa v51, sext(v33) dst_sel:DWORD dst_unused:UNUSED_PAD src0_sel:WORD_0
	v_bfe_i32 v44, v8, 0, 8
	v_bfe_i32 v46, v10, 0, 8
	;; [unrolled: 1-line block ×3, first 2 shown]
	v_cvt_f32_i32_sdwa v8, sext(v34) dst_sel:DWORD dst_unused:UNUSED_PAD src0_sel:WORD_0
	v_cvt_f32_i32_sdwa v33, sext(v43) dst_sel:DWORD dst_unused:UNUSED_PAD src0_sel:WORD_0
	;; [unrolled: 1-line block ×6, first 2 shown]
	v_add_co_u32_e32 v30, vcc, s17, v30
	v_addc_co_u32_e32 v31, vcc, 0, v31, vcc
	v_add_co_u32_e32 v4, vcc, 0x100, v4
	v_addc_co_u32_e32 v5, vcc, 0, v5, vcc
	s_waitcnt vmcnt(0)
	v_bfe_i32 v38, v15, 0, 8
	v_lshrrev_b32_e32 v40, 8, v15
	v_lshrrev_b32_e32 v36, 16, v15
	v_bfe_i32 v40, v40, 0, 8
	v_cvt_f32_i32_sdwa v42, sext(v38) dst_sel:DWORD dst_unused:UNUSED_PAD src0_sel:WORD_0
	v_lshrrev_b32_e32 v15, 24, v15
	v_bfe_i32 v36, v36, 0, 8
	v_cvt_f32_i32_sdwa v40, sext(v40) dst_sel:DWORD dst_unused:UNUSED_PAD src0_sel:WORD_0
	v_bfe_i32 v15, v15, 0, 8
	v_cvt_f32_i32_sdwa v36, sext(v36) dst_sel:DWORD dst_unused:UNUSED_PAD src0_sel:WORD_0
	v_cvt_f32_i32_sdwa v38, sext(v15) dst_sel:DWORD dst_unused:UNUSED_PAD src0_sel:WORD_0
	v_fmac_f32_e32 v24, v48, v42
	v_fmac_f32_e32 v25, v49, v42
	;; [unrolled: 1-line block ×8, first 2 shown]
	v_pk_fma_f32 v[8:9], v[8:9], v[36:37], v[24:25] op_sel_hi:[1,0,1]
	v_pk_fma_f32 v[22:23], v[32:33], v[36:37], v[22:23] op_sel_hi:[1,0,1]
	;; [unrolled: 1-line block ×4, first 2 shown]
	s_andn2_b64 exec, exec, s[14:15]
	s_cbranch_execnz .LBB88_19
; %bb.20:
	s_or_b64 exec, exec, s[14:15]
.LBB88_21:
	s_or_b64 exec, exec, s[10:11]
	s_mov_b64 s[2:3], 0x5f
	v_cmp_lt_u64_e32 vcc, s[2:3], v[0:1]
	s_and_saveexec_b64 s[10:11], vcc
	s_cbranch_execz .LBB88_25
; %bb.22:
	v_lshlrev_b64 v[0:1], 3, v[28:29]
	v_mov_b32_e32 v2, s13
	v_add_co_u32_e32 v0, vcc, s12, v0
	v_addc_co_u32_e32 v1, vcc, v1, v2, vcc
	v_add_co_u32_e32 v32, vcc, 0x200, v0
	v_addc_co_u32_e32 v33, vcc, 0, v1, vcc
	s_mov_b64 s[14:15], 0
	v_mov_b32_e32 v15, s19
	v_mov_b32_e32 v36, s7
	s_movk_i32 s17, 0x80
.LBB88_23:                              ; =>This Inner Loop Header: Depth=1
	global_load_dwordx4 v[8:11], v[30:31], off
	global_load_dwordx4 v[38:41], v[30:31], off offset:512
	global_load_dwordx4 v[4:7], v[30:31], off offset:1024
	;; [unrolled: 1-line block ×3, first 2 shown]
	s_waitcnt vmcnt(3)
	v_bfe_i32 v34, v8, 0, 8
	v_lshrrev_b32_e32 v35, 8, v8
	v_lshrrev_b32_e32 v37, 16, v8
	v_lshrrev_b32_e32 v42, 24, v8
	v_bfe_i32 v43, v9, 0, 8
	v_lshrrev_b32_e32 v44, 8, v9
	v_lshrrev_b32_e32 v45, 16, v9
	v_lshrrev_b32_e32 v46, 24, v9
	;; [unrolled: 4-line block ×4, first 2 shown]
	s_waitcnt vmcnt(1)
	v_bfe_i32 v71, v4, 0, 8
	v_lshrrev_b32_e32 v72, 8, v4
	v_lshrrev_b32_e32 v73, 16, v4
	v_lshrrev_b32_e32 v74, 24, v4
	v_bfe_i32 v75, v5, 0, 8
	v_lshrrev_b32_e32 v76, 8, v5
	v_lshrrev_b32_e32 v77, 16, v5
	v_lshrrev_b32_e32 v78, 24, v5
	;; [unrolled: 4-line block ×4, first 2 shown]
	global_load_dwordx2 v[4:5], v[32:33], off offset:-512
	global_load_dwordx2 v[6:7], v[32:33], off offset:-256
	global_load_dwordx2 v[8:9], v[32:33], off
	global_load_dwordx2 v[10:11], v[32:33], off offset:256
	v_bfe_i32 v55, v38, 0, 8
	v_lshrrev_b32_e32 v56, 8, v38
	v_lshrrev_b32_e32 v57, 16, v38
	v_lshrrev_b32_e32 v58, 24, v38
	v_bfe_i32 v59, v39, 0, 8
	v_lshrrev_b32_e32 v60, 8, v39
	v_lshrrev_b32_e32 v61, 16, v39
	v_lshrrev_b32_e32 v62, 24, v39
	;; [unrolled: 4-line block ×4, first 2 shown]
	s_waitcnt vmcnt(3)
	v_subrev_co_u32_e32 v4, vcc, s22, v4
	v_subb_co_u32_e32 v5, vcc, v5, v15, vcc
	s_waitcnt vmcnt(2)
	v_subrev_co_u32_e32 v6, vcc, s22, v6
	v_subb_co_u32_e32 v7, vcc, v7, v15, vcc
	s_waitcnt vmcnt(1)
	v_subrev_co_u32_e32 v8, vcc, s22, v8
	v_subb_co_u32_e32 v9, vcc, v9, v15, vcc
	s_waitcnt vmcnt(0)
	v_subrev_co_u32_e32 v10, vcc, s22, v10
	v_subb_co_u32_e32 v11, vcc, v11, v15, vcc
	v_lshlrev_b64 v[4:5], 2, v[4:5]
	v_add_co_u32_e32 v4, vcc, s6, v4
	v_addc_co_u32_e32 v5, vcc, v36, v5, vcc
	v_lshlrev_b64 v[6:7], 2, v[6:7]
	v_add_co_u32_e32 v6, vcc, s6, v6
	v_addc_co_u32_e32 v7, vcc, v36, v7, vcc
	;; [unrolled: 3-line block ×4, first 2 shown]
	global_load_dword v38, v[4:5], off
	global_load_dword v87, v[6:7], off
	global_load_dword v88, v[8:9], off
	global_load_dword v89, v[10:11], off
	v_cvt_f32_i32_sdwa v4, sext(v34) dst_sel:DWORD dst_unused:UNUSED_PAD src0_sel:WORD_0
	v_bfe_i32 v6, v45, 0, 8
	v_bfe_i32 v10, v0, 0, 8
	v_lshrrev_b32_e32 v9, 8, v0
	v_lshrrev_b32_e32 v11, 16, v0
	v_lshrrev_b32_e32 v34, 24, v0
	v_bfe_i32 v0, v52, 0, 8
	v_cvt_f32_i32_sdwa v0, sext(v0) dst_sel:DWORD dst_unused:UNUSED_PAD src0_sel:WORD_0
	v_cvt_f32_i32_sdwa v45, sext(v67) dst_sel:DWORD dst_unused:UNUSED_PAD src0_sel:WORD_0
	v_bfe_i32 v52, v58, 0, 8
	v_bfe_i32 v58, v69, 0, 8
	;; [unrolled: 1-line block ×3, first 2 shown]
	v_cvt_f32_i32_sdwa v52, sext(v52) dst_sel:DWORD dst_unused:UNUSED_PAD src0_sel:WORD_0
	v_bfe_i32 v67, v85, 0, 8
	v_bfe_i32 v69, v86, 0, 8
	v_add_co_u32_e32 v28, vcc, s17, v28
	v_addc_co_u32_e32 v29, vcc, 0, v29, vcc
	v_add_co_u32_e32 v32, vcc, 0x400, v32
	v_addc_co_u32_e32 v33, vcc, 0, v33, vcc
	v_cmp_ge_i64_e64 s[2:3], v[28:29], v[18:19]
	v_add_co_u32_e32 v30, vcc, 0x800, v30
	v_addc_co_u32_e32 v31, vcc, 0, v31, vcc
	s_or_b64 s[14:15], s[2:3], s[14:15]
	s_waitcnt vmcnt(3)
	v_bfe_i32 v5, v38, 0, 8
	v_cvt_f32_i32_sdwa v5, sext(v5) dst_sel:DWORD dst_unused:UNUSED_PAD src0_sel:WORD_0
	v_lshrrev_b32_e32 v8, 24, v38
	v_bfe_i32 v8, v8, 0, 8
	v_cvt_f32_i32_sdwa v8, sext(v8) dst_sel:DWORD dst_unused:UNUSED_PAD src0_sel:WORD_0
	v_fmac_f32_e32 v24, v4, v5
	v_cvt_f32_i32_sdwa v4, sext(v43) dst_sel:DWORD dst_unused:UNUSED_PAD src0_sel:WORD_0
	v_cvt_f32_i32_sdwa v43, sext(v59) dst_sel:DWORD dst_unused:UNUSED_PAD src0_sel:WORD_0
	v_bfe_i32 v59, v74, 0, 8
	v_fmac_f32_e32 v25, v4, v5
	v_cvt_f32_i32_sdwa v4, sext(v47) dst_sel:DWORD dst_unused:UNUSED_PAD src0_sel:WORD_0
	v_fmac_f32_e32 v22, v4, v5
	v_cvt_f32_i32_sdwa v4, sext(v51) dst_sel:DWORD dst_unused:UNUSED_PAD src0_sel:WORD_0
	v_bfe_i32 v51, v61, 0, 8
	v_cvt_f32_i32_sdwa v51, sext(v51) dst_sel:DWORD dst_unused:UNUSED_PAD src0_sel:WORD_0
	v_bfe_i32 v61, v70, 0, 8
	v_fmac_f32_e32 v23, v4, v5
	v_bfe_i32 v4, v35, 0, 8
	v_bfe_i32 v5, v37, 0, 8
	v_cvt_f32_i32_sdwa v7, sext(v4) dst_sel:DWORD dst_unused:UNUSED_PAD src0_sel:WORD_0
	v_cvt_f32_i32_sdwa v4, sext(v5) dst_sel:DWORD dst_unused:UNUSED_PAD src0_sel:WORD_0
	;; [unrolled: 1-line block ×3, first 2 shown]
	v_lshrrev_b32_e32 v6, 8, v38
	v_bfe_i32 v6, v6, 0, 8
	v_cvt_f32_i32_sdwa v6, sext(v6) dst_sel:DWORD dst_unused:UNUSED_PAD src0_sel:WORD_0
	v_bfe_i32 v37, v56, 0, 8
	v_bfe_i32 v56, v73, 0, 8
	v_cvt_f32_i32_sdwa v61, sext(v61) dst_sel:DWORD dst_unused:UNUSED_PAD src0_sel:WORD_0
	v_fmac_f32_e32 v24, v7, v6
	v_bfe_i32 v7, v44, 0, 8
	v_cvt_f32_i32_sdwa v7, sext(v7) dst_sel:DWORD dst_unused:UNUSED_PAD src0_sel:WORD_0
	v_fmac_f32_e32 v23, v0, v6
	v_lshrrev_b32_e32 v0, 16, v38
	v_bfe_i32 v0, v0, 0, 8
	v_fmac_f32_e32 v25, v7, v6
	v_bfe_i32 v7, v48, 0, 8
	v_cvt_f32_i32_sdwa v7, sext(v7) dst_sel:DWORD dst_unused:UNUSED_PAD src0_sel:WORD_0
	v_cvt_f32_i32_sdwa v0, sext(v0) dst_sel:DWORD dst_unused:UNUSED_PAD src0_sel:WORD_0
	;; [unrolled: 1-line block ×3, first 2 shown]
	v_bfe_i32 v63, v78, 0, 8
	v_fmac_f32_e32 v22, v7, v6
	v_bfe_i32 v6, v49, 0, 8
	v_bfe_i32 v7, v53, 0, 8
	v_cvt_f32_i32_sdwa v6, sext(v6) dst_sel:DWORD dst_unused:UNUSED_PAD src0_sel:WORD_0
	v_cvt_f32_i32_sdwa v7, sext(v7) dst_sel:DWORD dst_unused:UNUSED_PAD src0_sel:WORD_0
	v_pk_fma_f32 v[4:5], v[4:5], v[0:1], v[24:25] op_sel_hi:[1,0,1]
	v_bfe_i32 v24, v1, 0, 8
	v_lshrrev_b32_e32 v25, 8, v1
	v_pk_fma_f32 v[6:7], v[6:7], v[0:1], v[22:23] op_sel_hi:[1,0,1]
	v_lshrrev_b32_e32 v22, 16, v1
	v_lshrrev_b32_e32 v23, 24, v1
	v_bfe_i32 v0, v42, 0, 8
	v_bfe_i32 v1, v46, 0, 8
	v_cvt_f32_i32_sdwa v1, sext(v1) dst_sel:DWORD dst_unused:UNUSED_PAD src0_sel:WORD_0
	v_cvt_f32_i32_sdwa v0, sext(v0) dst_sel:DWORD dst_unused:UNUSED_PAD src0_sel:WORD_0
	v_bfe_i32 v46, v60, 0, 8
	v_cvt_f32_i32_sdwa v47, sext(v46) dst_sel:DWORD dst_unused:UNUSED_PAD src0_sel:WORD_0
	v_cvt_f32_i32_sdwa v46, sext(v37) dst_sel:DWORD dst_unused:UNUSED_PAD src0_sel:WORD_0
	v_pk_fma_f32 v[38:39], v[0:1], v[8:9], v[4:5] op_sel_hi:[1,0,1]
	v_bfe_i32 v0, v50, 0, 8
	v_bfe_i32 v1, v54, 0, 8
	v_cvt_f32_i32_sdwa v1, sext(v1) dst_sel:DWORD dst_unused:UNUSED_PAD src0_sel:WORD_0
	v_cvt_f32_i32_sdwa v0, sext(v0) dst_sel:DWORD dst_unused:UNUSED_PAD src0_sel:WORD_0
	v_bfe_i32 v54, v72, 0, 8
	v_bfe_i32 v72, v34, 0, 8
	s_waitcnt vmcnt(2)
	v_bfe_i32 v37, v87, 0, 8
	v_pk_fma_f32 v[40:41], v[0:1], v[8:9], v[6:7] op_sel_hi:[1,0,1]
	v_lshrrev_b32_e32 v0, 24, v2
	v_cvt_f32_i32_sdwa v42, sext(v55) dst_sel:DWORD dst_unused:UNUSED_PAD src0_sel:WORD_0
	v_bfe_i32 v78, v0, 0, 8
	v_cvt_f32_i32_sdwa v0, sext(v10) dst_sel:DWORD dst_unused:UNUSED_PAD src0_sel:WORD_0
	v_cvt_f32_i32_sdwa v10, sext(v72) dst_sel:DWORD dst_unused:UNUSED_PAD src0_sel:WORD_0
	;; [unrolled: 1-line block ×3, first 2 shown]
	v_lshrrev_b32_e32 v5, 16, v2
	v_bfe_i32 v73, v25, 0, 8
	v_bfe_i32 v53, v62, 0, 8
	;; [unrolled: 1-line block ×4, first 2 shown]
	v_cvt_f32_i32_sdwa v5, sext(v73) dst_sel:DWORD dst_unused:UNUSED_PAD src0_sel:WORD_0
	v_lshrrev_b32_e32 v73, 8, v87
	v_pk_fma_f32 v[38:39], v[42:43], v[72:73], v[38:39] op_sel_hi:[1,0,1]
	v_bfe_i32 v42, v73, 0, 8
	v_bfe_i32 v48, v64, 0, 8
	;; [unrolled: 1-line block ×3, first 2 shown]
	v_cvt_f32_i32_sdwa v42, sext(v42) dst_sel:DWORD dst_unused:UNUSED_PAD src0_sel:WORD_0
	v_cvt_f32_i32_sdwa v49, sext(v49) dst_sel:DWORD dst_unused:UNUSED_PAD src0_sel:WORD_0
	;; [unrolled: 1-line block ×3, first 2 shown]
	v_lshrrev_b32_e32 v37, 16, v87
	v_lshrrev_b32_e32 v43, 24, v87
	v_bfe_i32 v50, v57, 0, 8
	v_pk_fma_f32 v[40:41], v[44:45], v[72:73], v[40:41] op_sel_hi:[1,0,1]
	s_waitcnt vmcnt(1)
	v_bfe_i32 v44, v88, 0, 8
	v_pk_fma_f32 v[38:39], v[46:47], v[42:43], v[38:39] op_sel_hi:[1,0,1]
	s_waitcnt vmcnt(0)
	v_bfe_i32 v46, v89, 0, 8
	v_bfe_i32 v37, v37, 0, 8
	v_bfe_i32 v43, v43, 0, 8
	v_lshrrev_b32_e32 v1, 8, v3
	v_bfe_i32 v57, v65, 0, 8
	v_cvt_f32_i32_sdwa v50, sext(v50) dst_sel:DWORD dst_unused:UNUSED_PAD src0_sel:WORD_0
	v_pk_fma_f32 v[40:41], v[48:49], v[42:43], v[40:41] op_sel_hi:[1,0,1]
	v_cvt_f32_i32_sdwa v42, sext(v44) dst_sel:DWORD dst_unused:UNUSED_PAD src0_sel:WORD_0
	v_cvt_f32_i32_sdwa v44, sext(v46) dst_sel:DWORD dst_unused:UNUSED_PAD src0_sel:WORD_0
	;; [unrolled: 1-line block ×3, first 2 shown]
	v_bfe_i32 v60, v66, 0, 8
	v_bfe_i32 v64, v80, 0, 8
	;; [unrolled: 1-line block ×3, first 2 shown]
	v_cvt_f32_i32_sdwa v1, sext(v24) dst_sel:DWORD dst_unused:UNUSED_PAD src0_sel:WORD_0
	v_cvt_f32_i32_sdwa v24, sext(v59) dst_sel:DWORD dst_unused:UNUSED_PAD src0_sel:WORD_0
	;; [unrolled: 1-line block ×4, first 2 shown]
	v_lshrrev_b32_e32 v6, 16, v3
	v_bfe_i32 v22, v22, 0, 8
	v_bfe_i32 v74, v23, 0, 8
	v_cvt_f32_i32_sdwa v53, sext(v53) dst_sel:DWORD dst_unused:UNUSED_PAD src0_sel:WORD_0
	v_cvt_f32_i32_sdwa v60, sext(v60) dst_sel:DWORD dst_unused:UNUSED_PAD src0_sel:WORD_0
	v_lshrrev_b32_e32 v45, 8, v88
	v_lshrrev_b32_e32 v47, 8, v89
	v_cvt_f32_i32_sdwa v48, sext(v43) dst_sel:DWORD dst_unused:UNUSED_PAD src0_sel:WORD_0
	v_bfe_i32 v35, v2, 0, 8
	v_lshrrev_b32_e32 v4, 8, v2
	v_bfe_i32 v2, v3, 0, 8
	v_lshrrev_b32_e32 v3, 24, v3
	v_bfe_i32 v55, v76, 0, 8
	v_bfe_i32 v66, v81, 0, 8
	;; [unrolled: 1-line block ×5, first 2 shown]
	v_cvt_f32_i32_sdwa v9, sext(v75) dst_sel:DWORD dst_unused:UNUSED_PAD src0_sel:WORD_0
	v_cvt_f32_i32_sdwa v8, sext(v71) dst_sel:DWORD dst_unused:UNUSED_PAD src0_sel:WORD_0
	;; [unrolled: 1-line block ×7, first 2 shown]
	v_lshrrev_b32_e32 v74, 16, v88
	v_bfe_i32 v45, v45, 0, 8
	v_bfe_i32 v47, v47, 0, 8
	;; [unrolled: 1-line block ×5, first 2 shown]
	v_cvt_f32_i32_sdwa v3, sext(v2) dst_sel:DWORD dst_unused:UNUSED_PAD src0_sel:WORD_0
	v_cvt_f32_i32_sdwa v2, sext(v35) dst_sel:DWORD dst_unused:UNUSED_PAD src0_sel:WORD_0
	;; [unrolled: 1-line block ×8, first 2 shown]
	v_lshrrev_b32_e32 v72, 24, v88
	v_lshrrev_b32_e32 v75, 16, v89
	v_bfe_i32 v74, v74, 0, 8
	v_pk_fma_f32 v[38:39], v[50:51], v[46:47], v[38:39] op_sel_hi:[1,0,1]
	v_cvt_f32_i32_sdwa v50, sext(v45) dst_sel:DWORD dst_unused:UNUSED_PAD src0_sel:WORD_0
	v_cvt_f32_i32_sdwa v34, sext(v56) dst_sel:DWORD dst_unused:UNUSED_PAD src0_sel:WORD_0
	;; [unrolled: 1-line block ×5, first 2 shown]
	v_bfe_i32 v76, v72, 0, 8
	v_bfe_i32 v49, v75, 0, 8
	v_cvt_f32_i32_sdwa v72, sext(v74) dst_sel:DWORD dst_unused:UNUSED_PAD src0_sel:WORD_0
	v_pk_fma_f32 v[40:41], v[58:59], v[46:47], v[40:41] op_sel_hi:[1,0,1]
	v_cvt_f32_i32_sdwa v67, sext(v69) dst_sel:DWORD dst_unused:UNUSED_PAD src0_sel:WORD_0
	v_cvt_f32_i32_sdwa v66, sext(v68) dst_sel:DWORD dst_unused:UNUSED_PAD src0_sel:WORD_0
	;; [unrolled: 1-line block ×3, first 2 shown]
	v_pk_fma_f32 v[38:39], v[52:53], v[48:49], v[38:39] op_sel_hi:[1,0,1]
	v_pk_fma_f32 v[40:41], v[60:61], v[48:49], v[40:41] op_sel_hi:[1,0,1]
	v_lshrrev_b32_e32 v73, 24, v89
	v_pk_fma_f32 v[8:9], v[8:9], v[42:43], v[38:39] op_sel_hi:[1,0,1]
	v_pk_fma_f32 v[6:7], v[6:7], v[42:43], v[40:41] op_sel_hi:[1,0,1]
	v_cvt_f32_i32_sdwa v4, sext(v70) dst_sel:DWORD dst_unused:UNUSED_PAD src0_sel:WORD_0
	v_cvt_f32_i32_sdwa v57, sext(v80) dst_sel:DWORD dst_unused:UNUSED_PAD src0_sel:WORD_0
	v_bfe_i32 v73, v73, 0, 8
	v_cvt_f32_i32_sdwa v58, sext(v47) dst_sel:DWORD dst_unused:UNUSED_PAD src0_sel:WORD_0
	v_pk_fma_f32 v[8:9], v[54:55], v[50:51], v[8:9] op_sel_hi:[1,0,1]
	v_pk_fma_f32 v[6:7], v[62:63], v[50:51], v[6:7] op_sel_hi:[1,0,1]
	v_cvt_f32_i32_sdwa v69, sext(v81) dst_sel:DWORD dst_unused:UNUSED_PAD src0_sel:WORD_0
	v_cvt_f32_i32_sdwa v68, sext(v77) dst_sel:DWORD dst_unused:UNUSED_PAD src0_sel:WORD_0
	;; [unrolled: 1-line block ×3, first 2 shown]
	v_pk_fma_f32 v[8:9], v[34:35], v[72:73], v[8:9] op_sel_hi:[1,0,1]
	v_pk_fma_f32 v[6:7], v[64:65], v[72:73], v[6:7] op_sel_hi:[1,0,1]
	v_cvt_f32_i32_sdwa v71, sext(v82) dst_sel:DWORD dst_unused:UNUSED_PAD src0_sel:WORD_0
	v_cvt_f32_i32_sdwa v70, sext(v78) dst_sel:DWORD dst_unused:UNUSED_PAD src0_sel:WORD_0
	;; [unrolled: 1-line block ×3, first 2 shown]
	v_pk_fma_f32 v[8:9], v[24:25], v[46:47], v[8:9] op_sel_hi:[1,0,1]
	v_pk_fma_f32 v[6:7], v[66:67], v[46:47], v[6:7] op_sel_hi:[1,0,1]
	;; [unrolled: 1-line block ×10, first 2 shown]
	s_andn2_b64 exec, exec, s[14:15]
	s_cbranch_execnz .LBB88_23
; %bb.24:
	s_or_b64 exec, exec, s[14:15]
.LBB88_25:
	s_or_b64 exec, exec, s[10:11]
.LBB88_26:
	s_or_b64 exec, exec, s[8:9]
	s_cbranch_execz .LBB88_28
	s_branch .LBB88_39
.LBB88_27:
                                        ; implicit-def: $vgpr23
                                        ; implicit-def: $vgpr25
.LBB88_28:
	s_mov_b32 s8, 0
	v_mov_b32_e32 v23, 0
	v_mov_b32_e32 v22, 0
	;; [unrolled: 1-line block ×4, first 2 shown]
	s_and_saveexec_b64 s[2:3], s[0:1]
	s_cbranch_execz .LBB88_38
; %bb.29:
	v_or_b32_e32 v0, 32, v14
	v_mov_b32_e32 v1, s19
	v_subrev_co_u32_e32 v0, vcc, s22, v0
	v_subb_co_u32_e32 v1, vcc, 0, v1, vcc
	v_add_co_u32_e32 v0, vcc, v0, v26
	v_addc_co_u32_e32 v1, vcc, v1, v27, vcc
	v_cmp_gt_i64_e32 vcc, v[0:1], v[18:19]
	v_cndmask_b32_e32 v1, v19, v1, vcc
	v_cndmask_b32_e32 v0, v18, v0, vcc
	v_mov_b32_e32 v4, s19
	v_sub_co_u32_e32 v5, vcc, s22, v14
	v_not_b32_e32 v3, v26
	v_subbrev_co_u32_e32 v4, vcc, 0, v4, vcc
	v_not_b32_e32 v2, v27
	v_add_co_u32_e32 v3, vcc, v5, v3
	v_addc_co_u32_e32 v2, vcc, v4, v2, vcc
	v_add_co_u32_e32 v0, vcc, v3, v0
	v_addc_co_u32_e32 v1, vcc, v2, v1, vcc
	v_lshrrev_b32_e32 v2, 5, v0
	v_add_u32_e32 v2, 1, v2
	v_and_b32_e32 v2, 3, v2
	s_mov_b32 s9, s8
	v_cmp_ne_u32_e32 vcc, 0, v2
	v_pk_mov_b32 v[24:25], s[8:9], s[8:9] op_sel:[0,1]
	v_pk_mov_b32 v[22:23], s[8:9], s[8:9] op_sel:[0,1]
	s_and_saveexec_b64 s[8:9], vcc
	s_cbranch_execz .LBB88_33
; %bb.30:
	v_lshlrev_b64 v[4:5], 3, v[16:17]
	v_mov_b32_e32 v3, 0
	v_mov_b32_e32 v6, s13
	v_add_co_u32_e32 v4, vcc, s12, v4
	v_addc_co_u32_e32 v5, vcc, v6, v5, vcc
	v_lshlrev_b32_e32 v2, 1, v2
	s_mov_b64 s[10:11], 0
	v_mov_b32_e32 v6, s19
	v_mov_b32_e32 v7, s7
	s_movk_i32 s14, 0x200
	v_mov_b32_e32 v22, v3
	v_mov_b32_e32 v23, v3
	;; [unrolled: 1-line block ×4, first 2 shown]
.LBB88_31:                              ; =>This Inner Loop Header: Depth=1
	global_load_dwordx2 v[26:27], v[4:5], off
	global_load_dwordx4 v[8:11], v[20:21], off
	v_add_co_u32_e64 v16, s[0:1], 32, v16
	v_addc_co_u32_e64 v17, s[0:1], 0, v17, s[0:1]
	v_add_co_u32_e64 v2, s[0:1], -2, v2
	v_addc_co_u32_e64 v3, s[0:1], -1, v3, s[0:1]
	v_cmp_eq_u64_e64 s[0:1], 0, v[2:3]
	s_or_b64 s[10:11], s[0:1], s[10:11]
	s_waitcnt vmcnt(1)
	v_subrev_co_u32_e32 v26, vcc, s22, v26
	v_subb_co_u32_e32 v27, vcc, v27, v6, vcc
	v_lshlrev_b64 v[26:27], 2, v[26:27]
	v_add_co_u32_e32 v26, vcc, s6, v26
	v_addc_co_u32_e32 v27, vcc, v7, v27, vcc
	global_load_dword v15, v[26:27], off
	s_waitcnt vmcnt(1)
	v_lshrrev_b32_e32 v26, 8, v8
	v_bfe_i32 v27, v8, 0, 8
	v_lshrrev_b32_e32 v28, 16, v8
	v_lshrrev_b32_e32 v8, 24, v8
	v_lshrrev_b32_e32 v29, 8, v9
	v_bfe_i32 v30, v9, 0, 8
	v_lshrrev_b32_e32 v31, 16, v9
	v_lshrrev_b32_e32 v9, 24, v9
	v_bfe_i32 v32, v10, 0, 8
	v_lshrrev_b32_e32 v33, 8, v10
	v_lshrrev_b32_e32 v34, 16, v10
	;; [unrolled: 1-line block ×3, first 2 shown]
	v_bfe_i32 v38, v26, 0, 8
	v_bfe_i32 v39, v28, 0, 8
	;; [unrolled: 1-line block ×6, first 2 shown]
	v_cvt_f32_i32_sdwa v10, sext(v30) dst_sel:DWORD dst_unused:UNUSED_PAD src0_sel:WORD_0
	v_cvt_f32_i32_sdwa v9, sext(v38) dst_sel:DWORD dst_unused:UNUSED_PAD src0_sel:WORD_0
	;; [unrolled: 1-line block ×4, first 2 shown]
	v_lshrrev_b32_e32 v35, 8, v11
	v_bfe_i32 v36, v11, 0, 8
	v_lshrrev_b32_e32 v37, 16, v11
	v_lshrrev_b32_e32 v11, 24, v11
	v_bfe_i32 v29, v29, 0, 8
	v_cvt_f32_i32_sdwa v8, sext(v27) dst_sel:DWORD dst_unused:UNUSED_PAD src0_sel:WORD_0
	v_cvt_f32_i32_sdwa v26, sext(v32) dst_sel:DWORD dst_unused:UNUSED_PAD src0_sel:WORD_0
	;; [unrolled: 1-line block ×3, first 2 shown]
	v_bfe_i32 v43, v33, 0, 8
	v_bfe_i32 v34, v34, 0, 8
	v_cvt_f32_i32_sdwa v28, sext(v36) dst_sel:DWORD dst_unused:UNUSED_PAD src0_sel:WORD_0
	v_bfe_i32 v36, v37, 0, 8
	v_bfe_i32 v37, v11, 0, 8
	v_cvt_f32_i32_sdwa v11, sext(v29) dst_sel:DWORD dst_unused:UNUSED_PAD src0_sel:WORD_0
	v_cvt_f32_i32_sdwa v33, sext(v42) dst_sel:DWORD dst_unused:UNUSED_PAD src0_sel:WORD_0
	v_bfe_i32 v45, v35, 0, 8
	v_cvt_f32_i32_sdwa v27, sext(v43) dst_sel:DWORD dst_unused:UNUSED_PAD src0_sel:WORD_0
	v_cvt_f32_i32_sdwa v34, sext(v34) dst_sel:DWORD dst_unused:UNUSED_PAD src0_sel:WORD_0
	;; [unrolled: 1-line block ×6, first 2 shown]
	v_add_co_u32_e32 v20, vcc, s14, v20
	v_addc_co_u32_e32 v21, vcc, 0, v21, vcc
	v_add_co_u32_e32 v4, vcc, 0x100, v4
	v_addc_co_u32_e32 v5, vcc, 0, v5, vcc
	s_waitcnt vmcnt(0)
	v_lshrrev_b32_e32 v38, 16, v15
	v_bfe_i32 v39, v15, 0, 8
	v_lshrrev_b32_e32 v40, 8, v15
	v_bfe_i32 v40, v40, 0, 8
	v_bfe_i32 v41, v38, 0, 8
	v_cvt_f32_i32_sdwa v38, sext(v39) dst_sel:DWORD dst_unused:UNUSED_PAD src0_sel:WORD_0
	v_lshrrev_b32_e32 v15, 24, v15
	v_cvt_f32_i32_sdwa v40, sext(v40) dst_sel:DWORD dst_unused:UNUSED_PAD src0_sel:WORD_0
	v_bfe_i32 v15, v15, 0, 8
	v_cvt_f32_i32_sdwa v42, sext(v41) dst_sel:DWORD dst_unused:UNUSED_PAD src0_sel:WORD_0
	v_cvt_f32_i32_sdwa v44, sext(v15) dst_sel:DWORD dst_unused:UNUSED_PAD src0_sel:WORD_0
	v_pk_fma_f32 v[8:9], v[8:9], v[38:39], v[24:25] op_sel_hi:[1,0,1]
	v_pk_fma_f32 v[22:23], v[30:31], v[38:39], v[22:23] op_sel_hi:[1,0,1]
	;; [unrolled: 1-line block ×8, first 2 shown]
	s_andn2_b64 exec, exec, s[10:11]
	s_cbranch_execnz .LBB88_31
; %bb.32:
	s_or_b64 exec, exec, s[10:11]
.LBB88_33:
	s_or_b64 exec, exec, s[8:9]
	s_mov_b64 s[0:1], 0x5f
	v_cmp_lt_u64_e32 vcc, s[0:1], v[0:1]
	s_and_saveexec_b64 s[0:1], vcc
	s_cbranch_execz .LBB88_37
; %bb.34:
	v_lshlrev_b64 v[0:1], 3, v[16:17]
	v_mov_b32_e32 v2, s13
	v_add_co_u32_e32 v0, vcc, s12, v0
	v_addc_co_u32_e32 v1, vcc, v1, v2, vcc
	v_add_co_u32_e32 v8, vcc, 0x200, v0
	v_addc_co_u32_e32 v9, vcc, 0, v1, vcc
	s_mov_b64 s[8:9], 0
	v_mov_b32_e32 v15, s19
	v_mov_b32_e32 v26, s7
	s_movk_i32 s7, 0x800
.LBB88_35:                              ; =>This Inner Loop Header: Depth=1
	global_load_dwordx2 v[10:11], v[8:9], off offset:-512
	global_load_dwordx4 v[0:3], v[20:21], off
	global_load_dwordx4 v[28:31], v[20:21], off offset:512
	global_load_dwordx2 v[36:37], v[8:9], off offset:-256
	global_load_dwordx2 v[38:39], v[8:9], off
	global_load_dwordx2 v[40:41], v[8:9], off offset:256
	global_load_dwordx4 v[32:35], v[20:21], off offset:1024
	global_load_dwordx4 v[4:7], v[20:21], off offset:1536
	s_waitcnt vmcnt(7)
	v_subrev_co_u32_e32 v10, vcc, s22, v10
	v_subb_co_u32_e32 v11, vcc, v11, v15, vcc
	s_waitcnt vmcnt(6)
	v_lshrrev_b32_e32 v27, 8, v0
	v_bfe_i32 v42, v0, 0, 8
	v_lshrrev_b32_e32 v43, 16, v0
	v_lshrrev_b32_e32 v44, 24, v0
	s_waitcnt vmcnt(4)
	v_subrev_co_u32_e32 v0, vcc, s22, v36
	v_lshrrev_b32_e32 v45, 8, v1
	v_bfe_i32 v46, v1, 0, 8
	v_lshrrev_b32_e32 v47, 16, v1
	v_lshrrev_b32_e32 v64, 24, v1
	v_subb_co_u32_e32 v1, vcc, v37, v15, vcc
	v_lshrrev_b32_e32 v48, 8, v28
	v_bfe_i32 v49, v28, 0, 8
	v_lshrrev_b32_e32 v50, 16, v28
	v_lshrrev_b32_e32 v51, 24, v28
	s_waitcnt vmcnt(3)
	v_subrev_co_u32_e32 v28, vcc, s22, v38
	v_lshrrev_b32_e32 v52, 8, v29
	v_bfe_i32 v53, v29, 0, 8
	v_lshrrev_b32_e32 v54, 16, v29
	v_lshrrev_b32_e32 v55, 24, v29
	v_subb_co_u32_e32 v29, vcc, v39, v15, vcc
	;; [unrolled: 11-line block ×3, first 2 shown]
	v_lshlrev_b64 v[10:11], 2, v[10:11]
	v_add_co_u32_e32 v10, vcc, s6, v10
	v_addc_co_u32_e32 v11, vcc, v26, v11, vcc
	v_cvt_f32_i32_sdwa v36, sext(v42) dst_sel:DWORD dst_unused:UNUSED_PAD src0_sel:WORD_0
	global_load_dword v42, v[10:11], off
	v_lshlrev_b64 v[0:1], 2, v[0:1]
	v_add_co_u32_e32 v0, vcc, s6, v0
	v_addc_co_u32_e32 v1, vcc, v26, v1, vcc
	global_load_dword v69, v[0:1], off
	v_lshlrev_b64 v[28:29], 2, v[28:29]
	v_add_co_u32_e32 v28, vcc, s6, v28
	v_lshlrev_b64 v[30:31], 2, v[30:31]
	v_addc_co_u32_e32 v29, vcc, v26, v29, vcc
	v_add_co_u32_e32 v30, vcc, s6, v30
	v_addc_co_u32_e32 v31, vcc, v26, v31, vcc
	global_load_dword v71, v[28:29], off
	global_load_dword v72, v[30:31], off
	v_bfe_i32 v27, v27, 0, 8
	v_cvt_f32_i32_sdwa v37, sext(v27) dst_sel:DWORD dst_unused:UNUSED_PAD src0_sel:WORD_0
	s_waitcnt vmcnt(5)
	v_lshrrev_b32_e32 v70, 8, v34
	v_bfe_i32 v31, v34, 0, 8
	v_lshrrev_b32_e32 v28, 16, v34
	v_lshrrev_b32_e32 v29, 8, v35
	;; [unrolled: 1-line block ×3, first 2 shown]
	v_bfe_i32 v38, v2, 0, 8
	v_lshrrev_b32_e32 v39, 8, v2
	v_lshrrev_b32_e32 v40, 16, v2
	;; [unrolled: 1-line block ×5, first 2 shown]
	s_waitcnt vmcnt(4)
	v_lshrrev_b32_e32 v73, 8, v7
	v_bfe_i32 v74, v7, 0, 8
	v_lshrrev_b32_e32 v75, 16, v6
	v_lshrrev_b32_e32 v76, 24, v6
	v_bfe_i32 v41, v41, 0, 8
	v_bfe_i32 v27, v27, 0, 8
	v_lshrrev_b32_e32 v67, 8, v33
	v_bfe_i32 v65, v32, 0, 8
	v_lshrrev_b32_e32 v32, 24, v32
	;; [unrolled: 2-line block ×3, first 2 shown]
	v_add_co_u32_e32 v20, vcc, s7, v20
	v_addc_co_u32_e32 v21, vcc, 0, v21, vcc
	v_add_co_u32_e32 v16, vcc, 0x80, v16
	v_bfe_i32 v73, v73, 0, 8
	v_addc_co_u32_e32 v17, vcc, 0, v17, vcc
	v_add_co_u32_e32 v8, vcc, 0x400, v8
	v_addc_co_u32_e32 v9, vcc, 0, v9, vcc
	v_cmp_ge_i64_e32 vcc, v[16:17], v[18:19]
	s_or_b64 s[8:9], vcc, s[8:9]
	s_waitcnt vmcnt(3)
	v_bfe_i32 v0, v42, 0, 8
	v_cvt_f32_i32_sdwa v0, sext(v0) dst_sel:DWORD dst_unused:UNUSED_PAD src0_sel:WORD_0
	v_pk_fma_f32 v[10:11], v[36:37], v[0:1], v[24:25] op_sel_hi:[1,0,1]
	v_bfe_i32 v1, v43, 0, 8
	v_bfe_i32 v24, v44, 0, 8
	v_cvt_f32_i32_sdwa v25, sext(v24) dst_sel:DWORD dst_unused:UNUSED_PAD src0_sel:WORD_0
	v_cvt_f32_i32_sdwa v24, sext(v1) dst_sel:DWORD dst_unused:UNUSED_PAD src0_sel:WORD_0
	v_bfe_i32 v36, v35, 0, 8
	v_lshrrev_b32_e32 v37, 16, v3
	v_lshrrev_b32_e32 v43, 24, v3
	v_pk_fma_f32 v[0:1], v[24:25], v[0:1], v[22:23] op_sel_hi:[1,0,1]
	v_lshrrev_b32_e32 v22, 8, v42
	v_lshrrev_b32_e32 v25, 24, v34
	;; [unrolled: 1-line block ×4, first 2 shown]
	v_bfe_i32 v35, v3, 0, 8
	v_bfe_i32 v3, v45, 0, 8
	;; [unrolled: 1-line block ×3, first 2 shown]
	v_lshrrev_b32_e32 v23, 24, v2
	v_cvt_f32_i32_sdwa v2, sext(v46) dst_sel:DWORD dst_unused:UNUSED_PAD src0_sel:WORD_0
	v_cvt_f32_i32_sdwa v3, sext(v3) dst_sel:DWORD dst_unused:UNUSED_PAD src0_sel:WORD_0
	;; [unrolled: 1-line block ×3, first 2 shown]
	v_lshrrev_b32_e32 v44, 8, v4
	v_bfe_i32 v45, v4, 0, 8
	v_lshrrev_b32_e32 v46, 16, v4
	v_pk_fma_f32 v[2:3], v[2:3], v[22:23], v[10:11] op_sel_hi:[1,0,1]
	v_bfe_i32 v10, v47, 0, 8
	v_bfe_i32 v11, v64, 0, 8
	v_cvt_f32_i32_sdwa v11, sext(v11) dst_sel:DWORD dst_unused:UNUSED_PAD src0_sel:WORD_0
	v_cvt_f32_i32_sdwa v10, sext(v10) dst_sel:DWORD dst_unused:UNUSED_PAD src0_sel:WORD_0
	v_lshrrev_b32_e32 v47, 24, v4
	v_bfe_i32 v4, v39, 0, 8
	v_bfe_i32 v39, v5, 0, 8
	v_pk_fma_f32 v[0:1], v[10:11], v[22:23], v[0:1] op_sel_hi:[1,0,1]
	v_cvt_f32_i32_sdwa v11, sext(v4) dst_sel:DWORD dst_unused:UNUSED_PAD src0_sel:WORD_0
	v_lshrrev_b32_e32 v4, 16, v42
	v_bfe_i32 v4, v4, 0, 8
	v_cvt_f32_i32_sdwa v10, sext(v38) dst_sel:DWORD dst_unused:UNUSED_PAD src0_sel:WORD_0
	v_cvt_f32_i32_sdwa v4, sext(v4) dst_sel:DWORD dst_unused:UNUSED_PAD src0_sel:WORD_0
	v_lshrrev_b32_e32 v38, 8, v5
	v_lshrrev_b32_e32 v64, 24, v5
	v_bfe_i32 v77, v38, 0, 8
	v_pk_fma_f32 v[2:3], v[10:11], v[4:5], v[2:3] op_sel_hi:[1,0,1]
	v_bfe_i32 v10, v40, 0, 8
	v_bfe_i32 v11, v23, 0, 8
	v_cvt_f32_i32_sdwa v10, sext(v10) dst_sel:DWORD dst_unused:UNUSED_PAD src0_sel:WORD_0
	v_cvt_f32_i32_sdwa v11, sext(v11) dst_sel:DWORD dst_unused:UNUSED_PAD src0_sel:WORD_0
	v_lshrrev_b32_e32 v40, 16, v5
	v_cvt_f32_i32_sdwa v38, sext(v45) dst_sel:DWORD dst_unused:UNUSED_PAD src0_sel:WORD_0
	v_cvt_f32_i32_sdwa v36, sext(v36) dst_sel:DWORD dst_unused:UNUSED_PAD src0_sel:WORD_0
	v_pk_fma_f32 v[0:1], v[10:11], v[4:5], v[0:1] op_sel_hi:[1,0,1]
	v_lshrrev_b32_e32 v10, 24, v42
	v_bfe_i32 v5, v24, 0, 8
	v_bfe_i32 v10, v10, 0, 8
	v_cvt_f32_i32_sdwa v4, sext(v35) dst_sel:DWORD dst_unused:UNUSED_PAD src0_sel:WORD_0
	v_cvt_f32_i32_sdwa v5, sext(v5) dst_sel:DWORD dst_unused:UNUSED_PAD src0_sel:WORD_0
	;; [unrolled: 1-line block ×3, first 2 shown]
	v_lshrrev_b32_e32 v35, 16, v7
	v_lshrrev_b32_e32 v42, 8, v6
	v_cvt_f32_i32_sdwa v24, sext(v61) dst_sel:DWORD dst_unused:UNUSED_PAD src0_sel:WORD_0
	v_pk_fma_f32 v[2:3], v[4:5], v[10:11], v[2:3] op_sel_hi:[1,0,1]
	v_bfe_i32 v4, v37, 0, 8
	v_bfe_i32 v5, v43, 0, 8
	v_cvt_f32_i32_sdwa v5, sext(v5) dst_sel:DWORD dst_unused:UNUSED_PAD src0_sel:WORD_0
	v_cvt_f32_i32_sdwa v4, sext(v4) dst_sel:DWORD dst_unused:UNUSED_PAD src0_sel:WORD_0
	v_lshrrev_b32_e32 v37, 24, v7
	v_bfe_i32 v7, v50, 0, 8
	v_bfe_i32 v50, v55, 0, 8
	v_pk_fma_f32 v[0:1], v[4:5], v[10:11], v[0:1] op_sel_hi:[1,0,1]
	v_bfe_i32 v5, v48, 0, 8
	v_bfe_i32 v48, v52, 0, 8
	;; [unrolled: 1-line block ×7, first 2 shown]
	v_cvt_f32_i32_sdwa v6, sext(v53) dst_sel:DWORD dst_unused:UNUSED_PAD src0_sel:WORD_0
	v_bfe_i32 v51, v56, 0, 8
	v_bfe_i32 v53, v59, 0, 8
	;; [unrolled: 1-line block ×3, first 2 shown]
	v_cvt_f32_i32_sdwa v10, sext(v57) dst_sel:DWORD dst_unused:UNUSED_PAD src0_sel:WORD_0
	v_bfe_i32 v57, v66, 0, 8
	v_bfe_i32 v61, v70, 0, 8
	;; [unrolled: 1-line block ×5, first 2 shown]
	v_cvt_f32_i32_sdwa v29, sext(v50) dst_sel:DWORD dst_unused:UNUSED_PAD src0_sel:WORD_0
	v_cvt_f32_i32_sdwa v34, sext(v31) dst_sel:DWORD dst_unused:UNUSED_PAD src0_sel:WORD_0
	;; [unrolled: 1-line block ×3, first 2 shown]
	v_bfe_i32 v41, v44, 0, 8
	v_cvt_f32_i32_sdwa v44, sext(v52) dst_sel:DWORD dst_unused:UNUSED_PAD src0_sel:WORD_0
	v_cvt_f32_i32_sdwa v50, sext(v27) dst_sel:DWORD dst_unused:UNUSED_PAD src0_sel:WORD_0
	;; [unrolled: 1-line block ×3, first 2 shown]
	v_bfe_i32 v27, v75, 0, 8
	v_bfe_i32 v62, v76, 0, 8
	v_cvt_f32_i32_sdwa v45, sext(v53) dst_sel:DWORD dst_unused:UNUSED_PAD src0_sel:WORD_0
	v_cvt_f32_i32_sdwa v53, sext(v63) dst_sel:DWORD dst_unused:UNUSED_PAD src0_sel:WORD_0
	;; [unrolled: 1-line block ×4, first 2 shown]
	s_waitcnt vmcnt(2)
	v_bfe_i32 v27, v69, 0, 8
	v_cvt_f32_i32_sdwa v4, sext(v49) dst_sel:DWORD dst_unused:UNUSED_PAD src0_sel:WORD_0
	v_cvt_f32_i32_sdwa v5, sext(v5) dst_sel:DWORD dst_unused:UNUSED_PAD src0_sel:WORD_0
	v_bfe_i32 v80, v37, 0, 8
	v_cvt_f32_i32_sdwa v37, sext(v66) dst_sel:DWORD dst_unused:UNUSED_PAD src0_sel:WORD_0
	v_cvt_f32_i32_sdwa v66, sext(v27) dst_sel:DWORD dst_unused:UNUSED_PAD src0_sel:WORD_0
	v_bfe_i32 v49, v54, 0, 8
	v_bfe_i32 v54, v60, 0, 8
	;; [unrolled: 1-line block ×4, first 2 shown]
	v_cvt_f32_i32_sdwa v25, sext(v54) dst_sel:DWORD dst_unused:UNUSED_PAD src0_sel:WORD_0
	v_cvt_f32_i32_sdwa v54, sext(v67) dst_sel:DWORD dst_unused:UNUSED_PAD src0_sel:WORD_0
	v_lshrrev_b32_e32 v67, 8, v69
	v_pk_fma_f32 v[2:3], v[4:5], v[66:67], v[2:3] op_sel_hi:[1,0,1]
	v_bfe_i32 v4, v67, 0, 8
	v_cvt_f32_i32_sdwa v23, sext(v11) dst_sel:DWORD dst_unused:UNUSED_PAD src0_sel:WORD_0
	v_cvt_f32_i32_sdwa v22, sext(v7) dst_sel:DWORD dst_unused:UNUSED_PAD src0_sel:WORD_0
	v_cvt_f32_i32_sdwa v7, sext(v48) dst_sel:DWORD dst_unused:UNUSED_PAD src0_sel:WORD_0
	v_cvt_f32_i32_sdwa v4, sext(v4) dst_sel:DWORD dst_unused:UNUSED_PAD src0_sel:WORD_0
	v_cvt_f32_i32_sdwa v28, sext(v49) dst_sel:DWORD dst_unused:UNUSED_PAD src0_sel:WORD_0
	v_lshrrev_b32_e32 v5, 16, v69
	v_pk_fma_f32 v[0:1], v[22:23], v[66:67], v[0:1] op_sel_hi:[1,0,1]
	s_waitcnt vmcnt(1)
	v_bfe_i32 v22, v71, 0, 8
	v_pk_fma_f32 v[2:3], v[6:7], v[4:5], v[2:3] op_sel_hi:[1,0,1]
	v_bfe_i32 v5, v5, 0, 8
	v_cvt_f32_i32_sdwa v11, sext(v51) dst_sel:DWORD dst_unused:UNUSED_PAD src0_sel:WORD_0
	v_lshrrev_b32_e32 v27, 24, v69
	v_pk_fma_f32 v[0:1], v[28:29], v[4:5], v[0:1] op_sel_hi:[1,0,1]
	v_cvt_f32_i32_sdwa v4, sext(v22) dst_sel:DWORD dst_unused:UNUSED_PAD src0_sel:WORD_0
	v_cvt_f32_i32_sdwa v22, sext(v5) dst_sel:DWORD dst_unused:UNUSED_PAD src0_sel:WORD_0
	v_bfe_i32 v27, v27, 0, 8
	v_bfe_i32 v58, v32, 0, 8
	v_cvt_f32_i32_sdwa v30, sext(v65) dst_sel:DWORD dst_unused:UNUSED_PAD src0_sel:WORD_0
	v_cvt_f32_i32_sdwa v32, sext(v68) dst_sel:DWORD dst_unused:UNUSED_PAD src0_sel:WORD_0
	v_bfe_i32 v65, v46, 0, 8
	v_bfe_i32 v68, v47, 0, 8
	v_cvt_f32_i32_sdwa v47, sext(v56) dst_sel:DWORD dst_unused:UNUSED_PAD src0_sel:WORD_0
	v_cvt_f32_i32_sdwa v46, sext(v55) dst_sel:DWORD dst_unused:UNUSED_PAD src0_sel:WORD_0
	v_lshrrev_b32_e32 v23, 8, v71
	v_cvt_f32_i32_sdwa v28, sext(v27) dst_sel:DWORD dst_unused:UNUSED_PAD src0_sel:WORD_0
	v_bfe_i32 v60, v33, 0, 8
	v_cvt_f32_i32_sdwa v49, sext(v58) dst_sel:DWORD dst_unused:UNUSED_PAD src0_sel:WORD_0
	v_cvt_f32_i32_sdwa v48, sext(v57) dst_sel:DWORD dst_unused:UNUSED_PAD src0_sel:WORD_0
	;; [unrolled: 1-line block ×3, first 2 shown]
	v_lshrrev_b32_e32 v68, 16, v71
	v_bfe_i32 v23, v23, 0, 8
	v_cvt_f32_i32_sdwa v33, sext(v59) dst_sel:DWORD dst_unused:UNUSED_PAD src0_sel:WORD_0
	v_cvt_f32_i32_sdwa v51, sext(v60) dst_sel:DWORD dst_unused:UNUSED_PAD src0_sel:WORD_0
	v_lshrrev_b32_e32 v66, 24, v71
	s_waitcnt vmcnt(0)
	v_lshrrev_b32_e32 v69, 16, v72
	v_bfe_i32 v68, v68, 0, 8
	v_pk_fma_f32 v[2:3], v[10:11], v[22:23], v[2:3] op_sel_hi:[1,0,1]
	v_cvt_f32_i32_sdwa v10, sext(v23) dst_sel:DWORD dst_unused:UNUSED_PAD src0_sel:WORD_0
	v_bfe_i32 v79, v35, 0, 8
	v_cvt_f32_i32_sdwa v35, sext(v61) dst_sel:DWORD dst_unused:UNUSED_PAD src0_sel:WORD_0
	v_cvt_f32_i32_sdwa v55, sext(v70) dst_sel:DWORD dst_unused:UNUSED_PAD src0_sel:WORD_0
	v_bfe_i32 v70, v66, 0, 8
	v_bfe_i32 v29, v69, 0, 8
	v_cvt_f32_i32_sdwa v66, sext(v68) dst_sel:DWORD dst_unused:UNUSED_PAD src0_sel:WORD_0
	v_pk_fma_f32 v[0:1], v[44:45], v[22:23], v[0:1] op_sel_hi:[1,0,1]
	v_bfe_i32 v6, v72, 0, 8
	v_lshrrev_b32_e32 v7, 8, v72
	v_cvt_f32_i32_sdwa v22, sext(v70) dst_sel:DWORD dst_unused:UNUSED_PAD src0_sel:WORD_0
	v_pk_fma_f32 v[2:3], v[24:25], v[28:29], v[2:3] op_sel_hi:[1,0,1]
	v_pk_fma_f32 v[0:1], v[46:47], v[28:29], v[0:1] op_sel_hi:[1,0,1]
	v_bfe_i32 v78, v40, 0, 8
	v_bfe_i32 v64, v64, 0, 8
	v_cvt_f32_i32_sdwa v40, sext(v39) dst_sel:DWORD dst_unused:UNUSED_PAD src0_sel:WORD_0
	v_cvt_f32_i32_sdwa v39, sext(v41) dst_sel:DWORD dst_unused:UNUSED_PAD src0_sel:WORD_0
	;; [unrolled: 1-line block ×3, first 2 shown]
	v_lshrrev_b32_e32 v67, 24, v72
	v_bfe_i32 v7, v7, 0, 8
	v_cvt_f32_i32_sdwa v6, sext(v6) dst_sel:DWORD dst_unused:UNUSED_PAD src0_sel:WORD_0
	v_pk_fma_f32 v[2:3], v[30:31], v[4:5], v[2:3] op_sel_hi:[1,0,1]
	v_pk_fma_f32 v[0:1], v[48:49], v[4:5], v[0:1] op_sel_hi:[1,0,1]
	v_bfe_i32 v59, v42, 0, 8
	v_cvt_f32_i32_sdwa v41, sext(v77) dst_sel:DWORD dst_unused:UNUSED_PAD src0_sel:WORD_0
	v_cvt_f32_i32_sdwa v60, sext(v78) dst_sel:DWORD dst_unused:UNUSED_PAD src0_sel:WORD_0
	;; [unrolled: 1-line block ×3, first 2 shown]
	v_bfe_i32 v67, v67, 0, 8
	v_cvt_f32_i32_sdwa v44, sext(v7) dst_sel:DWORD dst_unused:UNUSED_PAD src0_sel:WORD_0
	v_pk_fma_f32 v[2:3], v[32:33], v[10:11], v[2:3] op_sel_hi:[1,0,1]
	v_pk_fma_f32 v[0:1], v[50:51], v[10:11], v[0:1] op_sel_hi:[1,0,1]
	v_cvt_f32_i32_sdwa v42, sext(v43) dst_sel:DWORD dst_unused:UNUSED_PAD src0_sel:WORD_0
	v_cvt_f32_i32_sdwa v43, sext(v59) dst_sel:DWORD dst_unused:UNUSED_PAD src0_sel:WORD_0
	;; [unrolled: 1-line block ×3, first 2 shown]
	v_pk_fma_f32 v[2:3], v[34:35], v[66:67], v[2:3] op_sel_hi:[1,0,1]
	v_pk_fma_f32 v[0:1], v[52:53], v[66:67], v[0:1] op_sel_hi:[1,0,1]
	v_cvt_f32_i32_sdwa v58, sext(v74) dst_sel:DWORD dst_unused:UNUSED_PAD src0_sel:WORD_0
	v_cvt_f32_i32_sdwa v59, sext(v73) dst_sel:DWORD dst_unused:UNUSED_PAD src0_sel:WORD_0
	;; [unrolled: 1-line block ×5, first 2 shown]
	v_pk_fma_f32 v[2:3], v[36:37], v[22:23], v[2:3] op_sel_hi:[1,0,1]
	v_pk_fma_f32 v[0:1], v[54:55], v[22:23], v[0:1] op_sel_hi:[1,0,1]
	;; [unrolled: 1-line block ×10, first 2 shown]
	s_andn2_b64 exec, exec, s[8:9]
	s_cbranch_execnz .LBB88_35
; %bb.36:
	s_or_b64 exec, exec, s[8:9]
.LBB88_37:
	s_or_b64 exec, exec, s[0:1]
.LBB88_38:
	s_or_b64 exec, exec, s[2:3]
.LBB88_39:
	v_mov_b32_dpp v0, v24 row_shr:1 row_mask:0xf bank_mask:0xf
	v_mov_b32_dpp v1, v25 row_shr:1 row_mask:0xf bank_mask:0xf
	;; [unrolled: 1-line block ×4, first 2 shown]
	v_pk_add_f32 v[0:1], v[24:25], v[0:1]
	v_pk_add_f32 v[4:5], v[22:23], v[4:5]
	v_cmp_eq_u32_e32 vcc, 31, v14
	v_mov_b32_dpp v2, v0 row_shr:2 row_mask:0xf bank_mask:0xf
	v_mov_b32_dpp v3, v1 row_shr:2 row_mask:0xf bank_mask:0xf
	v_mov_b32_dpp v6, v4 row_shr:2 row_mask:0xf bank_mask:0xf
	v_mov_b32_dpp v7, v5 row_shr:2 row_mask:0xf bank_mask:0xf
	v_pk_add_f32 v[0:1], v[0:1], v[2:3]
	v_pk_add_f32 v[4:5], v[4:5], v[6:7]
	s_nop 0
	v_mov_b32_dpp v2, v0 row_shr:4 row_mask:0xf bank_mask:0xe
	v_mov_b32_dpp v3, v1 row_shr:4 row_mask:0xf bank_mask:0xe
	v_mov_b32_dpp v6, v4 row_shr:4 row_mask:0xf bank_mask:0xe
	v_mov_b32_dpp v7, v5 row_shr:4 row_mask:0xf bank_mask:0xe
	v_pk_add_f32 v[0:1], v[0:1], v[2:3]
	v_pk_add_f32 v[4:5], v[4:5], v[6:7]
	s_nop 0
	;; [unrolled: 7-line block ×3, first 2 shown]
	v_mov_b32_dpp v2, v0 row_bcast:15 row_mask:0xa bank_mask:0xf
	v_mov_b32_dpp v3, v1 row_bcast:15 row_mask:0xa bank_mask:0xf
	;; [unrolled: 1-line block ×4, first 2 shown]
	s_and_b64 exec, exec, vcc
	s_cbranch_execz .LBB88_10
; %bb.40:
	s_load_dwordx2 s[0:1], s[4:5], 0x58
	v_cmp_eq_f32_e64 s[2:3], s20, 0
	v_pk_add_f32 v[2:3], v[0:1], v[2:3]
	v_pk_add_f32 v[0:1], v[4:5], v[6:7]
	s_and_b64 vcc, exec, s[2:3]
	v_lshlrev_b64 v[4:5], 4, v[12:13]
	s_cbranch_vccz .LBB88_42
; %bb.41:
	s_waitcnt lgkmcnt(0)
	v_mov_b32_e32 v6, s1
	v_add_co_u32_e32 v10, vcc, s0, v4
	v_addc_co_u32_e32 v11, vcc, v6, v5, vcc
	v_pk_mul_f32 v[6:7], s[16:17], v[2:3] op_sel_hi:[0,1]
	v_pk_mul_f32 v[8:9], s[16:17], v[0:1] op_sel_hi:[0,1]
	global_store_dwordx4 v[10:11], v[6:9], off
	s_cbranch_execnz .LBB88_10
	s_branch .LBB88_43
.LBB88_42:
.LBB88_43:
	s_waitcnt lgkmcnt(0)
	v_mov_b32_e32 v6, s1
	v_add_co_u32_e32 v8, vcc, s0, v4
	v_addc_co_u32_e32 v9, vcc, v6, v5, vcc
	global_load_dwordx4 v[4:7], v[8:9], off
	v_pk_mul_f32 v[2:3], s[16:17], v[2:3] op_sel_hi:[0,1]
	v_pk_mul_f32 v[10:11], s[16:17], v[0:1] op_sel_hi:[0,1]
	s_waitcnt vmcnt(0)
	v_pk_fma_f32 v[0:1], s[20:21], v[4:5], v[2:3] op_sel_hi:[0,1,1]
	v_pk_fma_f32 v[2:3], s[20:21], v[6:7], v[10:11] op_sel_hi:[0,1,1]
	global_store_dwordx4 v[8:9], v[0:3], off
	s_endpgm
	.section	.rodata,"a",@progbits
	.p2align	6, 0x0
	.amdhsa_kernel _ZN9rocsparseL18bsrxmvn_4x4_kernelILj128ELj32EfllaafEEvT3_20rocsparse_direction_NS_24const_host_device_scalarIT1_EES1_PKS1_PKT2_SA_S7_PKT4_PKT5_S5_PT6_21rocsparse_index_base_b
		.amdhsa_group_segment_fixed_size 0
		.amdhsa_private_segment_fixed_size 0
		.amdhsa_kernarg_size 104
		.amdhsa_user_sgpr_count 6
		.amdhsa_user_sgpr_private_segment_buffer 1
		.amdhsa_user_sgpr_dispatch_ptr 0
		.amdhsa_user_sgpr_queue_ptr 0
		.amdhsa_user_sgpr_kernarg_segment_ptr 1
		.amdhsa_user_sgpr_dispatch_id 0
		.amdhsa_user_sgpr_flat_scratch_init 0
		.amdhsa_user_sgpr_kernarg_preload_length 0
		.amdhsa_user_sgpr_kernarg_preload_offset 0
		.amdhsa_user_sgpr_private_segment_size 0
		.amdhsa_uses_dynamic_stack 0
		.amdhsa_system_sgpr_private_segment_wavefront_offset 0
		.amdhsa_system_sgpr_workgroup_id_x 1
		.amdhsa_system_sgpr_workgroup_id_y 0
		.amdhsa_system_sgpr_workgroup_id_z 0
		.amdhsa_system_sgpr_workgroup_info 0
		.amdhsa_system_vgpr_workitem_id 0
		.amdhsa_next_free_vgpr 90
		.amdhsa_next_free_sgpr 24
		.amdhsa_accum_offset 92
		.amdhsa_reserve_vcc 1
		.amdhsa_reserve_flat_scratch 0
		.amdhsa_float_round_mode_32 0
		.amdhsa_float_round_mode_16_64 0
		.amdhsa_float_denorm_mode_32 3
		.amdhsa_float_denorm_mode_16_64 3
		.amdhsa_dx10_clamp 1
		.amdhsa_ieee_mode 1
		.amdhsa_fp16_overflow 0
		.amdhsa_tg_split 0
		.amdhsa_exception_fp_ieee_invalid_op 0
		.amdhsa_exception_fp_denorm_src 0
		.amdhsa_exception_fp_ieee_div_zero 0
		.amdhsa_exception_fp_ieee_overflow 0
		.amdhsa_exception_fp_ieee_underflow 0
		.amdhsa_exception_fp_ieee_inexact 0
		.amdhsa_exception_int_div_zero 0
	.end_amdhsa_kernel
	.section	.text._ZN9rocsparseL18bsrxmvn_4x4_kernelILj128ELj32EfllaafEEvT3_20rocsparse_direction_NS_24const_host_device_scalarIT1_EES1_PKS1_PKT2_SA_S7_PKT4_PKT5_S5_PT6_21rocsparse_index_base_b,"axG",@progbits,_ZN9rocsparseL18bsrxmvn_4x4_kernelILj128ELj32EfllaafEEvT3_20rocsparse_direction_NS_24const_host_device_scalarIT1_EES1_PKS1_PKT2_SA_S7_PKT4_PKT5_S5_PT6_21rocsparse_index_base_b,comdat
.Lfunc_end88:
	.size	_ZN9rocsparseL18bsrxmvn_4x4_kernelILj128ELj32EfllaafEEvT3_20rocsparse_direction_NS_24const_host_device_scalarIT1_EES1_PKS1_PKT2_SA_S7_PKT4_PKT5_S5_PT6_21rocsparse_index_base_b, .Lfunc_end88-_ZN9rocsparseL18bsrxmvn_4x4_kernelILj128ELj32EfllaafEEvT3_20rocsparse_direction_NS_24const_host_device_scalarIT1_EES1_PKS1_PKT2_SA_S7_PKT4_PKT5_S5_PT6_21rocsparse_index_base_b
                                        ; -- End function
	.section	.AMDGPU.csdata,"",@progbits
; Kernel info:
; codeLenInByte = 6760
; NumSgprs: 28
; NumVgprs: 90
; NumAgprs: 0
; TotalNumVgprs: 90
; ScratchSize: 0
; MemoryBound: 0
; FloatMode: 240
; IeeeMode: 1
; LDSByteSize: 0 bytes/workgroup (compile time only)
; SGPRBlocks: 3
; VGPRBlocks: 11
; NumSGPRsForWavesPerEU: 28
; NumVGPRsForWavesPerEU: 90
; AccumOffset: 92
; Occupancy: 5
; WaveLimiterHint : 1
; COMPUTE_PGM_RSRC2:SCRATCH_EN: 0
; COMPUTE_PGM_RSRC2:USER_SGPR: 6
; COMPUTE_PGM_RSRC2:TRAP_HANDLER: 0
; COMPUTE_PGM_RSRC2:TGID_X_EN: 1
; COMPUTE_PGM_RSRC2:TGID_Y_EN: 0
; COMPUTE_PGM_RSRC2:TGID_Z_EN: 0
; COMPUTE_PGM_RSRC2:TIDIG_COMP_CNT: 0
; COMPUTE_PGM_RSRC3_GFX90A:ACCUM_OFFSET: 22
; COMPUTE_PGM_RSRC3_GFX90A:TG_SPLIT: 0
	.section	.text._ZN9rocsparseL18bsrxmvn_4x4_kernelILj128ELj64EfllaafEEvT3_20rocsparse_direction_NS_24const_host_device_scalarIT1_EES1_PKS1_PKT2_SA_S7_PKT4_PKT5_S5_PT6_21rocsparse_index_base_b,"axG",@progbits,_ZN9rocsparseL18bsrxmvn_4x4_kernelILj128ELj64EfllaafEEvT3_20rocsparse_direction_NS_24const_host_device_scalarIT1_EES1_PKS1_PKT2_SA_S7_PKT4_PKT5_S5_PT6_21rocsparse_index_base_b,comdat
	.globl	_ZN9rocsparseL18bsrxmvn_4x4_kernelILj128ELj64EfllaafEEvT3_20rocsparse_direction_NS_24const_host_device_scalarIT1_EES1_PKS1_PKT2_SA_S7_PKT4_PKT5_S5_PT6_21rocsparse_index_base_b ; -- Begin function _ZN9rocsparseL18bsrxmvn_4x4_kernelILj128ELj64EfllaafEEvT3_20rocsparse_direction_NS_24const_host_device_scalarIT1_EES1_PKS1_PKT2_SA_S7_PKT4_PKT5_S5_PT6_21rocsparse_index_base_b
	.p2align	8
	.type	_ZN9rocsparseL18bsrxmvn_4x4_kernelILj128ELj64EfllaafEEvT3_20rocsparse_direction_NS_24const_host_device_scalarIT1_EES1_PKS1_PKT2_SA_S7_PKT4_PKT5_S5_PT6_21rocsparse_index_base_b,@function
_ZN9rocsparseL18bsrxmvn_4x4_kernelILj128ELj64EfllaafEEvT3_20rocsparse_direction_NS_24const_host_device_scalarIT1_EES1_PKS1_PKT2_SA_S7_PKT4_PKT5_S5_PT6_21rocsparse_index_base_b: ; @_ZN9rocsparseL18bsrxmvn_4x4_kernelILj128ELj64EfllaafEEvT3_20rocsparse_direction_NS_24const_host_device_scalarIT1_EES1_PKS1_PKT2_SA_S7_PKT4_PKT5_S5_PT6_21rocsparse_index_base_b
; %bb.0:
	s_load_dwordx2 s[22:23], s[4:5], 0x60
	s_load_dwordx4 s[16:19], s[4:5], 0x10
	s_load_dwordx2 s[20:21], s[4:5], 0x50
	s_waitcnt lgkmcnt(0)
	s_bitcmp1_b32 s23, 0
	s_cselect_b64 s[2:3], -1, 0
	s_xor_b64 s[0:1], s[2:3], -1
	s_and_b64 vcc, exec, s[2:3]
	s_cbranch_vccnz .LBB89_2
; %bb.1:
	s_load_dword s16, s[16:17], 0x0
.LBB89_2:
	s_andn2_b64 vcc, exec, s[0:1]
	s_cbranch_vccnz .LBB89_4
; %bb.3:
	s_load_dword s20, s[20:21], 0x0
.LBB89_4:
	s_waitcnt lgkmcnt(0)
	v_cmp_neq_f32_e64 s[0:1], s16, 0
	v_cmp_neq_f32_e64 s[2:3], s20, 1.0
	s_or_b64 s[0:1], s[0:1], s[2:3]
	s_andn2_b64 vcc, exec, s[0:1]
	s_cbranch_vccnz .LBB89_10
; %bb.5:
	s_load_dwordx2 s[2:3], s[4:5], 0x20
	v_lshrrev_b32_e32 v1, 6, v0
	v_lshl_or_b32 v2, s6, 1, v1
	v_mov_b32_e32 v3, 0
	s_mov_b64 s[0:1], 0
	s_waitcnt lgkmcnt(0)
	s_cmp_lg_u64 s[2:3], 0
	s_cbranch_scc0 .LBB89_11
; %bb.6:
	v_cmp_gt_i64_e32 vcc, s[18:19], v[2:3]
                                        ; implicit-def: $vgpr16_vgpr17
	s_and_saveexec_b64 s[6:7], vcc
	s_xor_b64 s[6:7], exec, s[6:7]
                                        ; implicit-def: $sgpr18_sgpr19
	s_cbranch_execz .LBB89_8
; %bb.7:
	v_lshlrev_b64 v[4:5], 3, v[2:3]
	v_mov_b32_e32 v1, s3
	v_add_co_u32_e32 v4, vcc, s2, v4
	v_addc_co_u32_e32 v5, vcc, v1, v5, vcc
	global_load_dwordx2 v[4:5], v[4:5], off
	s_mov_b64 s[0:1], exec
	s_mov_b32 s19, 0
	s_waitcnt vmcnt(0)
	v_subrev_co_u32_e32 v16, vcc, s22, v4
	v_subbrev_co_u32_e32 v17, vcc, 0, v5, vcc
.LBB89_8:
	s_or_b64 exec, exec, s[6:7]
.LBB89_9:
	s_and_saveexec_b64 s[2:3], s[0:1]
	s_cbranch_execnz .LBB89_15
.LBB89_10:
	s_endpgm
.LBB89_11:
                                        ; implicit-def: $vgpr16_vgpr17
                                        ; implicit-def: $sgpr18_sgpr19
	s_cbranch_execz .LBB89_9
; %bb.12:
	s_load_dwordx2 s[2:3], s[4:5], 0x0
                                        ; implicit-def: $vgpr16_vgpr17
	s_waitcnt lgkmcnt(0)
	v_cmp_gt_i64_e32 vcc, s[2:3], v[2:3]
	s_and_saveexec_b64 s[2:3], vcc
                                        ; implicit-def: $sgpr18_sgpr19
; %bb.13:
	s_mov_b32 s19, 0
	s_or_b64 s[0:1], s[0:1], exec
	v_pk_mov_b32 v[16:17], v[2:3], v[2:3] op_sel:[0,1]
; %bb.14:
	s_or_b64 exec, exec, s[2:3]
	s_and_saveexec_b64 s[2:3], s[0:1]
	s_cbranch_execz .LBB89_10
.LBB89_15:
	s_load_dwordx8 s[8:15], s[4:5], 0x28
	v_lshlrev_b64 v[2:3], 3, v[16:17]
	v_and_b32_e32 v18, 63, v0
	v_mov_b32_e32 v0, s19
	v_mov_b32_e32 v27, 0
	s_waitcnt lgkmcnt(0)
	v_mov_b32_e32 v1, s9
	v_add_co_u32_e32 v4, vcc, s8, v2
	v_addc_co_u32_e32 v5, vcc, v1, v3, vcc
	v_add_co_u32_e32 v1, vcc, 8, v4
	global_load_dwordx2 v[12:13], v[4:5], off
	v_addc_co_u32_e32 v4, vcc, 0, v5, vcc
	v_mov_b32_e32 v5, s11
	v_add_co_u32_e32 v2, vcc, s10, v2
	s_cmp_eq_u64 s[10:11], 0
	v_addc_co_u32_e32 v3, vcc, v5, v3, vcc
	s_cselect_b64 vcc, -1, 0
	v_cndmask_b32_e32 v3, v3, v4, vcc
	v_cndmask_b32_e32 v2, v2, v1, vcc
	global_load_dwordx2 v[2:3], v[2:3], off
	s_load_dwordx2 s[6:7], s[4:5], 0x48
	s_load_dword s0, s[4:5], 0x8
	v_mov_b32_e32 v4, s15
	s_waitcnt lgkmcnt(0)
	s_cmp_eq_u32 s0, 1
	s_waitcnt vmcnt(1)
	v_subrev_co_u32_e32 v1, vcc, s22, v12
	v_subb_co_u32_e32 v5, vcc, v13, v0, vcc
	v_add_co_u32_e32 v20, vcc, v1, v18
	v_addc_co_u32_e32 v21, vcc, 0, v5, vcc
	s_waitcnt vmcnt(0)
	v_subrev_co_u32_e32 v22, vcc, s22, v2
	v_subb_co_u32_e32 v23, vcc, v3, v0, vcc
	v_lshlrev_b64 v[0:1], 4, v[20:21]
	v_add_co_u32_e32 v24, vcc, s14, v0
	v_addc_co_u32_e32 v25, vcc, v4, v1, vcc
	v_cmp_lt_i64_e64 s[0:1], v[20:21], v[22:23]
	s_cbranch_scc1 .LBB89_27
; %bb.16:
	v_mov_b32_e32 v26, 0
	v_mov_b32_e32 v29, 0
	v_mov_b32_e32 v28, 0
	s_and_saveexec_b64 s[8:9], s[0:1]
	s_cbranch_execz .LBB89_26
; %bb.17:
	v_or_b32_e32 v0, 64, v18
	v_mov_b32_e32 v1, s19
	v_subrev_co_u32_e32 v0, vcc, s22, v0
	v_subb_co_u32_e32 v1, vcc, 0, v1, vcc
	v_add_co_u32_e32 v0, vcc, v0, v12
	v_addc_co_u32_e32 v1, vcc, v1, v13, vcc
	v_cmp_gt_i64_e32 vcc, v[0:1], v[22:23]
	v_cndmask_b32_e32 v1, v23, v1, vcc
	v_cndmask_b32_e32 v0, v22, v0, vcc
	v_mov_b32_e32 v4, s19
	v_sub_co_u32_e32 v5, vcc, s22, v18
	v_not_b32_e32 v3, v12
	v_subbrev_co_u32_e32 v4, vcc, 0, v4, vcc
	v_not_b32_e32 v2, v13
	v_add_co_u32_e32 v3, vcc, v5, v3
	v_addc_co_u32_e32 v2, vcc, v4, v2, vcc
	v_add_co_u32_e32 v0, vcc, v3, v0
	v_addc_co_u32_e32 v1, vcc, v2, v1, vcc
	v_lshrrev_b32_e32 v2, 6, v0
	v_add_u32_e32 v2, 1, v2
	v_and_b32_e32 v2, 3, v2
	v_mov_b32_e32 v28, 0
	v_cmp_ne_u32_e32 vcc, 0, v2
	v_mov_b32_e32 v29, v28
	v_mov_b32_e32 v26, v28
	;; [unrolled: 1-line block ×3, first 2 shown]
	v_pk_mov_b32 v[14:15], v[20:21], v[20:21] op_sel:[0,1]
	v_pk_mov_b32 v[30:31], v[24:25], v[24:25] op_sel:[0,1]
	s_and_saveexec_b64 s[10:11], vcc
	s_cbranch_execz .LBB89_21
; %bb.18:
	v_lshlrev_b64 v[4:5], 3, v[20:21]
	v_mov_b32_e32 v3, 0
	v_mov_b32_e32 v6, s13
	v_add_co_u32_e32 v4, vcc, s12, v4
	v_addc_co_u32_e32 v5, vcc, v6, v5, vcc
	v_lshlrev_b32_e32 v2, 1, v2
	s_mov_b64 s[14:15], 0
	v_mov_b32_e32 v6, s19
	v_mov_b32_e32 v7, s7
	s_movk_i32 s17, 0x400
	v_pk_mov_b32 v[30:31], v[24:25], v[24:25] op_sel:[0,1]
	v_pk_mov_b32 v[14:15], v[20:21], v[20:21] op_sel:[0,1]
	v_mov_b32_e32 v27, v3
	v_mov_b32_e32 v26, v3
	;; [unrolled: 1-line block ×4, first 2 shown]
.LBB89_19:                              ; =>This Inner Loop Header: Depth=1
	global_load_dwordx2 v[32:33], v[4:5], off
	global_load_dwordx4 v[8:11], v[30:31], off
	v_add_co_u32_e64 v14, s[2:3], 64, v14
	v_addc_co_u32_e64 v15, s[2:3], 0, v15, s[2:3]
	v_add_co_u32_e64 v2, s[2:3], -2, v2
	v_addc_co_u32_e64 v3, s[2:3], -1, v3, s[2:3]
	v_cmp_eq_u64_e64 s[2:3], 0, v[2:3]
	s_or_b64 s[14:15], s[2:3], s[14:15]
	s_waitcnt vmcnt(1)
	v_subrev_co_u32_e32 v32, vcc, s22, v32
	v_subb_co_u32_e32 v33, vcc, v33, v6, vcc
	v_lshlrev_b64 v[32:33], 2, v[32:33]
	v_add_co_u32_e32 v32, vcc, s6, v32
	v_addc_co_u32_e32 v33, vcc, v7, v33, vcc
	global_load_dword v19, v[32:33], off
	s_waitcnt vmcnt(1)
	v_bfe_i32 v32, v8, 0, 8
	v_lshrrev_b32_e32 v33, 8, v8
	v_bfe_i32 v35, v9, 0, 8
	v_lshrrev_b32_e32 v36, 8, v9
	;; [unrolled: 2-line block ×4, first 2 shown]
	v_lshrrev_b32_e32 v34, 16, v8
	v_lshrrev_b32_e32 v37, 16, v9
	;; [unrolled: 1-line block ×4, first 2 shown]
	v_bfe_i32 v33, v33, 0, 8
	v_bfe_i32 v36, v36, 0, 8
	;; [unrolled: 1-line block ×4, first 2 shown]
	v_cvt_f32_i32_sdwa v44, sext(v32) dst_sel:DWORD dst_unused:UNUSED_PAD src0_sel:WORD_0
	v_cvt_f32_i32_sdwa v35, sext(v35) dst_sel:DWORD dst_unused:UNUSED_PAD src0_sel:WORD_0
	;; [unrolled: 1-line block ×4, first 2 shown]
	v_lshrrev_b32_e32 v8, 24, v8
	v_lshrrev_b32_e32 v9, 24, v9
	v_lshrrev_b32_e32 v10, 24, v10
	v_lshrrev_b32_e32 v11, 24, v11
	v_bfe_i32 v34, v34, 0, 8
	v_bfe_i32 v37, v37, 0, 8
	;; [unrolled: 1-line block ×4, first 2 shown]
	v_cvt_f32_i32_sdwa v33, sext(v33) dst_sel:DWORD dst_unused:UNUSED_PAD src0_sel:WORD_0
	v_cvt_f32_i32_sdwa v36, sext(v36) dst_sel:DWORD dst_unused:UNUSED_PAD src0_sel:WORD_0
	v_cvt_f32_i32_sdwa v39, sext(v39) dst_sel:DWORD dst_unused:UNUSED_PAD src0_sel:WORD_0
	v_cvt_f32_i32_sdwa v42, sext(v42) dst_sel:DWORD dst_unused:UNUSED_PAD src0_sel:WORD_0
	v_bfe_i32 v8, v8, 0, 8
	v_bfe_i32 v9, v9, 0, 8
	;; [unrolled: 1-line block ×4, first 2 shown]
	v_cvt_f32_i32_sdwa v34, sext(v34) dst_sel:DWORD dst_unused:UNUSED_PAD src0_sel:WORD_0
	v_cvt_f32_i32_sdwa v37, sext(v37) dst_sel:DWORD dst_unused:UNUSED_PAD src0_sel:WORD_0
	;; [unrolled: 1-line block ×8, first 2 shown]
	v_add_co_u32_e32 v30, vcc, s17, v30
	v_addc_co_u32_e32 v31, vcc, 0, v31, vcc
	v_add_co_u32_e32 v4, vcc, 0x200, v4
	v_addc_co_u32_e32 v5, vcc, 0, v5, vcc
	s_waitcnt vmcnt(0)
	v_bfe_i32 v45, v19, 0, 8
	v_lshrrev_b32_e32 v46, 8, v19
	v_lshrrev_b32_e32 v32, 16, v19
	v_bfe_i32 v46, v46, 0, 8
	v_cvt_f32_i32_sdwa v45, sext(v45) dst_sel:DWORD dst_unused:UNUSED_PAD src0_sel:WORD_0
	v_lshrrev_b32_e32 v19, 24, v19
	v_bfe_i32 v32, v32, 0, 8
	v_cvt_f32_i32_sdwa v46, sext(v46) dst_sel:DWORD dst_unused:UNUSED_PAD src0_sel:WORD_0
	v_bfe_i32 v19, v19, 0, 8
	v_cvt_f32_i32_sdwa v47, sext(v32) dst_sel:DWORD dst_unused:UNUSED_PAD src0_sel:WORD_0
	v_cvt_f32_i32_sdwa v32, sext(v19) dst_sel:DWORD dst_unused:UNUSED_PAD src0_sel:WORD_0
	v_fmac_f32_e32 v28, v44, v45
	v_fmac_f32_e32 v29, v35, v45
	;; [unrolled: 1-line block ×12, first 2 shown]
	v_pk_fma_f32 v[28:29], v[8:9], v[32:33], v[28:29] op_sel_hi:[1,0,1]
	v_pk_fma_f32 v[26:27], v[10:11], v[32:33], v[26:27] op_sel_hi:[1,0,1]
	s_andn2_b64 exec, exec, s[14:15]
	s_cbranch_execnz .LBB89_19
; %bb.20:
	s_or_b64 exec, exec, s[14:15]
.LBB89_21:
	s_or_b64 exec, exec, s[10:11]
	s_mov_b64 s[2:3], 0xbf
	v_cmp_lt_u64_e32 vcc, s[2:3], v[0:1]
	s_and_saveexec_b64 s[10:11], vcc
	s_cbranch_execz .LBB89_25
; %bb.22:
	v_lshlrev_b64 v[0:1], 3, v[14:15]
	v_mov_b32_e32 v2, s13
	v_add_co_u32_e32 v0, vcc, s12, v0
	v_addc_co_u32_e32 v1, vcc, v1, v2, vcc
	v_add_co_u32_e32 v32, vcc, 0x400, v0
	v_addc_co_u32_e32 v33, vcc, 0, v1, vcc
	s_mov_b64 s[14:15], 0
	v_mov_b32_e32 v19, s19
	v_mov_b32_e32 v34, s7
	s_movk_i32 s17, 0x100
.LBB89_23:                              ; =>This Inner Loop Header: Depth=1
	global_load_dwordx4 v[4:7], v[30:31], off
	global_load_dwordx4 v[8:11], v[30:31], off offset:1024
	global_load_dwordx4 v[38:41], v[30:31], off offset:2048
	global_load_dwordx2 v[42:43], v[32:33], off offset:-1024
	global_load_dwordx2 v[44:45], v[32:33], off offset:-512
	global_load_dwordx2 v[46:47], v[32:33], off
	global_load_dwordx2 v[48:49], v[32:33], off offset:512
	global_load_dwordx4 v[0:3], v[30:31], off offset:3072
	v_add_co_u32_e32 v14, vcc, s17, v14
	v_addc_co_u32_e32 v15, vcc, 0, v15, vcc
	v_add_co_u32_e32 v32, vcc, 0x800, v32
	v_addc_co_u32_e32 v33, vcc, 0, v33, vcc
	;; [unrolled: 2-line block ×3, first 2 shown]
	v_cmp_ge_i64_e64 s[2:3], v[14:15], v[22:23]
	s_or_b64 s[14:15], s[2:3], s[14:15]
	s_waitcnt vmcnt(7)
	v_bfe_i32 v50, v4, 0, 8
	v_lshrrev_b32_e32 v51, 8, v4
	v_lshrrev_b32_e32 v52, 16, v4
	v_lshrrev_b32_e32 v53, 24, v4
	s_waitcnt vmcnt(4)
	v_subrev_co_u32_e32 v4, vcc, s22, v42
	v_bfe_i32 v54, v5, 0, 8
	v_lshrrev_b32_e32 v55, 8, v5
	v_lshrrev_b32_e32 v56, 16, v5
	v_lshrrev_b32_e32 v57, 24, v5
	v_subb_co_u32_e32 v5, vcc, v43, v19, vcc
	v_bfe_i32 v58, v6, 0, 8
	v_lshrrev_b32_e32 v59, 8, v6
	v_lshrrev_b32_e32 v60, 16, v6
	v_lshrrev_b32_e32 v61, 24, v6
	s_waitcnt vmcnt(3)
	v_subrev_co_u32_e32 v6, vcc, s22, v44
	v_bfe_i32 v62, v7, 0, 8
	v_lshrrev_b32_e32 v63, 8, v7
	v_lshrrev_b32_e32 v64, 16, v7
	v_lshrrev_b32_e32 v65, 24, v7
	v_subb_co_u32_e32 v7, vcc, v45, v19, vcc
	;; [unrolled: 11-line block ×4, first 2 shown]
	v_lshlrev_b64 v[4:5], 2, v[4:5]
	v_add_co_u32_e32 v4, vcc, s6, v4
	v_lshlrev_b64 v[6:7], 2, v[6:7]
	v_addc_co_u32_e32 v5, vcc, v34, v5, vcc
	v_add_co_u32_e32 v6, vcc, s6, v6
	v_lshlrev_b64 v[8:9], 2, v[8:9]
	v_addc_co_u32_e32 v7, vcc, v34, v7, vcc
	v_add_co_u32_e32 v8, vcc, s6, v8
	v_lshrrev_b32_e32 v82, 8, v38
	v_lshrrev_b32_e32 v83, 16, v38
	v_lshrrev_b32_e32 v84, 24, v38
	v_lshrrev_b32_e32 v85, 8, v39
	v_lshrrev_b32_e32 v87, 8, v40
	v_lshrrev_b32_e32 v88, 16, v40
	v_lshrrev_b32_e32 v89, 8, v41
	v_lshrrev_b32_e32 v90, 16, v41
	v_lshlrev_b64 v[10:11], 2, v[10:11]
	v_addc_co_u32_e32 v9, vcc, v34, v9, vcc
	v_lshrrev_b32_e32 v86, 16, v39
	s_waitcnt vmcnt(0)
	v_bfe_i32 v42, v0, 0, 8
	v_lshrrev_b32_e32 v43, 8, v0
	v_lshrrev_b32_e32 v44, 16, v0
	v_lshrrev_b32_e32 v45, 24, v0
	v_bfe_i32 v46, v1, 0, 8
	v_lshrrev_b32_e32 v47, 8, v1
	v_lshrrev_b32_e32 v48, 16, v1
	v_lshrrev_b32_e32 v49, 24, v1
	v_bfe_i32 v91, v2, 0, 8
	v_lshrrev_b32_e32 v92, 8, v2
	v_lshrrev_b32_e32 v93, 16, v2
	v_lshrrev_b32_e32 v94, 24, v2
	v_cvt_f32_i32_sdwa v99, sext(v50) dst_sel:DWORD dst_unused:UNUSED_PAD src0_sel:WORD_0
	v_cvt_f32_i32_sdwa v101, sext(v54) dst_sel:DWORD dst_unused:UNUSED_PAD src0_sel:WORD_0
	;; [unrolled: 1-line block ×4, first 2 shown]
	v_bfe_i32 v50, v51, 0, 8
	v_bfe_i32 v51, v55, 0, 8
	;; [unrolled: 1-line block ×7, first 2 shown]
	v_cvt_f32_i32_sdwa v1, sext(v70) dst_sel:DWORD dst_unused:UNUSED_PAD src0_sel:WORD_0
	v_cvt_f32_i32_sdwa v0, sext(v66) dst_sel:DWORD dst_unused:UNUSED_PAD src0_sel:WORD_0
	;; [unrolled: 1-line block ×3, first 2 shown]
	v_bfe_i32 v62, v67, 0, 8
	v_bfe_i32 v63, v71, 0, 8
	;; [unrolled: 1-line block ×19, first 2 shown]
	v_add_co_u32_e32 v10, vcc, s6, v10
	v_bfe_i32 v95, v3, 0, 8
	v_lshrrev_b32_e32 v96, 8, v3
	v_lshrrev_b32_e32 v97, 16, v3
	;; [unrolled: 1-line block ×3, first 2 shown]
	v_cvt_f32_i32_sdwa v3, sext(v78) dst_sel:DWORD dst_unused:UNUSED_PAD src0_sel:WORD_0
	v_bfe_i32 v78, v86, 0, 8
	v_bfe_i32 v86, v43, 0, 8
	;; [unrolled: 1-line block ×3, first 2 shown]
	v_cvt_f32_i32_sdwa v43, sext(v46) dst_sel:DWORD dst_unused:UNUSED_PAD src0_sel:WORD_0
	v_addc_co_u32_e32 v11, vcc, v34, v11, vcc
	v_cvt_f32_i32_sdwa v107, sext(v58) dst_sel:DWORD dst_unused:UNUSED_PAD src0_sel:WORD_0
	v_cvt_f32_i32_sdwa v108, sext(v59) dst_sel:DWORD dst_unused:UNUSED_PAD src0_sel:WORD_0
	;; [unrolled: 1-line block ×12, first 2 shown]
	global_load_dword v80, v[4:5], off
	global_load_dword v81, v[6:7], off
	;; [unrolled: 1-line block ×4, first 2 shown]
	v_bfe_i32 v93, v93, 0, 8
	v_bfe_i32 v35, v38, 0, 8
	;; [unrolled: 1-line block ×3, first 2 shown]
	v_lshrrev_b32_e32 v39, 24, v39
	v_bfe_i32 v36, v40, 0, 8
	v_lshrrev_b32_e32 v40, 24, v40
	v_bfe_i32 v38, v41, 0, 8
	;; [unrolled: 2-line block ×3, first 2 shown]
	v_cvt_f32_i32_sdwa v104, sext(v55) dst_sel:DWORD dst_unused:UNUSED_PAD src0_sel:WORD_0
	v_cvt_f32_i32_sdwa v55, sext(v68) dst_sel:DWORD dst_unused:UNUSED_PAD src0_sel:WORD_0
	;; [unrolled: 1-line block ×3, first 2 shown]
	v_bfe_i32 v52, v52, 0, 8
	v_bfe_i32 v56, v56, 0, 8
	;; [unrolled: 1-line block ×7, first 2 shown]
	v_cvt_f32_i32_sdwa v41, sext(v37) dst_sel:DWORD dst_unused:UNUSED_PAD src0_sel:WORD_0
	v_cvt_f32_i32_sdwa v40, sext(v35) dst_sel:DWORD dst_unused:UNUSED_PAD src0_sel:WORD_0
	;; [unrolled: 1-line block ×9, first 2 shown]
	v_bfe_i32 v53, v53, 0, 8
	v_bfe_i32 v57, v57, 0, 8
	;; [unrolled: 1-line block ×4, first 2 shown]
	v_cvt_f32_i32_sdwa v105, sext(v52) dst_sel:DWORD dst_unused:UNUSED_PAD src0_sel:WORD_0
	v_cvt_f32_i32_sdwa v106, sext(v56) dst_sel:DWORD dst_unused:UNUSED_PAD src0_sel:WORD_0
	;; [unrolled: 1-line block ×5, first 2 shown]
	v_bfe_i32 v87, v44, 0, 8
	v_bfe_i32 v88, v45, 0, 8
	;; [unrolled: 1-line block ×3, first 2 shown]
	v_cvt_f32_i32_sdwa v44, sext(v53) dst_sel:DWORD dst_unused:UNUSED_PAD src0_sel:WORD_0
	v_cvt_f32_i32_sdwa v45, sext(v57) dst_sel:DWORD dst_unused:UNUSED_PAD src0_sel:WORD_0
	v_cvt_f32_i32_sdwa v5, sext(v96) dst_sel:DWORD dst_unused:UNUSED_PAD src0_sel:WORD_0
	v_bfe_i32 v100, v49, 0, 8
	v_cvt_f32_i32_sdwa v49, sext(v63) dst_sel:DWORD dst_unused:UNUSED_PAD src0_sel:WORD_0
	v_cvt_f32_i32_sdwa v51, sext(v65) dst_sel:DWORD dst_unused:UNUSED_PAD src0_sel:WORD_0
	v_cvt_f32_i32_sdwa v63, sext(v79) dst_sel:DWORD dst_unused:UNUSED_PAD src0_sel:WORD_0
	v_cvt_f32_i32_sdwa v65, sext(v89) dst_sel:DWORD dst_unused:UNUSED_PAD src0_sel:WORD_0
	v_cvt_f32_i32_sdwa v53, sext(v90) dst_sel:DWORD dst_unused:UNUSED_PAD src0_sel:WORD_0
	v_cvt_f32_i32_sdwa v79, sext(v85) dst_sel:DWORD dst_unused:UNUSED_PAD src0_sel:WORD_0
	v_cvt_f32_i32_sdwa v4, sext(v92) dst_sel:DWORD dst_unused:UNUSED_PAD src0_sel:WORD_0
	v_bfe_i32 v98, v98, 0, 8
	v_cvt_f32_i32_sdwa v50, sext(v64) dst_sel:DWORD dst_unused:UNUSED_PAD src0_sel:WORD_0
	v_cvt_f32_i32_sdwa v52, sext(v87) dst_sel:DWORD dst_unused:UNUSED_PAD src0_sel:WORD_0
	v_cvt_f32_i32_sdwa v54, sext(v66) dst_sel:DWORD dst_unused:UNUSED_PAD src0_sel:WORD_0
	v_cvt_f32_i32_sdwa v56, sext(v67) dst_sel:DWORD dst_unused:UNUSED_PAD src0_sel:WORD_0
	v_cvt_f32_i32_sdwa v64, sext(v86) dst_sel:DWORD dst_unused:UNUSED_PAD src0_sel:WORD_0
	v_cvt_f32_i32_sdwa v67, sext(v100) dst_sel:DWORD dst_unused:UNUSED_PAD src0_sel:WORD_0
	v_cvt_f32_i32_sdwa v66, sext(v88) dst_sel:DWORD dst_unused:UNUSED_PAD src0_sel:WORD_0
	v_bfe_i32 v97, v97, 0, 8
	v_cvt_f32_i32_sdwa v71, sext(v71) dst_sel:DWORD dst_unused:UNUSED_PAD src0_sel:WORD_0
	v_cvt_f32_i32_sdwa v70, sext(v70) dst_sel:DWORD dst_unused:UNUSED_PAD src0_sel:WORD_0
	v_cvt_f32_i32_sdwa v7, sext(v98) dst_sel:DWORD dst_unused:UNUSED_PAD src0_sel:WORD_0
	v_cvt_f32_i32_sdwa v57, sext(v69) dst_sel:DWORD dst_unused:UNUSED_PAD src0_sel:WORD_0
	v_cvt_f32_i32_sdwa v73, sext(v73) dst_sel:DWORD dst_unused:UNUSED_PAD src0_sel:WORD_0
	v_cvt_f32_i32_sdwa v72, sext(v72) dst_sel:DWORD dst_unused:UNUSED_PAD src0_sel:WORD_0
	;; [unrolled: 1-line block ×5, first 2 shown]
	s_waitcnt vmcnt(3)
	v_bfe_i32 v8, v80, 0, 8
	v_lshrrev_b32_e32 v9, 8, v80
	v_lshrrev_b32_e32 v10, 16, v80
	v_cvt_f32_i32_sdwa v93, sext(v8) dst_sel:DWORD dst_unused:UNUSED_PAD src0_sel:WORD_0
	v_bfe_i32 v9, v9, 0, 8
	v_lshrrev_b32_e32 v11, 24, v80
	v_bfe_i32 v94, v10, 0, 8
	v_cvt_f32_i32_sdwa v9, sext(v9) dst_sel:DWORD dst_unused:UNUSED_PAD src0_sel:WORD_0
	s_waitcnt vmcnt(2)
	v_lshrrev_b32_e32 v82, 8, v81
	v_bfe_i32 v11, v11, 0, 8
	v_cvt_f32_i32_sdwa v109, sext(v94) dst_sel:DWORD dst_unused:UNUSED_PAD src0_sel:WORD_0
	v_bfe_i32 v80, v81, 0, 8
	v_bfe_i32 v96, v82, 0, 8
	v_cvt_f32_i32_sdwa v82, sext(v11) dst_sel:DWORD dst_unused:UNUSED_PAD src0_sel:WORD_0
	v_lshrrev_b32_e32 v85, 16, v81
	s_waitcnt vmcnt(0)
	v_lshrrev_b32_e32 v89, 16, v84
	v_bfe_i32 v90, v84, 0, 8
	v_lshrrev_b32_e32 v92, 8, v84
	v_lshrrev_b32_e32 v84, 24, v84
	v_cvt_f32_i32_sdwa v8, sext(v80) dst_sel:DWORD dst_unused:UNUSED_PAD src0_sel:WORD_0
	v_fmac_f32_e32 v28, v99, v93
	v_fmac_f32_e32 v29, v101, v93
	v_fmac_f32_e32 v26, v102, v93
	v_fmac_f32_e32 v27, v103, v93
	v_lshrrev_b32_e32 v81, 24, v81
	v_lshrrev_b32_e32 v86, 16, v83
	v_bfe_i32 v87, v83, 0, 8
	v_lshrrev_b32_e32 v88, 8, v83
	v_lshrrev_b32_e32 v83, 24, v83
	v_bfe_i32 v85, v85, 0, 8
	v_bfe_i32 v100, v84, 0, 8
	v_cvt_f32_i32_sdwa v84, sext(v96) dst_sel:DWORD dst_unused:UNUSED_PAD src0_sel:WORD_0
	v_fmac_f32_e32 v28, v35, v9
	v_fmac_f32_e32 v29, v91, v9
	;; [unrolled: 1-line block ×4, first 2 shown]
	v_bfe_i32 v81, v81, 0, 8
	v_bfe_i32 v98, v86, 0, 8
	;; [unrolled: 1-line block ×3, first 2 shown]
	v_cvt_f32_i32_sdwa v86, sext(v85) dst_sel:DWORD dst_unused:UNUSED_PAD src0_sel:WORD_0
	v_fmac_f32_e32 v28, v105, v109
	v_fmac_f32_e32 v29, v106, v109
	;; [unrolled: 1-line block ×4, first 2 shown]
	v_bfe_i32 v97, v88, 0, 8
	v_cvt_f32_i32_sdwa v88, sext(v81) dst_sel:DWORD dst_unused:UNUSED_PAD src0_sel:WORD_0
	v_pk_fma_f32 v[28:29], v[44:45], v[82:83], v[28:29] op_sel_hi:[1,0,1]
	v_pk_fma_f32 v[26:27], v[46:47], v[82:83], v[26:27] op_sel_hi:[1,0,1]
	v_cvt_f32_i32_sdwa v10, sext(v87) dst_sel:DWORD dst_unused:UNUSED_PAD src0_sel:WORD_0
	v_pk_fma_f32 v[0:1], v[0:1], v[8:9], v[28:29] op_sel_hi:[1,0,1]
	v_pk_fma_f32 v[2:3], v[2:3], v[8:9], v[26:27] op_sel_hi:[1,0,1]
	v_bfe_i32 v87, v92, 0, 8
	v_cvt_f32_i32_sdwa v80, sext(v90) dst_sel:DWORD dst_unused:UNUSED_PAD src0_sel:WORD_0
	v_cvt_f32_i32_sdwa v90, sext(v97) dst_sel:DWORD dst_unused:UNUSED_PAD src0_sel:WORD_0
	v_pk_fma_f32 v[0:1], v[48:49], v[84:85], v[0:1] op_sel_hi:[1,0,1]
	v_pk_fma_f32 v[2:3], v[50:51], v[84:85], v[2:3] op_sel_hi:[1,0,1]
	v_bfe_i32 v89, v89, 0, 8
	v_cvt_f32_i32_sdwa v92, sext(v98) dst_sel:DWORD dst_unused:UNUSED_PAD src0_sel:WORD_0
	v_pk_fma_f32 v[0:1], v[54:55], v[86:87], v[0:1] op_sel_hi:[1,0,1]
	v_pk_fma_f32 v[2:3], v[70:71], v[86:87], v[2:3] op_sel_hi:[1,0,1]
	v_cvt_f32_i32_sdwa v94, sext(v83) dst_sel:DWORD dst_unused:UNUSED_PAD src0_sel:WORD_0
	v_pk_fma_f32 v[0:1], v[56:57], v[88:89], v[0:1] op_sel_hi:[1,0,1]
	v_pk_fma_f32 v[2:3], v[72:73], v[88:89], v[2:3] op_sel_hi:[1,0,1]
	;; [unrolled: 1-line block ×4, first 2 shown]
	v_cvt_f32_i32_sdwa v96, sext(v87) dst_sel:DWORD dst_unused:UNUSED_PAD src0_sel:WORD_0
	v_pk_fma_f32 v[0:1], v[58:59], v[90:91], v[0:1] op_sel_hi:[1,0,1]
	v_pk_fma_f32 v[2:3], v[74:75], v[90:91], v[2:3] op_sel_hi:[1,0,1]
	v_cvt_f32_i32_sdwa v98, sext(v89) dst_sel:DWORD dst_unused:UNUSED_PAD src0_sel:WORD_0
	v_pk_fma_f32 v[0:1], v[60:61], v[92:93], v[0:1] op_sel_hi:[1,0,1]
	v_pk_fma_f32 v[2:3], v[76:77], v[92:93], v[2:3] op_sel_hi:[1,0,1]
	;; [unrolled: 3-line block ×3, first 2 shown]
	v_pk_fma_f32 v[0:1], v[42:43], v[80:81], v[0:1] op_sel_hi:[1,0,1]
	v_pk_fma_f32 v[2:3], v[38:39], v[80:81], v[2:3] op_sel_hi:[1,0,1]
	;; [unrolled: 1-line block ×8, first 2 shown]
	s_andn2_b64 exec, exec, s[14:15]
	s_cbranch_execnz .LBB89_23
; %bb.24:
	s_or_b64 exec, exec, s[14:15]
.LBB89_25:
	s_or_b64 exec, exec, s[10:11]
.LBB89_26:
	s_or_b64 exec, exec, s[8:9]
	s_cbranch_execz .LBB89_28
	s_branch .LBB89_39
.LBB89_27:
                                        ; implicit-def: $vgpr27
                                        ; implicit-def: $vgpr29
.LBB89_28:
	s_mov_b32 s8, 0
	v_mov_b32_e32 v27, 0
	v_mov_b32_e32 v26, 0
	;; [unrolled: 1-line block ×4, first 2 shown]
	s_and_saveexec_b64 s[2:3], s[0:1]
	s_cbranch_execz .LBB89_38
; %bb.29:
	v_or_b32_e32 v0, 64, v18
	v_mov_b32_e32 v1, s19
	v_subrev_co_u32_e32 v0, vcc, s22, v0
	v_subb_co_u32_e32 v1, vcc, 0, v1, vcc
	v_add_co_u32_e32 v0, vcc, v0, v12
	v_addc_co_u32_e32 v1, vcc, v1, v13, vcc
	v_cmp_gt_i64_e32 vcc, v[0:1], v[22:23]
	v_cndmask_b32_e32 v1, v23, v1, vcc
	v_cndmask_b32_e32 v0, v22, v0, vcc
	v_mov_b32_e32 v4, s19
	v_sub_co_u32_e32 v5, vcc, s22, v18
	v_not_b32_e32 v3, v12
	v_subbrev_co_u32_e32 v4, vcc, 0, v4, vcc
	v_not_b32_e32 v2, v13
	v_add_co_u32_e32 v3, vcc, v5, v3
	v_addc_co_u32_e32 v2, vcc, v4, v2, vcc
	v_add_co_u32_e32 v0, vcc, v3, v0
	v_addc_co_u32_e32 v1, vcc, v2, v1, vcc
	v_lshrrev_b32_e32 v2, 6, v0
	v_add_u32_e32 v2, 1, v2
	v_and_b32_e32 v2, 3, v2
	s_mov_b32 s9, s8
	v_cmp_ne_u32_e32 vcc, 0, v2
	v_pk_mov_b32 v[28:29], s[8:9], s[8:9] op_sel:[0,1]
	v_pk_mov_b32 v[26:27], s[8:9], s[8:9] op_sel:[0,1]
	s_and_saveexec_b64 s[8:9], vcc
	s_cbranch_execz .LBB89_33
; %bb.30:
	v_lshlrev_b64 v[4:5], 3, v[20:21]
	v_mov_b32_e32 v3, 0
	v_mov_b32_e32 v6, s13
	v_add_co_u32_e32 v4, vcc, s12, v4
	v_addc_co_u32_e32 v5, vcc, v6, v5, vcc
	v_lshlrev_b32_e32 v2, 1, v2
	s_mov_b64 s[10:11], 0
	v_mov_b32_e32 v6, s19
	v_mov_b32_e32 v7, s7
	s_movk_i32 s14, 0x400
	v_mov_b32_e32 v26, v3
	v_mov_b32_e32 v27, v3
	;; [unrolled: 1-line block ×4, first 2 shown]
.LBB89_31:                              ; =>This Inner Loop Header: Depth=1
	global_load_dwordx2 v[12:13], v[4:5], off
	global_load_dwordx4 v[8:11], v[24:25], off
	v_add_co_u32_e64 v20, s[0:1], 64, v20
	v_addc_co_u32_e64 v21, s[0:1], 0, v21, s[0:1]
	v_add_co_u32_e64 v2, s[0:1], -2, v2
	v_addc_co_u32_e64 v3, s[0:1], -1, v3, s[0:1]
	v_cmp_eq_u64_e64 s[0:1], 0, v[2:3]
	s_or_b64 s[10:11], s[0:1], s[10:11]
	s_waitcnt vmcnt(1)
	v_subrev_co_u32_e32 v12, vcc, s22, v12
	v_subb_co_u32_e32 v13, vcc, v13, v6, vcc
	v_lshlrev_b64 v[12:13], 2, v[12:13]
	v_add_co_u32_e32 v12, vcc, s6, v12
	v_addc_co_u32_e32 v13, vcc, v7, v13, vcc
	global_load_dword v19, v[12:13], off
	s_waitcnt vmcnt(1)
	v_lshrrev_b32_e32 v12, 8, v8
	v_bfe_i32 v13, v8, 0, 8
	v_lshrrev_b32_e32 v14, 16, v8
	v_lshrrev_b32_e32 v8, 24, v8
	v_lshrrev_b32_e32 v31, 16, v9
	v_lshrrev_b32_e32 v32, 8, v10
	v_lshrrev_b32_e32 v15, 8, v9
	v_bfe_i32 v30, v9, 0, 8
	v_lshrrev_b32_e32 v9, 24, v9
	v_bfe_i32 v33, v10, 0, 8
	v_lshrrev_b32_e32 v34, 16, v10
	v_lshrrev_b32_e32 v10, 24, v10
	v_bfe_i32 v38, v12, 0, 8
	v_bfe_i32 v39, v14, 0, 8
	;; [unrolled: 1-line block ×7, first 2 shown]
	v_cvt_f32_i32_sdwa v8, sext(v13) dst_sel:DWORD dst_unused:UNUSED_PAD src0_sel:WORD_0
	v_cvt_f32_i32_sdwa v10, sext(v30) dst_sel:DWORD dst_unused:UNUSED_PAD src0_sel:WORD_0
	;; [unrolled: 1-line block ×6, first 2 shown]
	v_bfe_i32 v35, v11, 0, 8
	v_lshrrev_b32_e32 v36, 8, v11
	v_lshrrev_b32_e32 v37, 16, v11
	;; [unrolled: 1-line block ×3, first 2 shown]
	v_bfe_i32 v15, v15, 0, 8
	v_cvt_f32_i32_sdwa v32, sext(v41) dst_sel:DWORD dst_unused:UNUSED_PAD src0_sel:WORD_0
	v_bfe_i32 v34, v34, 0, 8
	v_bfe_i32 v44, v11, 0, 8
	v_cvt_f32_i32_sdwa v12, sext(v33) dst_sel:DWORD dst_unused:UNUSED_PAD src0_sel:WORD_0
	v_cvt_f32_i32_sdwa v11, sext(v15) dst_sel:DWORD dst_unused:UNUSED_PAD src0_sel:WORD_0
	;; [unrolled: 1-line block ×3, first 2 shown]
	v_bfe_i32 v36, v36, 0, 8
	v_bfe_i32 v37, v37, 0, 8
	v_cvt_f32_i32_sdwa v14, sext(v35) dst_sel:DWORD dst_unused:UNUSED_PAD src0_sel:WORD_0
	v_cvt_f32_i32_sdwa v35, sext(v43) dst_sel:DWORD dst_unused:UNUSED_PAD src0_sel:WORD_0
	;; [unrolled: 1-line block ×6, first 2 shown]
	v_add_co_u32_e32 v24, vcc, s14, v24
	v_addc_co_u32_e32 v25, vcc, 0, v25, vcc
	v_add_co_u32_e32 v4, vcc, 0x200, v4
	v_addc_co_u32_e32 v5, vcc, 0, v5, vcc
	s_waitcnt vmcnt(0)
	v_lshrrev_b32_e32 v38, 16, v19
	v_bfe_i32 v39, v19, 0, 8
	v_lshrrev_b32_e32 v40, 8, v19
	v_bfe_i32 v40, v40, 0, 8
	v_bfe_i32 v41, v38, 0, 8
	v_cvt_f32_i32_sdwa v38, sext(v39) dst_sel:DWORD dst_unused:UNUSED_PAD src0_sel:WORD_0
	v_lshrrev_b32_e32 v19, 24, v19
	v_cvt_f32_i32_sdwa v40, sext(v40) dst_sel:DWORD dst_unused:UNUSED_PAD src0_sel:WORD_0
	v_bfe_i32 v19, v19, 0, 8
	v_cvt_f32_i32_sdwa v42, sext(v41) dst_sel:DWORD dst_unused:UNUSED_PAD src0_sel:WORD_0
	v_cvt_f32_i32_sdwa v44, sext(v19) dst_sel:DWORD dst_unused:UNUSED_PAD src0_sel:WORD_0
	v_pk_fma_f32 v[8:9], v[8:9], v[38:39], v[28:29] op_sel_hi:[1,0,1]
	v_pk_fma_f32 v[26:27], v[30:31], v[38:39], v[26:27] op_sel_hi:[1,0,1]
	;; [unrolled: 1-line block ×8, first 2 shown]
	s_andn2_b64 exec, exec, s[10:11]
	s_cbranch_execnz .LBB89_31
; %bb.32:
	s_or_b64 exec, exec, s[10:11]
.LBB89_33:
	s_or_b64 exec, exec, s[8:9]
	s_mov_b64 s[0:1], 0xbf
	v_cmp_lt_u64_e32 vcc, s[0:1], v[0:1]
	s_and_saveexec_b64 s[0:1], vcc
	s_cbranch_execz .LBB89_37
; %bb.34:
	v_lshlrev_b64 v[0:1], 3, v[20:21]
	v_mov_b32_e32 v2, s13
	v_add_co_u32_e32 v0, vcc, s12, v0
	v_addc_co_u32_e32 v1, vcc, v1, v2, vcc
	v_add_co_u32_e32 v30, vcc, 0x400, v0
	v_addc_co_u32_e32 v31, vcc, 0, v1, vcc
	s_mov_b64 s[8:9], 0
	v_mov_b32_e32 v19, s19
	v_mov_b32_e32 v40, s7
	s_movk_i32 s7, 0x1000
.LBB89_35:                              ; =>This Inner Loop Header: Depth=1
	global_load_dwordx2 v[32:33], v[30:31], off offset:-1024
	global_load_dwordx4 v[4:7], v[24:25], off
	global_load_dwordx2 v[34:35], v[30:31], off offset:-512
	global_load_dwordx4 v[0:3], v[24:25], off offset:1024
	global_load_dwordx2 v[36:37], v[30:31], off
	global_load_dwordx2 v[38:39], v[30:31], off offset:512
	global_load_dwordx4 v[12:15], v[24:25], off offset:2048
	global_load_dwordx4 v[8:11], v[24:25], off offset:3072
	v_add_co_u32_e32 v24, vcc, s7, v24
	v_addc_co_u32_e32 v25, vcc, 0, v25, vcc
	v_add_co_u32_e32 v20, vcc, 0x100, v20
	v_addc_co_u32_e32 v21, vcc, 0, v21, vcc
	;; [unrolled: 2-line block ×3, first 2 shown]
	v_cmp_ge_i64_e32 vcc, v[20:21], v[22:23]
	s_or_b64 s[8:9], vcc, s[8:9]
	s_waitcnt vmcnt(7)
	v_subrev_co_u32_e32 v32, vcc, s22, v32
	v_subb_co_u32_e32 v33, vcc, v33, v19, vcc
	s_waitcnt vmcnt(6)
	v_lshrrev_b32_e32 v41, 8, v4
	v_bfe_i32 v42, v4, 0, 8
	v_lshrrev_b32_e32 v43, 16, v4
	v_lshrrev_b32_e32 v44, 24, v4
	s_waitcnt vmcnt(5)
	v_subrev_co_u32_e32 v4, vcc, s22, v34
	v_lshrrev_b32_e32 v45, 8, v5
	v_bfe_i32 v46, v5, 0, 8
	v_lshrrev_b32_e32 v47, 16, v5
	v_lshrrev_b32_e32 v48, 24, v5
	v_subb_co_u32_e32 v5, vcc, v35, v19, vcc
	v_lshrrev_b32_e32 v49, 8, v6
	v_bfe_i32 v50, v6, 0, 8
	v_lshrrev_b32_e32 v51, 16, v6
	v_lshrrev_b32_e32 v52, 24, v6
	s_waitcnt vmcnt(3)
	v_subrev_co_u32_e32 v6, vcc, s22, v36
	v_bfe_i32 v53, v7, 0, 8
	v_lshrrev_b32_e32 v54, 8, v7
	v_lshrrev_b32_e32 v55, 16, v7
	;; [unrolled: 1-line block ×3, first 2 shown]
	v_subb_co_u32_e32 v7, vcc, v37, v19, vcc
	s_waitcnt vmcnt(2)
	v_subrev_co_u32_e32 v34, vcc, s22, v38
	v_lshrrev_b32_e32 v57, 8, v1
	v_bfe_i32 v58, v1, 0, 8
	v_lshrrev_b32_e32 v59, 16, v1
	v_lshrrev_b32_e32 v60, 24, v1
	v_subb_co_u32_e32 v35, vcc, v39, v19, vcc
	v_lshrrev_b32_e32 v79, 8, v0
	v_bfe_i32 v80, v0, 0, 8
	v_lshrrev_b32_e32 v85, 16, v0
	v_lshrrev_b32_e32 v86, 24, v0
	v_lshlrev_b64 v[0:1], 2, v[32:33]
	v_add_co_u32_e32 v0, vcc, s6, v0
	v_lshrrev_b32_e32 v61, 8, v2
	v_bfe_i32 v62, v2, 0, 8
	v_lshrrev_b32_e32 v63, 16, v2
	v_lshrrev_b32_e32 v64, 24, v2
	;; [unrolled: 1-line block ×3, first 2 shown]
	v_bfe_i32 v37, v3, 0, 8
	v_lshrrev_b32_e32 v38, 16, v3
	v_lshrrev_b32_e32 v78, 24, v3
	v_lshlrev_b64 v[2:3], 2, v[4:5]
	v_addc_co_u32_e32 v1, vcc, v40, v1, vcc
	v_add_co_u32_e32 v2, vcc, s6, v2
	v_lshlrev_b64 v[4:5], 2, v[6:7]
	v_addc_co_u32_e32 v3, vcc, v40, v3, vcc
	v_add_co_u32_e32 v4, vcc, s6, v4
	v_lshlrev_b64 v[6:7], 2, v[34:35]
	v_addc_co_u32_e32 v5, vcc, v40, v5, vcc
	s_waitcnt vmcnt(1)
	v_lshrrev_b32_e32 v67, 24, v12
	v_lshrrev_b32_e32 v68, 8, v13
	v_bfe_i32 v72, v14, 0, 8
	s_waitcnt vmcnt(0)
	v_lshrrev_b32_e32 v81, 8, v8
	v_lshrrev_b32_e32 v83, 16, v8
	;; [unrolled: 1-line block ×7, first 2 shown]
	v_bfe_i32 v33, v41, 0, 8
	v_bfe_i32 v41, v44, 0, 8
	v_cvt_f32_i32_sdwa v32, sext(v80) dst_sel:DWORD dst_unused:UNUSED_PAD src0_sel:WORD_0
	v_bfe_i32 v80, v85, 0, 8
	v_bfe_i32 v85, v86, 0, 8
	;; [unrolled: 1-line block ×3, first 2 shown]
	v_add_co_u32_e32 v6, vcc, s6, v6
	v_bfe_i32 v90, v10, 0, 8
	v_cvt_f32_i32_sdwa v10, sext(v46) dst_sel:DWORD dst_unused:UNUSED_PAD src0_sel:WORD_0
	v_bfe_i32 v107, v67, 0, 8
	v_bfe_i32 v108, v68, 0, 8
	v_cvt_f32_i32_sdwa v46, sext(v72) dst_sel:DWORD dst_unused:UNUSED_PAD src0_sel:WORD_0
	v_bfe_i32 v72, v81, 0, 8
	v_bfe_i32 v81, v83, 0, 8
	v_bfe_i32 v83, v84, 0, 8
	v_bfe_i32 v84, v89, 0, 8
	v_bfe_i32 v89, v91, 0, 8
	v_bfe_i32 v91, v92, 0, 8
	v_bfe_i32 v92, v93, 0, 8
	v_addc_co_u32_e32 v7, vcc, v40, v7, vcc
	v_cvt_f32_i32_sdwa v59, sext(v41) dst_sel:DWORD dst_unused:UNUSED_PAD src0_sel:WORD_0
	v_cvt_f32_i32_sdwa v67, sext(v85) dst_sel:DWORD dst_unused:UNUSED_PAD src0_sel:WORD_0
	;; [unrolled: 1-line block ×3, first 2 shown]
	global_load_dword v41, v[0:1], off
	global_load_dword v85, v[2:3], off
	;; [unrolled: 1-line block ×4, first 2 shown]
	v_bfe_i32 v82, v8, 0, 8
	v_lshrrev_b32_e32 v94, 8, v11
	v_lshrrev_b32_e32 v39, 8, v12
	v_bfe_i32 v65, v12, 0, 8
	v_lshrrev_b32_e32 v66, 16, v12
	v_bfe_i32 v95, v11, 0, 8
	v_lshrrev_b32_e32 v96, 16, v11
	v_lshrrev_b32_e32 v11, 24, v11
	v_bfe_i32 v35, v43, 0, 8
	v_cvt_f32_i32_sdwa v12, sext(v50) dst_sel:DWORD dst_unused:UNUSED_PAD src0_sel:WORD_0
	v_bfe_i32 v57, v57, 0, 8
	v_cvt_f32_i32_sdwa v50, sext(v82) dst_sel:DWORD dst_unused:UNUSED_PAD src0_sel:WORD_0
	v_bfe_i32 v82, v94, 0, 8
	v_lshrrev_b32_e32 v70, 16, v13
	v_lshrrev_b32_e32 v71, 8, v14
	;; [unrolled: 1-line block ×4, first 2 shown]
	v_bfe_i32 v88, v9, 0, 8
	v_lshrrev_b32_e32 v9, 24, v9
	v_bfe_i32 v98, v54, 0, 8
	v_cvt_f32_i32_sdwa v34, sext(v58) dst_sel:DWORD dst_unused:UNUSED_PAD src0_sel:WORD_0
	v_cvt_f32_i32_sdwa v54, sext(v90) dst_sel:DWORD dst_unused:UNUSED_PAD src0_sel:WORD_0
	v_bfe_i32 v90, v11, 0, 8
	v_cvt_f32_i32_sdwa v58, sext(v35) dst_sel:DWORD dst_unused:UNUSED_PAD src0_sel:WORD_0
	v_cvt_f32_i32_sdwa v35, sext(v57) dst_sel:DWORD dst_unused:UNUSED_PAD src0_sel:WORD_0
	v_cvt_f32_i32_sdwa v3, sext(v83) dst_sel:DWORD dst_unused:UNUSED_PAD src0_sel:WORD_0
	v_cvt_f32_i32_sdwa v57, sext(v82) dst_sel:DWORD dst_unused:UNUSED_PAD src0_sel:WORD_0
	v_cvt_f32_i32_sdwa v8, sext(v42) dst_sel:DWORD dst_unused:UNUSED_PAD src0_sel:WORD_0
	v_bfe_i32 v43, v45, 0, 8
	v_bfe_i32 v45, v47, 0, 8
	;; [unrolled: 1-line block ×10, first 2 shown]
	v_cvt_f32_i32_sdwa v9, sext(v33) dst_sel:DWORD dst_unused:UNUSED_PAD src0_sel:WORD_0
	v_cvt_f32_i32_sdwa v2, sext(v81) dst_sel:DWORD dst_unused:UNUSED_PAD src0_sel:WORD_0
	;; [unrolled: 1-line block ×4, first 2 shown]
	v_bfe_i32 v69, v13, 0, 8
	v_lshrrev_b32_e32 v13, 24, v13
	v_bfe_i32 v49, v49, 0, 8
	v_bfe_i32 v51, v51, 0, 8
	;; [unrolled: 1-line block ×4, first 2 shown]
	v_cvt_f32_i32_sdwa v11, sext(v43) dst_sel:DWORD dst_unused:UNUSED_PAD src0_sel:WORD_0
	v_cvt_f32_i32_sdwa v61, sext(v47) dst_sel:DWORD dst_unused:UNUSED_PAD src0_sel:WORD_0
	;; [unrolled: 1-line block ×7, first 2 shown]
	v_lshrrev_b32_e32 v74, 24, v14
	v_lshrrev_b32_e32 v75, 8, v15
	v_bfe_i32 v76, v15, 0, 8
	v_lshrrev_b32_e32 v77, 16, v15
	v_lshrrev_b32_e32 v15, 24, v15
	v_cvt_f32_i32_sdwa v14, sext(v53) dst_sel:DWORD dst_unused:UNUSED_PAD src0_sel:WORD_0
	v_bfe_i32 v53, v55, 0, 8
	v_bfe_i32 v55, v56, 0, 8
	;; [unrolled: 1-line block ×3, first 2 shown]
	v_cvt_f32_i32_sdwa v36, sext(v62) dst_sel:DWORD dst_unused:UNUSED_PAD src0_sel:WORD_0
	v_bfe_i32 v105, v39, 0, 8
	v_bfe_i32 v110, v13, 0, 8
	v_cvt_f32_i32_sdwa v44, sext(v69) dst_sel:DWORD dst_unused:UNUSED_PAD src0_sel:WORD_0
	v_cvt_f32_i32_sdwa v52, sext(v88) dst_sel:DWORD dst_unused:UNUSED_PAD src0_sel:WORD_0
	v_bfe_i32 v88, v96, 0, 8
	v_cvt_f32_i32_sdwa v13, sext(v49) dst_sel:DWORD dst_unused:UNUSED_PAD src0_sel:WORD_0
	v_cvt_f32_i32_sdwa v62, sext(v51) dst_sel:DWORD dst_unused:UNUSED_PAD src0_sel:WORD_0
	;; [unrolled: 1-line block ×3, first 2 shown]
	v_bfe_i32 v79, v79, 0, 8
	v_bfe_i32 v102, v64, 0, 8
	;; [unrolled: 1-line block ×3, first 2 shown]
	s_waitcnt vmcnt(3)
	v_bfe_i32 v82, v41, 0, 8
	v_lshrrev_b32_e32 v83, 8, v41
	v_lshrrev_b32_e32 v84, 16, v41
	s_waitcnt vmcnt(1)
	v_lshrrev_b32_e32 v90, 16, v86
	v_cvt_f32_i32_sdwa v82, sext(v82) dst_sel:DWORD dst_unused:UNUSED_PAD src0_sel:WORD_0
	v_bfe_i32 v83, v83, 0, 8
	v_lshrrev_b32_e32 v41, 24, v41
	v_lshrrev_b32_e32 v92, 8, v86
	v_bfe_i32 v97, v84, 0, 8
	v_bfe_i32 v101, v90, 0, 8
	v_cvt_f32_i32_sdwa v90, sext(v83) dst_sel:DWORD dst_unused:UNUSED_PAD src0_sel:WORD_0
	s_waitcnt vmcnt(0)
	v_lshrrev_b32_e32 v94, 16, v93
	v_bfe_i32 v41, v41, 0, 8
	v_bfe_i32 v99, v92, 0, 8
	v_cvt_f32_i32_sdwa v92, sext(v97) dst_sel:DWORD dst_unused:UNUSED_PAD src0_sel:WORD_0
	v_bfe_i32 v114, v15, 0, 8
	v_cvt_f32_i32_sdwa v42, sext(v65) dst_sel:DWORD dst_unused:UNUSED_PAD src0_sel:WORD_0
	v_cvt_f32_i32_sdwa v15, sext(v98) dst_sel:DWORD dst_unused:UNUSED_PAD src0_sel:WORD_0
	;; [unrolled: 1-line block ×9, first 2 shown]
	v_bfe_i32 v87, v85, 0, 8
	v_lshrrev_b32_e32 v88, 8, v85
	v_bfe_i32 v91, v86, 0, 8
	v_lshrrev_b32_e32 v86, 24, v86
	v_lshrrev_b32_e32 v96, 8, v93
	v_bfe_i32 v105, v94, 0, 8
	v_cvt_f32_i32_sdwa v94, sext(v41) dst_sel:DWORD dst_unused:UNUSED_PAD src0_sel:WORD_0
	v_cvt_f32_i32_sdwa v56, sext(v95) dst_sel:DWORD dst_unused:UNUSED_PAD src0_sel:WORD_0
	;; [unrolled: 1-line block ×5, first 2 shown]
	v_lshrrev_b32_e32 v89, 16, v85
	v_bfe_i32 v95, v93, 0, 8
	v_lshrrev_b32_e32 v93, 24, v93
	v_cvt_f32_i32_sdwa v84, sext(v87) dst_sel:DWORD dst_unused:UNUSED_PAD src0_sel:WORD_0
	v_bfe_i32 v87, v88, 0, 8
	v_bfe_i32 v103, v86, 0, 8
	v_cvt_f32_i32_sdwa v86, sext(v91) dst_sel:DWORD dst_unused:UNUSED_PAD src0_sel:WORD_0
	v_bfe_i32 v91, v96, 0, 8
	v_pk_fma_f32 v[8:9], v[8:9], v[82:83], v[28:29] op_sel_hi:[1,0,1]
	v_pk_fma_f32 v[26:27], v[58:59], v[82:83], v[26:27] op_sel_hi:[1,0,1]
	v_bfe_i32 v71, v75, 0, 8
	v_lshrrev_b32_e32 v85, 24, v85
	v_bfe_i32 v89, v89, 0, 8
	v_bfe_i32 v93, v93, 0, 8
	v_cvt_f32_i32_sdwa v96, sext(v87) dst_sel:DWORD dst_unused:UNUSED_PAD src0_sel:WORD_0
	v_pk_fma_f32 v[8:9], v[10:11], v[90:91], v[8:9] op_sel_hi:[1,0,1]
	v_pk_fma_f32 v[10:11], v[60:61], v[90:91], v[26:27] op_sel_hi:[1,0,1]
	v_bfe_i32 v104, v38, 0, 8
	v_bfe_i32 v78, v78, 0, 8
	v_cvt_f32_i32_sdwa v38, sext(v37) dst_sel:DWORD dst_unused:UNUSED_PAD src0_sel:WORD_0
	v_cvt_f32_i32_sdwa v37, sext(v100) dst_sel:DWORD dst_unused:UNUSED_PAD src0_sel:WORD_0
	;; [unrolled: 1-line block ×4, first 2 shown]
	v_bfe_i32 v85, v85, 0, 8
	v_cvt_f32_i32_sdwa v98, sext(v89) dst_sel:DWORD dst_unused:UNUSED_PAD src0_sel:WORD_0
	v_pk_fma_f32 v[8:9], v[12:13], v[92:93], v[8:9] op_sel_hi:[1,0,1]
	v_pk_fma_f32 v[10:11], v[62:63], v[92:93], v[10:11] op_sel_hi:[1,0,1]
	v_cvt_f32_i32_sdwa v51, sext(v72) dst_sel:DWORD dst_unused:UNUSED_PAD src0_sel:WORD_0
	v_cvt_f32_i32_sdwa v53, sext(v73) dst_sel:DWORD dst_unused:UNUSED_PAD src0_sel:WORD_0
	;; [unrolled: 1-line block ×5, first 2 shown]
	v_pk_fma_f32 v[8:9], v[14:15], v[94:95], v[8:9] op_sel_hi:[1,0,1]
	v_pk_fma_f32 v[10:11], v[64:65], v[94:95], v[10:11] op_sel_hi:[1,0,1]
	v_bfe_i32 v112, v74, 0, 8
	v_cvt_f32_i32_sdwa v75, sext(v107) dst_sel:DWORD dst_unused:UNUSED_PAD src0_sel:WORD_0
	v_cvt_f32_i32_sdwa v74, sext(v106) dst_sel:DWORD dst_unused:UNUSED_PAD src0_sel:WORD_0
	v_pk_fma_f32 v[8:9], v[32:33], v[84:85], v[8:9] op_sel_hi:[1,0,1]
	v_pk_fma_f32 v[10:11], v[66:67], v[84:85], v[10:11] op_sel_hi:[1,0,1]
	v_bfe_i32 v113, v77, 0, 8
	v_cvt_f32_i32_sdwa v48, sext(v76) dst_sel:DWORD dst_unused:UNUSED_PAD src0_sel:WORD_0
	v_cvt_f32_i32_sdwa v45, sext(v108) dst_sel:DWORD dst_unused:UNUSED_PAD src0_sel:WORD_0
	;; [unrolled: 1-line block ×5, first 2 shown]
	v_pk_fma_f32 v[8:9], v[34:35], v[96:97], v[8:9] op_sel_hi:[1,0,1]
	v_pk_fma_f32 v[10:11], v[68:69], v[96:97], v[10:11] op_sel_hi:[1,0,1]
	v_cvt_f32_i32_sdwa v79, sext(v112) dst_sel:DWORD dst_unused:UNUSED_PAD src0_sel:WORD_0
	v_cvt_f32_i32_sdwa v78, sext(v111) dst_sel:DWORD dst_unused:UNUSED_PAD src0_sel:WORD_0
	;; [unrolled: 1-line block ×3, first 2 shown]
	v_pk_fma_f32 v[8:9], v[36:37], v[98:99], v[8:9] op_sel_hi:[1,0,1]
	v_pk_fma_f32 v[10:11], v[70:71], v[98:99], v[10:11] op_sel_hi:[1,0,1]
	v_cvt_f32_i32_sdwa v1, sext(v114) dst_sel:DWORD dst_unused:UNUSED_PAD src0_sel:WORD_0
	v_cvt_f32_i32_sdwa v0, sext(v113) dst_sel:DWORD dst_unused:UNUSED_PAD src0_sel:WORD_0
	;; [unrolled: 1-line block ×3, first 2 shown]
	v_pk_fma_f32 v[8:9], v[38:39], v[100:101], v[8:9] op_sel_hi:[1,0,1]
	v_pk_fma_f32 v[10:11], v[72:73], v[100:101], v[10:11] op_sel_hi:[1,0,1]
	v_cvt_f32_i32_sdwa v88, sext(v95) dst_sel:DWORD dst_unused:UNUSED_PAD src0_sel:WORD_0
	v_pk_fma_f32 v[8:9], v[42:43], v[86:87], v[8:9] op_sel_hi:[1,0,1]
	v_pk_fma_f32 v[10:11], v[74:75], v[86:87], v[10:11] op_sel_hi:[1,0,1]
	v_cvt_f32_i32_sdwa v108, sext(v91) dst_sel:DWORD dst_unused:UNUSED_PAD src0_sel:WORD_0
	;; [unrolled: 3-line block ×4, first 2 shown]
	v_pk_fma_f32 v[8:9], v[48:49], v[106:107], v[8:9] op_sel_hi:[1,0,1]
	v_pk_fma_f32 v[0:1], v[0:1], v[106:107], v[10:11] op_sel_hi:[1,0,1]
	;; [unrolled: 1-line block ×10, first 2 shown]
	s_andn2_b64 exec, exec, s[8:9]
	s_cbranch_execnz .LBB89_35
; %bb.36:
	s_or_b64 exec, exec, s[8:9]
.LBB89_37:
	s_or_b64 exec, exec, s[0:1]
.LBB89_38:
	s_or_b64 exec, exec, s[2:3]
.LBB89_39:
	v_mov_b32_dpp v0, v28 row_shr:1 row_mask:0xf bank_mask:0xf
	v_mov_b32_dpp v1, v29 row_shr:1 row_mask:0xf bank_mask:0xf
	;; [unrolled: 1-line block ×4, first 2 shown]
	v_pk_add_f32 v[0:1], v[28:29], v[0:1]
	v_pk_add_f32 v[4:5], v[26:27], v[4:5]
	v_cmp_eq_u32_e32 vcc, 63, v18
	v_mov_b32_dpp v2, v0 row_shr:2 row_mask:0xf bank_mask:0xf
	v_mov_b32_dpp v3, v1 row_shr:2 row_mask:0xf bank_mask:0xf
	v_mov_b32_dpp v6, v4 row_shr:2 row_mask:0xf bank_mask:0xf
	v_mov_b32_dpp v7, v5 row_shr:2 row_mask:0xf bank_mask:0xf
	v_pk_add_f32 v[0:1], v[0:1], v[2:3]
	v_pk_add_f32 v[4:5], v[4:5], v[6:7]
	s_nop 0
	v_mov_b32_dpp v2, v0 row_shr:4 row_mask:0xf bank_mask:0xe
	v_mov_b32_dpp v3, v1 row_shr:4 row_mask:0xf bank_mask:0xe
	v_mov_b32_dpp v6, v4 row_shr:4 row_mask:0xf bank_mask:0xe
	v_mov_b32_dpp v7, v5 row_shr:4 row_mask:0xf bank_mask:0xe
	v_pk_add_f32 v[0:1], v[0:1], v[2:3]
	v_pk_add_f32 v[4:5], v[4:5], v[6:7]
	s_nop 0
	;; [unrolled: 7-line block ×3, first 2 shown]
	v_mov_b32_dpp v2, v0 row_bcast:15 row_mask:0xa bank_mask:0xf
	v_mov_b32_dpp v3, v1 row_bcast:15 row_mask:0xa bank_mask:0xf
	;; [unrolled: 1-line block ×4, first 2 shown]
	v_pk_add_f32 v[0:1], v[0:1], v[2:3]
	v_pk_add_f32 v[4:5], v[4:5], v[6:7]
	s_nop 0
	v_mov_b32_dpp v2, v0 row_bcast:31 row_mask:0xc bank_mask:0xf
	v_mov_b32_dpp v3, v1 row_bcast:31 row_mask:0xc bank_mask:0xf
	;; [unrolled: 1-line block ×4, first 2 shown]
	s_and_b64 exec, exec, vcc
	s_cbranch_execz .LBB89_10
; %bb.40:
	s_load_dwordx2 s[0:1], s[4:5], 0x58
	v_cmp_eq_f32_e64 s[2:3], s20, 0
	v_pk_add_f32 v[2:3], v[0:1], v[2:3]
	v_pk_add_f32 v[0:1], v[4:5], v[6:7]
	s_and_b64 vcc, exec, s[2:3]
	v_lshlrev_b64 v[4:5], 4, v[16:17]
	s_cbranch_vccz .LBB89_42
; %bb.41:
	s_waitcnt lgkmcnt(0)
	v_mov_b32_e32 v6, s1
	v_add_co_u32_e32 v10, vcc, s0, v4
	v_addc_co_u32_e32 v11, vcc, v6, v5, vcc
	v_pk_mul_f32 v[6:7], s[16:17], v[2:3] op_sel_hi:[0,1]
	v_pk_mul_f32 v[8:9], s[16:17], v[0:1] op_sel_hi:[0,1]
	global_store_dwordx4 v[10:11], v[6:9], off
	s_cbranch_execnz .LBB89_10
	s_branch .LBB89_43
.LBB89_42:
.LBB89_43:
	s_waitcnt lgkmcnt(0)
	v_mov_b32_e32 v6, s1
	v_add_co_u32_e32 v8, vcc, s0, v4
	v_addc_co_u32_e32 v9, vcc, v6, v5, vcc
	global_load_dwordx4 v[4:7], v[8:9], off
	v_pk_mul_f32 v[2:3], s[16:17], v[2:3] op_sel_hi:[0,1]
	v_pk_mul_f32 v[10:11], s[16:17], v[0:1] op_sel_hi:[0,1]
	s_waitcnt vmcnt(0)
	v_pk_fma_f32 v[0:1], s[20:21], v[4:5], v[2:3] op_sel_hi:[0,1,1]
	v_pk_fma_f32 v[2:3], s[20:21], v[6:7], v[10:11] op_sel_hi:[0,1,1]
	global_store_dwordx4 v[8:9], v[0:3], off
	s_endpgm
	.section	.rodata,"a",@progbits
	.p2align	6, 0x0
	.amdhsa_kernel _ZN9rocsparseL18bsrxmvn_4x4_kernelILj128ELj64EfllaafEEvT3_20rocsparse_direction_NS_24const_host_device_scalarIT1_EES1_PKS1_PKT2_SA_S7_PKT4_PKT5_S5_PT6_21rocsparse_index_base_b
		.amdhsa_group_segment_fixed_size 0
		.amdhsa_private_segment_fixed_size 0
		.amdhsa_kernarg_size 104
		.amdhsa_user_sgpr_count 6
		.amdhsa_user_sgpr_private_segment_buffer 1
		.amdhsa_user_sgpr_dispatch_ptr 0
		.amdhsa_user_sgpr_queue_ptr 0
		.amdhsa_user_sgpr_kernarg_segment_ptr 1
		.amdhsa_user_sgpr_dispatch_id 0
		.amdhsa_user_sgpr_flat_scratch_init 0
		.amdhsa_user_sgpr_kernarg_preload_length 0
		.amdhsa_user_sgpr_kernarg_preload_offset 0
		.amdhsa_user_sgpr_private_segment_size 0
		.amdhsa_uses_dynamic_stack 0
		.amdhsa_system_sgpr_private_segment_wavefront_offset 0
		.amdhsa_system_sgpr_workgroup_id_x 1
		.amdhsa_system_sgpr_workgroup_id_y 0
		.amdhsa_system_sgpr_workgroup_id_z 0
		.amdhsa_system_sgpr_workgroup_info 0
		.amdhsa_system_vgpr_workitem_id 0
		.amdhsa_next_free_vgpr 115
		.amdhsa_next_free_sgpr 24
		.amdhsa_accum_offset 116
		.amdhsa_reserve_vcc 1
		.amdhsa_reserve_flat_scratch 0
		.amdhsa_float_round_mode_32 0
		.amdhsa_float_round_mode_16_64 0
		.amdhsa_float_denorm_mode_32 3
		.amdhsa_float_denorm_mode_16_64 3
		.amdhsa_dx10_clamp 1
		.amdhsa_ieee_mode 1
		.amdhsa_fp16_overflow 0
		.amdhsa_tg_split 0
		.amdhsa_exception_fp_ieee_invalid_op 0
		.amdhsa_exception_fp_denorm_src 0
		.amdhsa_exception_fp_ieee_div_zero 0
		.amdhsa_exception_fp_ieee_overflow 0
		.amdhsa_exception_fp_ieee_underflow 0
		.amdhsa_exception_fp_ieee_inexact 0
		.amdhsa_exception_int_div_zero 0
	.end_amdhsa_kernel
	.section	.text._ZN9rocsparseL18bsrxmvn_4x4_kernelILj128ELj64EfllaafEEvT3_20rocsparse_direction_NS_24const_host_device_scalarIT1_EES1_PKS1_PKT2_SA_S7_PKT4_PKT5_S5_PT6_21rocsparse_index_base_b,"axG",@progbits,_ZN9rocsparseL18bsrxmvn_4x4_kernelILj128ELj64EfllaafEEvT3_20rocsparse_direction_NS_24const_host_device_scalarIT1_EES1_PKS1_PKT2_SA_S7_PKT4_PKT5_S5_PT6_21rocsparse_index_base_b,comdat
.Lfunc_end89:
	.size	_ZN9rocsparseL18bsrxmvn_4x4_kernelILj128ELj64EfllaafEEvT3_20rocsparse_direction_NS_24const_host_device_scalarIT1_EES1_PKS1_PKT2_SA_S7_PKT4_PKT5_S5_PT6_21rocsparse_index_base_b, .Lfunc_end89-_ZN9rocsparseL18bsrxmvn_4x4_kernelILj128ELj64EfllaafEEvT3_20rocsparse_direction_NS_24const_host_device_scalarIT1_EES1_PKS1_PKT2_SA_S7_PKT4_PKT5_S5_PT6_21rocsparse_index_base_b
                                        ; -- End function
	.section	.AMDGPU.csdata,"",@progbits
; Kernel info:
; codeLenInByte = 6804
; NumSgprs: 28
; NumVgprs: 115
; NumAgprs: 0
; TotalNumVgprs: 115
; ScratchSize: 0
; MemoryBound: 0
; FloatMode: 240
; IeeeMode: 1
; LDSByteSize: 0 bytes/workgroup (compile time only)
; SGPRBlocks: 3
; VGPRBlocks: 14
; NumSGPRsForWavesPerEU: 28
; NumVGPRsForWavesPerEU: 115
; AccumOffset: 116
; Occupancy: 4
; WaveLimiterHint : 1
; COMPUTE_PGM_RSRC2:SCRATCH_EN: 0
; COMPUTE_PGM_RSRC2:USER_SGPR: 6
; COMPUTE_PGM_RSRC2:TRAP_HANDLER: 0
; COMPUTE_PGM_RSRC2:TGID_X_EN: 1
; COMPUTE_PGM_RSRC2:TGID_Y_EN: 0
; COMPUTE_PGM_RSRC2:TGID_Z_EN: 0
; COMPUTE_PGM_RSRC2:TIDIG_COMP_CNT: 0
; COMPUTE_PGM_RSRC3_GFX90A:ACCUM_OFFSET: 28
; COMPUTE_PGM_RSRC3_GFX90A:TG_SPLIT: 0
	.section	.text._ZN9rocsparseL18bsrxmvn_4x4_kernelILj128ELj4EfiiDF16_DF16_fEEvT3_20rocsparse_direction_NS_24const_host_device_scalarIT1_EES1_PKS1_PKT2_SA_S7_PKT4_PKT5_S5_PT6_21rocsparse_index_base_b,"axG",@progbits,_ZN9rocsparseL18bsrxmvn_4x4_kernelILj128ELj4EfiiDF16_DF16_fEEvT3_20rocsparse_direction_NS_24const_host_device_scalarIT1_EES1_PKS1_PKT2_SA_S7_PKT4_PKT5_S5_PT6_21rocsparse_index_base_b,comdat
	.globl	_ZN9rocsparseL18bsrxmvn_4x4_kernelILj128ELj4EfiiDF16_DF16_fEEvT3_20rocsparse_direction_NS_24const_host_device_scalarIT1_EES1_PKS1_PKT2_SA_S7_PKT4_PKT5_S5_PT6_21rocsparse_index_base_b ; -- Begin function _ZN9rocsparseL18bsrxmvn_4x4_kernelILj128ELj4EfiiDF16_DF16_fEEvT3_20rocsparse_direction_NS_24const_host_device_scalarIT1_EES1_PKS1_PKT2_SA_S7_PKT4_PKT5_S5_PT6_21rocsparse_index_base_b
	.p2align	8
	.type	_ZN9rocsparseL18bsrxmvn_4x4_kernelILj128ELj4EfiiDF16_DF16_fEEvT3_20rocsparse_direction_NS_24const_host_device_scalarIT1_EES1_PKS1_PKT2_SA_S7_PKT4_PKT5_S5_PT6_21rocsparse_index_base_b,@function
_ZN9rocsparseL18bsrxmvn_4x4_kernelILj128ELj4EfiiDF16_DF16_fEEvT3_20rocsparse_direction_NS_24const_host_device_scalarIT1_EES1_PKS1_PKT2_SA_S7_PKT4_PKT5_S5_PT6_21rocsparse_index_base_b: ; @_ZN9rocsparseL18bsrxmvn_4x4_kernelILj128ELj4EfiiDF16_DF16_fEEvT3_20rocsparse_direction_NS_24const_host_device_scalarIT1_EES1_PKS1_PKT2_SA_S7_PKT4_PKT5_S5_PT6_21rocsparse_index_base_b
; %bb.0:
	s_load_dwordx2 s[18:19], s[4:5], 0x58
	s_load_dwordx2 s[2:3], s[4:5], 0x8
	;; [unrolled: 1-line block ×3, first 2 shown]
	s_waitcnt lgkmcnt(0)
	s_bitcmp1_b32 s19, 0
	s_cselect_b64 s[8:9], -1, 0
	s_xor_b64 s[0:1], s[8:9], -1
	s_and_b64 vcc, exec, s[8:9]
	s_cbranch_vccnz .LBB90_2
; %bb.1:
	s_load_dword s2, s[2:3], 0x0
.LBB90_2:
	s_andn2_b64 vcc, exec, s[0:1]
	s_cbranch_vccnz .LBB90_4
; %bb.3:
	s_load_dword s16, s[16:17], 0x0
.LBB90_4:
	s_waitcnt lgkmcnt(0)
	v_cmp_neq_f32_e64 s[0:1], s2, 0
	v_cmp_neq_f32_e64 s[8:9], s16, 1.0
	s_or_b64 s[0:1], s[0:1], s[8:9]
	s_andn2_b64 vcc, exec, s[0:1]
	s_cbranch_vccnz .LBB90_10
; %bb.5:
	s_load_dwordx2 s[8:9], s[4:5], 0x18
	s_load_dwordx2 s[0:1], s[4:5], 0x0
	v_lshrrev_b32_e32 v1, 2, v0
	v_lshl_or_b32 v32, s6, 5, v1
	s_mov_b64 s[6:7], 0
	s_waitcnt lgkmcnt(0)
	s_cmp_lg_u64 s[8:9], 0
	s_cbranch_scc0 .LBB90_11
; %bb.6:
	s_load_dword s3, s[4:5], 0x10
                                        ; implicit-def: $vgpr1
	s_waitcnt lgkmcnt(0)
	v_cmp_gt_i32_e32 vcc, s3, v32
	s_and_saveexec_b64 s[10:11], vcc
	s_xor_b64 s[10:11], exec, s[10:11]
	s_cbranch_execz .LBB90_8
; %bb.7:
	v_ashrrev_i32_e32 v33, 31, v32
	v_lshlrev_b64 v[2:3], 2, v[32:33]
	v_mov_b32_e32 v1, s9
	v_add_co_u32_e32 v2, vcc, s8, v2
	v_addc_co_u32_e32 v3, vcc, v1, v3, vcc
	global_load_dword v1, v[2:3], off
	s_mov_b64 s[6:7], exec
	s_waitcnt vmcnt(0)
	v_subrev_u32_e32 v1, s18, v1
.LBB90_8:
	s_or_b64 exec, exec, s[10:11]
	s_branch .LBB90_12
.LBB90_9:
	v_cmp_gt_i32_e32 vcc, s0, v32
	s_andn2_b64 s[6:7], s[6:7], exec
	s_and_b64 s[8:9], vcc, exec
	s_or_b64 s[6:7], s[6:7], s[8:9]
	s_and_saveexec_b64 s[8:9], s[6:7]
	s_cbranch_execnz .LBB90_13
.LBB90_10:
	s_endpgm
.LBB90_11:
                                        ; implicit-def: $vgpr1
	s_cbranch_execnz .LBB90_9
.LBB90_12:
	v_mov_b32_e32 v32, v1
	s_and_saveexec_b64 s[8:9], s[6:7]
	s_cbranch_execz .LBB90_10
.LBB90_13:
	s_load_dwordx8 s[8:15], s[4:5], 0x20
	v_ashrrev_i32_e32 v33, 31, v32
	v_lshlrev_b64 v[2:3], 2, v[32:33]
	v_and_b32_e32 v33, 3, v0
	s_load_dwordx2 s[6:7], s[4:5], 0x40
	s_waitcnt lgkmcnt(0)
	v_mov_b32_e32 v1, s9
	v_add_co_u32_e32 v4, vcc, s8, v2
	v_addc_co_u32_e32 v5, vcc, v1, v3, vcc
	v_add_co_u32_e32 v1, vcc, 4, v4
	global_load_dword v8, v[4:5], off
	v_addc_co_u32_e32 v4, vcc, 0, v5, vcc
	v_mov_b32_e32 v5, s11
	v_add_co_u32_e32 v2, vcc, s10, v2
	s_cmp_eq_u64 s[10:11], 0
	v_addc_co_u32_e32 v3, vcc, v5, v3, vcc
	s_cselect_b64 vcc, -1, 0
	v_cndmask_b32_e32 v3, v3, v4, vcc
	v_cndmask_b32_e32 v2, v2, v1, vcc
	global_load_dword v1, v[2:3], off
	v_mov_b32_e32 v2, s15
	s_cmp_eq_u32 s1, 1
	s_waitcnt vmcnt(1)
	v_subrev_u32_e32 v0, s18, v8
	v_add_u32_e32 v34, v0, v33
	v_ashrrev_i32_e32 v35, 31, v34
	s_waitcnt vmcnt(0)
	v_subrev_u32_e32 v42, s18, v1
	v_lshlrev_b64 v[0:1], 5, v[34:35]
	v_add_co_u32_e32 v36, vcc, s14, v0
	v_addc_co_u32_e32 v37, vcc, v2, v1, vcc
	v_cmp_lt_i32_e64 s[0:1], v34, v42
	s_cbranch_scc1 .LBB90_25
; %bb.14:
	s_mov_b32 s10, 0
	v_mov_b32_e32 v39, 0
	v_mov_b32_e32 v38, 0
	;; [unrolled: 1-line block ×4, first 2 shown]
	s_and_saveexec_b64 s[8:9], s[0:1]
	s_cbranch_execz .LBB90_24
; %bb.15:
	v_add_u32_e32 v0, v8, v33
	v_subrev_u32_e32 v0, s18, v0
	v_add_u32_e32 v0, 4, v0
	v_max_i32_e32 v0, v0, v42
	v_not_b32_e32 v1, v8
	v_add3_u32 v0, v0, s18, v1
	v_sub_u32_e32 v0, v0, v33
	v_lshrrev_b32_e32 v1, 2, v0
	v_add_u32_e32 v1, 1, v1
	v_and_b32_e32 v1, 3, v1
	s_mov_b32 s11, s10
	v_cmp_ne_u32_e32 vcc, 0, v1
	v_pk_mov_b32 v[38:39], s[10:11], s[10:11] op_sel:[0,1]
	v_pk_mov_b32 v[40:41], s[10:11], s[10:11] op_sel:[0,1]
	v_mov_b32_e32 v4, v34
	v_pk_mov_b32 v[6:7], v[36:37], v[36:37] op_sel:[0,1]
	s_and_saveexec_b64 s[10:11], vcc
	s_cbranch_execz .LBB90_19
; %bb.16:
	v_mov_b32_e32 v40, 0
	v_lshlrev_b32_e32 v1, 5, v1
	s_mov_b64 s[14:15], 0
	v_mov_b32_e32 v2, s13
	v_mov_b32_e32 v3, s7
	v_pk_mov_b32 v[6:7], v[36:37], v[36:37] op_sel:[0,1]
	v_mov_b32_e32 v4, v34
	v_mov_b32_e32 v41, v40
	;; [unrolled: 1-line block ×4, first 2 shown]
.LBB90_17:                              ; =>This Inner Loop Header: Depth=1
	v_ashrrev_i32_e32 v5, 31, v4
	v_lshlrev_b64 v[10:11], 2, v[4:5]
	v_add_co_u32_e32 v18, vcc, s12, v10
	v_addc_co_u32_e32 v19, vcc, v2, v11, vcc
	global_load_dword v5, v[18:19], off
	global_load_dwordx4 v[10:13], v[6:7], off
	global_load_dwordx4 v[14:17], v[6:7], off offset:16
	v_subrev_u32_e32 v1, 32, v1
	v_add_u32_e32 v4, 4, v4
	s_waitcnt vmcnt(2)
	v_subrev_u32_e32 v5, s18, v5
	v_lshlrev_b32_e32 v18, 2, v5
	v_ashrrev_i32_e32 v19, 31, v18
	v_lshlrev_b64 v[18:19], 1, v[18:19]
	v_add_co_u32_e32 v18, vcc, s6, v18
	v_addc_co_u32_e32 v19, vcc, v3, v19, vcc
	global_load_dwordx2 v[18:19], v[18:19], off
	s_waitcnt vmcnt(2)
	v_cvt_f32_f16_e32 v21, v12
	v_cvt_f32_f16_e32 v20, v10
	v_cvt_f32_f16_sdwa v23, v12 dst_sel:DWORD dst_unused:UNUSED_PAD src0_sel:WORD_1
	v_cvt_f32_f16_sdwa v22, v10 dst_sel:DWORD dst_unused:UNUSED_PAD src0_sel:WORD_1
	v_cvt_f32_f16_e32 v24, v11
	v_cvt_f32_f16_sdwa v12, v11 dst_sel:DWORD dst_unused:UNUSED_PAD src0_sel:WORD_1
	s_waitcnt vmcnt(1)
	v_cvt_f32_f16_e32 v11, v16
	v_cvt_f32_f16_e32 v10, v14
	v_cvt_f32_f16_sdwa v26, v14 dst_sel:DWORD dst_unused:UNUSED_PAD src0_sel:WORD_1
	v_cvt_f32_f16_sdwa v27, v16 dst_sel:DWORD dst_unused:UNUSED_PAD src0_sel:WORD_1
	v_cvt_f32_f16_e32 v25, v13
	v_cvt_f32_f16_e32 v29, v17
	;; [unrolled: 1-line block ×3, first 2 shown]
	v_cvt_f32_f16_sdwa v13, v13 dst_sel:DWORD dst_unused:UNUSED_PAD src0_sel:WORD_1
	v_cvt_f32_f16_sdwa v17, v17 dst_sel:DWORD dst_unused:UNUSED_PAD src0_sel:WORD_1
	;; [unrolled: 1-line block ×3, first 2 shown]
	v_add_co_u32_e32 v6, vcc, 0x80, v6
	v_addc_co_u32_e32 v7, vcc, 0, v7, vcc
	v_cmp_eq_u32_e32 vcc, 0, v1
	s_or_b64 s[14:15], vcc, s[14:15]
	s_waitcnt vmcnt(0)
	v_cvt_f32_f16_e32 v14, v18
	v_cvt_f32_f16_sdwa v18, v18 dst_sel:DWORD dst_unused:UNUSED_PAD src0_sel:WORD_1
	v_cvt_f32_f16_e32 v30, v19
	v_cvt_f32_f16_sdwa v44, v19 dst_sel:DWORD dst_unused:UNUSED_PAD src0_sel:WORD_1
	v_pk_fma_f32 v[20:21], v[20:21], v[14:15], v[40:41] op_sel_hi:[1,0,1]
	v_pk_fma_f32 v[10:11], v[10:11], v[14:15], v[38:39] op_sel_hi:[1,0,1]
	v_pk_fma_f32 v[14:15], v[22:23], v[18:19], v[20:21] op_sel_hi:[1,0,1]
	v_pk_fma_f32 v[10:11], v[26:27], v[18:19], v[10:11] op_sel_hi:[1,0,1]
	v_pk_fma_f32 v[14:15], v[24:25], v[30:31], v[14:15] op_sel_hi:[1,0,1]
	v_pk_fma_f32 v[10:11], v[28:29], v[30:31], v[10:11] op_sel_hi:[1,0,1]
	v_pk_fma_f32 v[40:41], v[12:13], v[44:45], v[14:15] op_sel_hi:[1,0,1]
	v_pk_fma_f32 v[38:39], v[16:17], v[44:45], v[10:11] op_sel_hi:[1,0,1]
	s_andn2_b64 exec, exec, s[14:15]
	s_cbranch_execnz .LBB90_17
; %bb.18:
	s_or_b64 exec, exec, s[14:15]
.LBB90_19:
	s_or_b64 exec, exec, s[10:11]
	v_cmp_lt_u32_e32 vcc, 11, v0
	s_and_saveexec_b64 s[10:11], vcc
	s_cbranch_execz .LBB90_23
; %bb.20:
	s_mov_b64 s[14:15], 0
	v_mov_b32_e32 v9, s13
	v_mov_b32_e32 v10, s7
.LBB90_21:                              ; =>This Inner Loop Header: Depth=1
	global_load_dwordx4 v[0:3], v[6:7], off
	v_ashrrev_i32_e32 v5, 31, v4
	global_load_dwordx4 v[12:15], v[6:7], off offset:16
	global_load_dwordx4 v[16:19], v[6:7], off offset:128
	global_load_dwordx4 v[20:23], v[6:7], off offset:144
	global_load_dwordx4 v[24:27], v[6:7], off offset:256
	global_load_dwordx4 v[28:31], v[6:7], off offset:272
	global_load_dwordx4 v[44:47], v[6:7], off offset:384
	global_load_dwordx4 v[48:51], v[6:7], off offset:400
	v_add_co_u32_e32 v6, vcc, 0x200, v6
	v_lshlrev_b64 v[52:53], 2, v[4:5]
	v_addc_co_u32_e32 v7, vcc, 0, v7, vcc
	v_add_co_u32_e32 v52, vcc, s12, v52
	v_addc_co_u32_e32 v53, vcc, v9, v53, vcc
	global_load_dword v5, v[52:53], off
	global_load_dword v11, v[52:53], off offset:16
	global_load_dword v35, v[52:53], off offset:32
	;; [unrolled: 1-line block ×3, first 2 shown]
	v_add_u32_e32 v4, 16, v4
	v_cmp_ge_i32_e32 vcc, v4, v42
	s_or_b64 s[14:15], vcc, s[14:15]
	s_waitcnt vmcnt(10)
	v_cvt_f32_f16_sdwa v58, v12 dst_sel:DWORD dst_unused:UNUSED_PAD src0_sel:WORD_1
	s_waitcnt vmcnt(9)
	v_cvt_f32_f16_sdwa v62, v16 dst_sel:DWORD dst_unused:UNUSED_PAD src0_sel:WORD_1
	v_cvt_f32_f16_sdwa v59, v14 dst_sel:DWORD dst_unused:UNUSED_PAD src0_sel:WORD_1
	v_cvt_f32_f16_e32 v61, v15
	v_cvt_f32_f16_e32 v52, v0
	v_cvt_f32_f16_sdwa v54, v0 dst_sel:DWORD dst_unused:UNUSED_PAD src0_sel:WORD_1
	v_cvt_f32_f16_e32 v0, v12
	v_cvt_f32_f16_e32 v12, v16
	v_cvt_f32_f16_e32 v53, v2
	v_cvt_f32_f16_sdwa v55, v2 dst_sel:DWORD dst_unused:UNUSED_PAD src0_sel:WORD_1
	v_cvt_f32_f16_e32 v56, v1
	v_cvt_f32_f16_sdwa v2, v1 dst_sel:DWORD dst_unused:UNUSED_PAD src0_sel:WORD_1
	v_cvt_f32_f16_e32 v1, v14
	s_waitcnt vmcnt(3)
	v_subrev_u32_e32 v5, s18, v5
	v_lshlrev_b32_e32 v66, 2, v5
	s_waitcnt vmcnt(2)
	v_subrev_u32_e32 v11, s18, v11
	v_ashrrev_i32_e32 v67, 31, v66
	v_lshlrev_b32_e32 v68, 2, v11
	v_lshlrev_b64 v[66:67], 1, v[66:67]
	s_waitcnt vmcnt(1)
	v_subrev_u32_e32 v16, s18, v35
	v_ashrrev_i32_e32 v69, 31, v68
	v_add_co_u32_e32 v66, vcc, s6, v66
	v_lshlrev_b32_e32 v70, 2, v16
	v_lshlrev_b64 v[68:69], 1, v[68:69]
	v_addc_co_u32_e32 v67, vcc, v10, v67, vcc
	s_waitcnt vmcnt(0)
	v_subrev_u32_e32 v35, s18, v43
	v_ashrrev_i32_e32 v71, 31, v70
	v_add_co_u32_e32 v68, vcc, s6, v68
	v_lshlrev_b32_e32 v72, 2, v35
	v_lshlrev_b64 v[70:71], 1, v[70:71]
	v_addc_co_u32_e32 v69, vcc, v10, v69, vcc
	v_ashrrev_i32_e32 v73, 31, v72
	v_add_co_u32_e32 v70, vcc, s6, v70
	v_lshlrev_b64 v[72:73], 1, v[72:73]
	v_addc_co_u32_e32 v71, vcc, v10, v71, vcc
	v_add_co_u32_e32 v72, vcc, s6, v72
	v_addc_co_u32_e32 v73, vcc, v10, v73, vcc
	global_load_dwordx2 v[74:75], v[66:67], off
	global_load_dwordx2 v[76:77], v[68:69], off
	;; [unrolled: 1-line block ×4, first 2 shown]
	v_cvt_f32_f16_e32 v16, v20
	v_cvt_f32_f16_sdwa v66, v20 dst_sel:DWORD dst_unused:UNUSED_PAD src0_sel:WORD_1
	v_cvt_f32_f16_e32 v20, v24
	v_cvt_f32_f16_sdwa v70, v24 dst_sel:DWORD dst_unused:UNUSED_PAD src0_sel:WORD_1
	;; [unrolled: 2-line block ×5, first 2 shown]
	v_cvt_f32_f16_e32 v57, v3
	v_cvt_f32_f16_e32 v60, v13
	v_cvt_f32_f16_sdwa v3, v3 dst_sel:DWORD dst_unused:UNUSED_PAD src0_sel:WORD_1
	v_cvt_f32_f16_sdwa v15, v15 dst_sel:DWORD dst_unused:UNUSED_PAD src0_sel:WORD_1
	v_cvt_f32_f16_sdwa v14, v13 dst_sel:DWORD dst_unused:UNUSED_PAD src0_sel:WORD_1
	v_cvt_f32_f16_e32 v13, v18
	v_cvt_f32_f16_sdwa v63, v18 dst_sel:DWORD dst_unused:UNUSED_PAD src0_sel:WORD_1
	v_cvt_f32_f16_e32 v64, v17
	v_cvt_f32_f16_sdwa v18, v17 dst_sel:DWORD dst_unused:UNUSED_PAD src0_sel:WORD_1
	v_cvt_f32_f16_e32 v17, v22
	v_cvt_f32_f16_sdwa v67, v22 dst_sel:DWORD dst_unused:UNUSED_PAD src0_sel:WORD_1
	v_cvt_f32_f16_e32 v65, v19
	v_cvt_f32_f16_e32 v69, v23
	v_cvt_f32_f16_e32 v68, v21
	v_cvt_f32_f16_sdwa v19, v19 dst_sel:DWORD dst_unused:UNUSED_PAD src0_sel:WORD_1
	v_cvt_f32_f16_sdwa v23, v23 dst_sel:DWORD dst_unused:UNUSED_PAD src0_sel:WORD_1
	v_cvt_f32_f16_sdwa v22, v21 dst_sel:DWORD dst_unused:UNUSED_PAD src0_sel:WORD_1
	v_cvt_f32_f16_e32 v21, v26
	v_cvt_f32_f16_sdwa v71, v26 dst_sel:DWORD dst_unused:UNUSED_PAD src0_sel:WORD_1
	v_cvt_f32_f16_e32 v72, v25
	v_cvt_f32_f16_sdwa v26, v25 dst_sel:DWORD dst_unused:UNUSED_PAD src0_sel:WORD_1
	v_cvt_f32_f16_e32 v25, v30
	v_cvt_f32_f16_sdwa v83, v30 dst_sel:DWORD dst_unused:UNUSED_PAD src0_sel:WORD_1
	v_cvt_f32_f16_e32 v73, v27
	;; [unrolled: 12-line block ×3, first 2 shown]
	v_cvt_f32_f16_e32 v93, v51
	v_cvt_f32_f16_e32 v92, v49
	v_cvt_f32_f16_sdwa v47, v47 dst_sel:DWORD dst_unused:UNUSED_PAD src0_sel:WORD_1
	v_cvt_f32_f16_sdwa v51, v51 dst_sel:DWORD dst_unused:UNUSED_PAD src0_sel:WORD_1
	;; [unrolled: 1-line block ×3, first 2 shown]
	s_waitcnt vmcnt(3)
	v_cvt_f32_f16_e32 v48, v74
	v_cvt_f32_f16_sdwa v74, v74 dst_sel:DWORD dst_unused:UNUSED_PAD src0_sel:WORD_1
	v_cvt_f32_f16_e32 v94, v75
	v_cvt_f32_f16_sdwa v96, v75 dst_sel:DWORD dst_unused:UNUSED_PAD src0_sel:WORD_1
	s_waitcnt vmcnt(2)
	v_cvt_f32_f16_e32 v98, v76
	v_pk_fma_f32 v[40:41], v[52:53], v[48:49], v[40:41] op_sel_hi:[1,0,1]
	v_pk_fma_f32 v[0:1], v[0:1], v[48:49], v[38:39] op_sel_hi:[1,0,1]
	v_cvt_f32_f16_sdwa v52, v76 dst_sel:DWORD dst_unused:UNUSED_PAD src0_sel:WORD_1
	v_pk_fma_f32 v[40:41], v[54:55], v[74:75], v[40:41] op_sel_hi:[1,0,1]
	v_pk_fma_f32 v[0:1], v[58:59], v[74:75], v[0:1] op_sel_hi:[1,0,1]
	v_cvt_f32_f16_e32 v38, v77
	v_pk_fma_f32 v[40:41], v[56:57], v[94:95], v[40:41] op_sel_hi:[1,0,1]
	v_pk_fma_f32 v[0:1], v[60:61], v[94:95], v[0:1] op_sel_hi:[1,0,1]
	v_cvt_f32_f16_sdwa v48, v77 dst_sel:DWORD dst_unused:UNUSED_PAD src0_sel:WORD_1
	v_pk_fma_f32 v[2:3], v[2:3], v[96:97], v[40:41] op_sel_hi:[1,0,1]
	v_pk_fma_f32 v[0:1], v[14:15], v[96:97], v[0:1] op_sel_hi:[1,0,1]
	s_waitcnt vmcnt(1)
	v_cvt_f32_f16_e32 v76, v78
	v_pk_fma_f32 v[2:3], v[12:13], v[98:99], v[2:3] op_sel_hi:[1,0,1]
	v_pk_fma_f32 v[0:1], v[16:17], v[98:99], v[0:1] op_sel_hi:[1,0,1]
	v_cvt_f32_f16_sdwa v54, v78 dst_sel:DWORD dst_unused:UNUSED_PAD src0_sel:WORD_1
	v_pk_fma_f32 v[2:3], v[62:63], v[52:53], v[2:3] op_sel_hi:[1,0,1]
	v_pk_fma_f32 v[0:1], v[66:67], v[52:53], v[0:1] op_sel_hi:[1,0,1]
	v_cvt_f32_f16_e32 v58, v79
	v_pk_fma_f32 v[2:3], v[64:65], v[38:39], v[2:3] op_sel_hi:[1,0,1]
	v_pk_fma_f32 v[0:1], v[68:69], v[38:39], v[0:1] op_sel_hi:[1,0,1]
	v_cvt_f32_f16_sdwa v74, v79 dst_sel:DWORD dst_unused:UNUSED_PAD src0_sel:WORD_1
	v_pk_fma_f32 v[2:3], v[18:19], v[48:49], v[2:3] op_sel_hi:[1,0,1]
	v_pk_fma_f32 v[0:1], v[22:23], v[48:49], v[0:1] op_sel_hi:[1,0,1]
	;; [unrolled: 13-line block ×3, first 2 shown]
	v_pk_fma_f32 v[2:3], v[28:29], v[78:79], v[2:3] op_sel_hi:[1,0,1]
	v_pk_fma_f32 v[0:1], v[44:45], v[78:79], v[0:1] op_sel_hi:[1,0,1]
	;; [unrolled: 1-line block ×8, first 2 shown]
	s_andn2_b64 exec, exec, s[14:15]
	s_cbranch_execnz .LBB90_21
; %bb.22:
	s_or_b64 exec, exec, s[14:15]
.LBB90_23:
	s_or_b64 exec, exec, s[10:11]
.LBB90_24:
	s_or_b64 exec, exec, s[8:9]
	s_cbranch_execz .LBB90_26
	s_branch .LBB90_37
.LBB90_25:
                                        ; implicit-def: $vgpr39
                                        ; implicit-def: $vgpr41
.LBB90_26:
	s_mov_b32 s10, 0
	v_mov_b32_e32 v39, 0
	v_mov_b32_e32 v38, 0
	;; [unrolled: 1-line block ×4, first 2 shown]
	s_and_saveexec_b64 s[8:9], s[0:1]
	s_cbranch_execz .LBB90_36
; %bb.27:
	v_add_u32_e32 v0, v8, v33
	v_subrev_u32_e32 v0, s18, v0
	v_add_u32_e32 v0, 4, v0
	v_max_i32_e32 v0, v0, v42
	v_not_b32_e32 v1, v8
	v_add3_u32 v0, v0, s18, v1
	v_sub_u32_e32 v0, v0, v33
	v_lshrrev_b32_e32 v1, 2, v0
	v_add_u32_e32 v1, 1, v1
	v_and_b32_e32 v1, 3, v1
	s_mov_b32 s11, s10
	v_cmp_ne_u32_e32 vcc, 0, v1
	v_pk_mov_b32 v[38:39], s[10:11], s[10:11] op_sel:[0,1]
	v_pk_mov_b32 v[40:41], s[10:11], s[10:11] op_sel:[0,1]
	s_and_saveexec_b64 s[0:1], vcc
	s_cbranch_execz .LBB90_31
; %bb.28:
	v_mov_b32_e32 v40, 0
	v_lshlrev_b32_e32 v1, 5, v1
	s_mov_b64 s[10:11], 0
	v_mov_b32_e32 v2, s13
	v_mov_b32_e32 v3, s7
	;; [unrolled: 1-line block ×5, first 2 shown]
.LBB90_29:                              ; =>This Inner Loop Header: Depth=1
	v_ashrrev_i32_e32 v35, 31, v34
	v_lshlrev_b64 v[4:5], 2, v[34:35]
	v_add_co_u32_e32 v8, vcc, s12, v4
	v_addc_co_u32_e32 v9, vcc, v2, v5, vcc
	global_load_dword v10, v[8:9], off
	global_load_dwordx4 v[4:7], v[36:37], off
	v_subrev_u32_e32 v1, 32, v1
	v_add_u32_e32 v34, 4, v34
	s_waitcnt vmcnt(1)
	v_subrev_u32_e32 v8, s18, v10
	v_lshlrev_b32_e32 v8, 2, v8
	v_ashrrev_i32_e32 v9, 31, v8
	v_lshlrev_b64 v[8:9], 1, v[8:9]
	v_add_co_u32_e32 v12, vcc, s6, v8
	v_addc_co_u32_e32 v13, vcc, v3, v9, vcc
	global_load_dwordx2 v[14:15], v[12:13], off
	global_load_dwordx4 v[8:11], v[36:37], off offset:16
	s_waitcnt vmcnt(2)
	v_cvt_f32_f16_sdwa v13, v4 dst_sel:DWORD dst_unused:UNUSED_PAD src0_sel:WORD_1
	v_cvt_f32_f16_e32 v12, v4
	v_cvt_f32_f16_sdwa v23, v5 dst_sel:DWORD dst_unused:UNUSED_PAD src0_sel:WORD_1
	v_cvt_f32_f16_e32 v22, v5
	v_cvt_f32_f16_sdwa v17, v6 dst_sel:DWORD dst_unused:UNUSED_PAD src0_sel:WORD_1
	v_cvt_f32_f16_e32 v16, v6
	v_cvt_f32_f16_sdwa v5, v7 dst_sel:DWORD dst_unused:UNUSED_PAD src0_sel:WORD_1
	v_cvt_f32_f16_e32 v4, v7
	v_add_co_u32_e32 v36, vcc, 0x80, v36
	v_addc_co_u32_e32 v37, vcc, 0, v37, vcc
	v_cmp_eq_u32_e32 vcc, 0, v1
	s_or_b64 s[10:11], vcc, s[10:11]
	s_waitcnt vmcnt(1)
	v_cvt_f32_f16_e32 v24, v15
	s_waitcnt vmcnt(0)
	v_cvt_f32_f16_sdwa v21, v10 dst_sel:DWORD dst_unused:UNUSED_PAD src0_sel:WORD_1
	v_cvt_f32_f16_e32 v20, v10
	v_cvt_f32_f16_e32 v10, v14
	v_cvt_f32_f16_sdwa v14, v14 dst_sel:DWORD dst_unused:UNUSED_PAD src0_sel:WORD_1
	v_cvt_f32_f16_sdwa v19, v8 dst_sel:DWORD dst_unused:UNUSED_PAD src0_sel:WORD_1
	v_cvt_f32_f16_e32 v18, v8
	v_cvt_f32_f16_sdwa v7, v9 dst_sel:DWORD dst_unused:UNUSED_PAD src0_sel:WORD_1
	v_cvt_f32_f16_e32 v6, v9
	v_cvt_f32_f16_sdwa v9, v11 dst_sel:DWORD dst_unused:UNUSED_PAD src0_sel:WORD_1
	v_cvt_f32_f16_e32 v8, v11
	v_cvt_f32_f16_sdwa v26, v15 dst_sel:DWORD dst_unused:UNUSED_PAD src0_sel:WORD_1
	v_pk_fma_f32 v[12:13], v[12:13], v[10:11], v[40:41] op_sel_hi:[1,0,1]
	v_pk_fma_f32 v[10:11], v[22:23], v[10:11], v[38:39] op_sel_hi:[1,0,1]
	;; [unrolled: 1-line block ×8, first 2 shown]
	s_andn2_b64 exec, exec, s[10:11]
	s_cbranch_execnz .LBB90_29
; %bb.30:
	s_or_b64 exec, exec, s[10:11]
.LBB90_31:
	s_or_b64 exec, exec, s[0:1]
	v_cmp_lt_u32_e32 vcc, 11, v0
	s_and_saveexec_b64 s[0:1], vcc
	s_cbranch_execz .LBB90_35
; %bb.32:
	s_mov_b64 s[10:11], 0
	v_mov_b32_e32 v43, s13
	v_mov_b32_e32 v44, s7
.LBB90_33:                              ; =>This Inner Loop Header: Depth=1
	global_load_dwordx4 v[0:3], v[36:37], off
	global_load_dwordx4 v[4:7], v[36:37], off offset:16
	global_load_dwordx4 v[8:11], v[36:37], off offset:128
	global_load_dwordx4 v[12:15], v[36:37], off offset:144
	global_load_dwordx4 v[16:19], v[36:37], off offset:256
	global_load_dwordx4 v[20:23], v[36:37], off offset:272
	global_load_dwordx4 v[28:31], v[36:37], off offset:384
	global_load_dwordx4 v[24:27], v[36:37], off offset:400
	v_ashrrev_i32_e32 v35, 31, v34
	v_add_co_u32_e32 v36, vcc, 0x200, v36
	v_lshlrev_b64 v[46:47], 2, v[34:35]
	v_addc_co_u32_e32 v37, vcc, 0, v37, vcc
	v_add_co_u32_e32 v46, vcc, s12, v46
	v_addc_co_u32_e32 v47, vcc, v43, v47, vcc
	global_load_dword v35, v[46:47], off
	global_load_dword v45, v[46:47], off offset:16
	global_load_dword v62, v[46:47], off offset:32
	;; [unrolled: 1-line block ×3, first 2 shown]
	v_add_u32_e32 v34, 16, v34
	v_cmp_ge_i32_e32 vcc, v34, v42
	s_or_b64 s[10:11], vcc, s[10:11]
	s_waitcnt vmcnt(11)
	v_cvt_f32_f16_sdwa v47, v0 dst_sel:DWORD dst_unused:UNUSED_PAD src0_sel:WORD_1
	v_cvt_f32_f16_e32 v46, v0
	v_cvt_f32_f16_sdwa v49, v2 dst_sel:DWORD dst_unused:UNUSED_PAD src0_sel:WORD_1
	v_cvt_f32_f16_e32 v48, v2
	s_waitcnt vmcnt(10)
	v_cvt_f32_f16_sdwa v51, v4 dst_sel:DWORD dst_unused:UNUSED_PAD src0_sel:WORD_1
	v_cvt_f32_f16_e32 v50, v4
	v_cvt_f32_f16_sdwa v53, v6 dst_sel:DWORD dst_unused:UNUSED_PAD src0_sel:WORD_1
	v_cvt_f32_f16_e32 v52, v6
	v_cvt_f32_f16_sdwa v55, v1 dst_sel:DWORD dst_unused:UNUSED_PAD src0_sel:WORD_1
	v_cvt_f32_f16_e32 v54, v1
	v_cvt_f32_f16_sdwa v1, v3 dst_sel:DWORD dst_unused:UNUSED_PAD src0_sel:WORD_1
	v_cvt_f32_f16_e32 v0, v3
	v_cvt_f32_f16_sdwa v3, v5 dst_sel:DWORD dst_unused:UNUSED_PAD src0_sel:WORD_1
	v_cvt_f32_f16_e32 v2, v5
	v_cvt_f32_f16_sdwa v5, v7 dst_sel:DWORD dst_unused:UNUSED_PAD src0_sel:WORD_1
	v_cvt_f32_f16_e32 v4, v7
	s_waitcnt vmcnt(9)
	v_cvt_f32_f16_sdwa v7, v8 dst_sel:DWORD dst_unused:UNUSED_PAD src0_sel:WORD_1
	v_cvt_f32_f16_e32 v6, v8
	s_waitcnt vmcnt(3)
	v_subrev_u32_e32 v8, s18, v35
	v_cvt_f32_f16_sdwa v61, v14 dst_sel:DWORD dst_unused:UNUSED_PAD src0_sel:WORD_1
	v_cvt_f32_f16_e32 v60, v14
	s_waitcnt vmcnt(0)
	v_subrev_u32_e32 v14, s18, v64
	v_lshlrev_b32_e32 v64, 2, v8
	v_cvt_f32_f16_sdwa v57, v10 dst_sel:DWORD dst_unused:UNUSED_PAD src0_sel:WORD_1
	v_cvt_f32_f16_e32 v56, v10
	v_subrev_u32_e32 v10, s18, v45
	v_ashrrev_i32_e32 v65, 31, v64
	v_lshlrev_b32_e32 v66, 2, v10
	v_lshlrev_b64 v[64:65], 1, v[64:65]
	v_cvt_f32_f16_sdwa v59, v12 dst_sel:DWORD dst_unused:UNUSED_PAD src0_sel:WORD_1
	v_cvt_f32_f16_e32 v58, v12
	v_subrev_u32_e32 v12, s18, v62
	v_ashrrev_i32_e32 v67, 31, v66
	v_add_co_u32_e32 v64, vcc, s6, v64
	v_lshlrev_b32_e32 v68, 2, v12
	v_lshlrev_b64 v[66:67], 1, v[66:67]
	v_addc_co_u32_e32 v65, vcc, v44, v65, vcc
	v_ashrrev_i32_e32 v69, 31, v68
	v_add_co_u32_e32 v66, vcc, s6, v66
	v_lshlrev_b32_e32 v70, 2, v14
	v_lshlrev_b64 v[68:69], 1, v[68:69]
	v_addc_co_u32_e32 v67, vcc, v44, v67, vcc
	v_ashrrev_i32_e32 v71, 31, v70
	v_add_co_u32_e32 v68, vcc, s6, v68
	v_lshlrev_b64 v[70:71], 1, v[70:71]
	v_addc_co_u32_e32 v69, vcc, v44, v69, vcc
	v_add_co_u32_e32 v70, vcc, s6, v70
	v_addc_co_u32_e32 v71, vcc, v44, v71, vcc
	global_load_dwordx2 v[72:73], v[64:65], off
	global_load_dwordx2 v[74:75], v[66:67], off
	;; [unrolled: 1-line block ×4, first 2 shown]
	v_cvt_f32_f16_sdwa v85, v26 dst_sel:DWORD dst_unused:UNUSED_PAD src0_sel:WORD_1
	v_cvt_f32_f16_e32 v84, v26
	v_cvt_f32_f16_sdwa v63, v9 dst_sel:DWORD dst_unused:UNUSED_PAD src0_sel:WORD_1
	v_cvt_f32_f16_e32 v62, v9
	;; [unrolled: 2-line block ×20, first 2 shown]
	s_waitcnt vmcnt(3)
	v_cvt_f32_f16_e32 v26, v72
	v_cvt_f32_f16_sdwa v72, v72 dst_sel:DWORD dst_unused:UNUSED_PAD src0_sel:WORD_1
	v_cvt_f32_f16_e32 v88, v73
	v_cvt_f32_f16_sdwa v90, v73 dst_sel:DWORD dst_unused:UNUSED_PAD src0_sel:WORD_1
	s_waitcnt vmcnt(2)
	v_cvt_f32_f16_e32 v92, v74
	v_pk_fma_f32 v[40:41], v[46:47], v[26:27], v[40:41] op_sel_hi:[1,0,1]
	v_pk_fma_f32 v[26:27], v[54:55], v[26:27], v[38:39] op_sel_hi:[1,0,1]
	v_cvt_f32_f16_sdwa v46, v74 dst_sel:DWORD dst_unused:UNUSED_PAD src0_sel:WORD_1
	v_pk_fma_f32 v[40:41], v[48:49], v[72:73], v[40:41] op_sel_hi:[1,0,1]
	v_pk_fma_f32 v[0:1], v[0:1], v[72:73], v[26:27] op_sel_hi:[1,0,1]
	v_cvt_f32_f16_e32 v38, v75
	v_pk_fma_f32 v[40:41], v[50:51], v[88:89], v[40:41] op_sel_hi:[1,0,1]
	v_pk_fma_f32 v[0:1], v[2:3], v[88:89], v[0:1] op_sel_hi:[1,0,1]
	v_cvt_f32_f16_sdwa v54, v75 dst_sel:DWORD dst_unused:UNUSED_PAD src0_sel:WORD_1
	v_pk_fma_f32 v[40:41], v[52:53], v[90:91], v[40:41] op_sel_hi:[1,0,1]
	v_pk_fma_f32 v[0:1], v[4:5], v[90:91], v[0:1] op_sel_hi:[1,0,1]
	s_waitcnt vmcnt(1)
	v_cvt_f32_f16_e32 v74, v76
	v_pk_fma_f32 v[4:5], v[6:7], v[92:93], v[40:41] op_sel_hi:[1,0,1]
	v_pk_fma_f32 v[0:1], v[62:63], v[92:93], v[0:1] op_sel_hi:[1,0,1]
	v_cvt_f32_f16_sdwa v48, v76 dst_sel:DWORD dst_unused:UNUSED_PAD src0_sel:WORD_1
	v_pk_fma_f32 v[4:5], v[56:57], v[46:47], v[4:5] op_sel_hi:[1,0,1]
	v_pk_fma_f32 v[0:1], v[8:9], v[46:47], v[0:1] op_sel_hi:[1,0,1]
	v_cvt_f32_f16_e32 v26, v77
	v_pk_fma_f32 v[4:5], v[58:59], v[38:39], v[4:5] op_sel_hi:[1,0,1]
	v_pk_fma_f32 v[0:1], v[10:11], v[38:39], v[0:1] op_sel_hi:[1,0,1]
	v_cvt_f32_f16_sdwa v72, v77 dst_sel:DWORD dst_unused:UNUSED_PAD src0_sel:WORD_1
	v_pk_fma_f32 v[4:5], v[60:61], v[54:55], v[4:5] op_sel_hi:[1,0,1]
	v_pk_fma_f32 v[0:1], v[12:13], v[54:55], v[0:1] op_sel_hi:[1,0,1]
	;; [unrolled: 13-line block ×3, first 2 shown]
	v_pk_fma_f32 v[4:5], v[22:23], v[76:77], v[4:5] op_sel_hi:[1,0,1]
	v_pk_fma_f32 v[0:1], v[82:83], v[76:77], v[0:1] op_sel_hi:[1,0,1]
	;; [unrolled: 1-line block ×8, first 2 shown]
	s_andn2_b64 exec, exec, s[10:11]
	s_cbranch_execnz .LBB90_33
; %bb.34:
	s_or_b64 exec, exec, s[10:11]
.LBB90_35:
	s_or_b64 exec, exec, s[0:1]
.LBB90_36:
	s_or_b64 exec, exec, s[8:9]
.LBB90_37:
	v_mov_b32_dpp v0, v40 row_shr:1 row_mask:0xf bank_mask:0xf
	v_mov_b32_dpp v1, v41 row_shr:1 row_mask:0xf bank_mask:0xf
	;; [unrolled: 1-line block ×4, first 2 shown]
	v_pk_add_f32 v[0:1], v[40:41], v[0:1]
	v_pk_add_f32 v[4:5], v[38:39], v[4:5]
	v_cmp_eq_u32_e32 vcc, 3, v33
	v_mov_b32_dpp v2, v0 row_shr:2 row_mask:0xf bank_mask:0xf
	v_mov_b32_dpp v3, v1 row_shr:2 row_mask:0xf bank_mask:0xf
	;; [unrolled: 1-line block ×4, first 2 shown]
	s_and_b64 exec, exec, vcc
	s_cbranch_execz .LBB90_10
; %bb.38:
	s_load_dwordx2 s[0:1], s[4:5], 0x50
	v_cmp_eq_f32_e64 s[4:5], s16, 0
	v_pk_add_f32 v[2:3], v[0:1], v[2:3]
	v_pk_add_f32 v[0:1], v[4:5], v[6:7]
	s_and_b64 vcc, exec, s[4:5]
	v_lshlrev_b32_e32 v4, 2, v32
	s_cbranch_vccz .LBB90_40
; %bb.39:
	v_ashrrev_i32_e32 v5, 31, v4
	v_lshlrev_b64 v[6:7], 2, v[4:5]
	s_waitcnt lgkmcnt(0)
	v_mov_b32_e32 v5, s1
	v_add_co_u32_e32 v10, vcc, s0, v6
	v_addc_co_u32_e32 v11, vcc, v5, v7, vcc
	v_pk_mul_f32 v[6:7], s[2:3], v[2:3] op_sel_hi:[0,1]
	v_pk_mul_f32 v[8:9], s[2:3], v[0:1] op_sel_hi:[0,1]
	global_store_dwordx4 v[10:11], v[6:9], off
	s_cbranch_execnz .LBB90_10
	s_branch .LBB90_41
.LBB90_40:
.LBB90_41:
	v_ashrrev_i32_e32 v5, 31, v4
	v_lshlrev_b64 v[4:5], 2, v[4:5]
	s_waitcnt lgkmcnt(0)
	v_mov_b32_e32 v6, s1
	v_add_co_u32_e32 v8, vcc, s0, v4
	v_addc_co_u32_e32 v9, vcc, v6, v5, vcc
	global_load_dwordx4 v[4:7], v[8:9], off
	v_pk_mul_f32 v[2:3], s[2:3], v[2:3] op_sel_hi:[0,1]
	v_pk_mul_f32 v[10:11], s[2:3], v[0:1] op_sel_hi:[0,1]
	s_waitcnt vmcnt(0)
	v_pk_fma_f32 v[0:1], s[16:17], v[4:5], v[2:3] op_sel_hi:[0,1,1]
	v_pk_fma_f32 v[2:3], s[16:17], v[6:7], v[10:11] op_sel_hi:[0,1,1]
	global_store_dwordx4 v[8:9], v[0:3], off
	s_endpgm
	.section	.rodata,"a",@progbits
	.p2align	6, 0x0
	.amdhsa_kernel _ZN9rocsparseL18bsrxmvn_4x4_kernelILj128ELj4EfiiDF16_DF16_fEEvT3_20rocsparse_direction_NS_24const_host_device_scalarIT1_EES1_PKS1_PKT2_SA_S7_PKT4_PKT5_S5_PT6_21rocsparse_index_base_b
		.amdhsa_group_segment_fixed_size 0
		.amdhsa_private_segment_fixed_size 0
		.amdhsa_kernarg_size 96
		.amdhsa_user_sgpr_count 6
		.amdhsa_user_sgpr_private_segment_buffer 1
		.amdhsa_user_sgpr_dispatch_ptr 0
		.amdhsa_user_sgpr_queue_ptr 0
		.amdhsa_user_sgpr_kernarg_segment_ptr 1
		.amdhsa_user_sgpr_dispatch_id 0
		.amdhsa_user_sgpr_flat_scratch_init 0
		.amdhsa_user_sgpr_kernarg_preload_length 0
		.amdhsa_user_sgpr_kernarg_preload_offset 0
		.amdhsa_user_sgpr_private_segment_size 0
		.amdhsa_uses_dynamic_stack 0
		.amdhsa_system_sgpr_private_segment_wavefront_offset 0
		.amdhsa_system_sgpr_workgroup_id_x 1
		.amdhsa_system_sgpr_workgroup_id_y 0
		.amdhsa_system_sgpr_workgroup_id_z 0
		.amdhsa_system_sgpr_workgroup_info 0
		.amdhsa_system_vgpr_workitem_id 0
		.amdhsa_next_free_vgpr 100
		.amdhsa_next_free_sgpr 20
		.amdhsa_accum_offset 100
		.amdhsa_reserve_vcc 1
		.amdhsa_reserve_flat_scratch 0
		.amdhsa_float_round_mode_32 0
		.amdhsa_float_round_mode_16_64 0
		.amdhsa_float_denorm_mode_32 3
		.amdhsa_float_denorm_mode_16_64 3
		.amdhsa_dx10_clamp 1
		.amdhsa_ieee_mode 1
		.amdhsa_fp16_overflow 0
		.amdhsa_tg_split 0
		.amdhsa_exception_fp_ieee_invalid_op 0
		.amdhsa_exception_fp_denorm_src 0
		.amdhsa_exception_fp_ieee_div_zero 0
		.amdhsa_exception_fp_ieee_overflow 0
		.amdhsa_exception_fp_ieee_underflow 0
		.amdhsa_exception_fp_ieee_inexact 0
		.amdhsa_exception_int_div_zero 0
	.end_amdhsa_kernel
	.section	.text._ZN9rocsparseL18bsrxmvn_4x4_kernelILj128ELj4EfiiDF16_DF16_fEEvT3_20rocsparse_direction_NS_24const_host_device_scalarIT1_EES1_PKS1_PKT2_SA_S7_PKT4_PKT5_S5_PT6_21rocsparse_index_base_b,"axG",@progbits,_ZN9rocsparseL18bsrxmvn_4x4_kernelILj128ELj4EfiiDF16_DF16_fEEvT3_20rocsparse_direction_NS_24const_host_device_scalarIT1_EES1_PKS1_PKT2_SA_S7_PKT4_PKT5_S5_PT6_21rocsparse_index_base_b,comdat
.Lfunc_end90:
	.size	_ZN9rocsparseL18bsrxmvn_4x4_kernelILj128ELj4EfiiDF16_DF16_fEEvT3_20rocsparse_direction_NS_24const_host_device_scalarIT1_EES1_PKS1_PKT2_SA_S7_PKT4_PKT5_S5_PT6_21rocsparse_index_base_b, .Lfunc_end90-_ZN9rocsparseL18bsrxmvn_4x4_kernelILj128ELj4EfiiDF16_DF16_fEEvT3_20rocsparse_direction_NS_24const_host_device_scalarIT1_EES1_PKS1_PKT2_SA_S7_PKT4_PKT5_S5_PT6_21rocsparse_index_base_b
                                        ; -- End function
	.section	.AMDGPU.csdata,"",@progbits
; Kernel info:
; codeLenInByte = 3868
; NumSgprs: 24
; NumVgprs: 100
; NumAgprs: 0
; TotalNumVgprs: 100
; ScratchSize: 0
; MemoryBound: 0
; FloatMode: 240
; IeeeMode: 1
; LDSByteSize: 0 bytes/workgroup (compile time only)
; SGPRBlocks: 2
; VGPRBlocks: 12
; NumSGPRsForWavesPerEU: 24
; NumVGPRsForWavesPerEU: 100
; AccumOffset: 100
; Occupancy: 4
; WaveLimiterHint : 1
; COMPUTE_PGM_RSRC2:SCRATCH_EN: 0
; COMPUTE_PGM_RSRC2:USER_SGPR: 6
; COMPUTE_PGM_RSRC2:TRAP_HANDLER: 0
; COMPUTE_PGM_RSRC2:TGID_X_EN: 1
; COMPUTE_PGM_RSRC2:TGID_Y_EN: 0
; COMPUTE_PGM_RSRC2:TGID_Z_EN: 0
; COMPUTE_PGM_RSRC2:TIDIG_COMP_CNT: 0
; COMPUTE_PGM_RSRC3_GFX90A:ACCUM_OFFSET: 24
; COMPUTE_PGM_RSRC3_GFX90A:TG_SPLIT: 0
	.section	.text._ZN9rocsparseL18bsrxmvn_4x4_kernelILj128ELj8EfiiDF16_DF16_fEEvT3_20rocsparse_direction_NS_24const_host_device_scalarIT1_EES1_PKS1_PKT2_SA_S7_PKT4_PKT5_S5_PT6_21rocsparse_index_base_b,"axG",@progbits,_ZN9rocsparseL18bsrxmvn_4x4_kernelILj128ELj8EfiiDF16_DF16_fEEvT3_20rocsparse_direction_NS_24const_host_device_scalarIT1_EES1_PKS1_PKT2_SA_S7_PKT4_PKT5_S5_PT6_21rocsparse_index_base_b,comdat
	.globl	_ZN9rocsparseL18bsrxmvn_4x4_kernelILj128ELj8EfiiDF16_DF16_fEEvT3_20rocsparse_direction_NS_24const_host_device_scalarIT1_EES1_PKS1_PKT2_SA_S7_PKT4_PKT5_S5_PT6_21rocsparse_index_base_b ; -- Begin function _ZN9rocsparseL18bsrxmvn_4x4_kernelILj128ELj8EfiiDF16_DF16_fEEvT3_20rocsparse_direction_NS_24const_host_device_scalarIT1_EES1_PKS1_PKT2_SA_S7_PKT4_PKT5_S5_PT6_21rocsparse_index_base_b
	.p2align	8
	.type	_ZN9rocsparseL18bsrxmvn_4x4_kernelILj128ELj8EfiiDF16_DF16_fEEvT3_20rocsparse_direction_NS_24const_host_device_scalarIT1_EES1_PKS1_PKT2_SA_S7_PKT4_PKT5_S5_PT6_21rocsparse_index_base_b,@function
_ZN9rocsparseL18bsrxmvn_4x4_kernelILj128ELj8EfiiDF16_DF16_fEEvT3_20rocsparse_direction_NS_24const_host_device_scalarIT1_EES1_PKS1_PKT2_SA_S7_PKT4_PKT5_S5_PT6_21rocsparse_index_base_b: ; @_ZN9rocsparseL18bsrxmvn_4x4_kernelILj128ELj8EfiiDF16_DF16_fEEvT3_20rocsparse_direction_NS_24const_host_device_scalarIT1_EES1_PKS1_PKT2_SA_S7_PKT4_PKT5_S5_PT6_21rocsparse_index_base_b
; %bb.0:
	s_load_dwordx2 s[18:19], s[4:5], 0x58
	s_load_dwordx2 s[2:3], s[4:5], 0x8
	;; [unrolled: 1-line block ×3, first 2 shown]
	s_waitcnt lgkmcnt(0)
	s_bitcmp1_b32 s19, 0
	s_cselect_b64 s[8:9], -1, 0
	s_xor_b64 s[0:1], s[8:9], -1
	s_and_b64 vcc, exec, s[8:9]
	s_cbranch_vccnz .LBB91_2
; %bb.1:
	s_load_dword s2, s[2:3], 0x0
.LBB91_2:
	s_andn2_b64 vcc, exec, s[0:1]
	s_cbranch_vccnz .LBB91_4
; %bb.3:
	s_load_dword s16, s[16:17], 0x0
.LBB91_4:
	s_waitcnt lgkmcnt(0)
	v_cmp_neq_f32_e64 s[0:1], s2, 0
	v_cmp_neq_f32_e64 s[8:9], s16, 1.0
	s_or_b64 s[0:1], s[0:1], s[8:9]
	s_andn2_b64 vcc, exec, s[0:1]
	s_cbranch_vccnz .LBB91_10
; %bb.5:
	s_load_dwordx2 s[8:9], s[4:5], 0x18
	s_load_dwordx2 s[0:1], s[4:5], 0x0
	v_lshrrev_b32_e32 v1, 3, v0
	v_lshl_or_b32 v32, s6, 4, v1
	s_mov_b64 s[6:7], 0
	s_waitcnt lgkmcnt(0)
	s_cmp_lg_u64 s[8:9], 0
	s_cbranch_scc0 .LBB91_11
; %bb.6:
	s_load_dword s3, s[4:5], 0x10
                                        ; implicit-def: $vgpr1
	s_waitcnt lgkmcnt(0)
	v_cmp_gt_i32_e32 vcc, s3, v32
	s_and_saveexec_b64 s[10:11], vcc
	s_xor_b64 s[10:11], exec, s[10:11]
	s_cbranch_execz .LBB91_8
; %bb.7:
	v_ashrrev_i32_e32 v33, 31, v32
	v_lshlrev_b64 v[2:3], 2, v[32:33]
	v_mov_b32_e32 v1, s9
	v_add_co_u32_e32 v2, vcc, s8, v2
	v_addc_co_u32_e32 v3, vcc, v1, v3, vcc
	global_load_dword v1, v[2:3], off
	s_mov_b64 s[6:7], exec
	s_waitcnt vmcnt(0)
	v_subrev_u32_e32 v1, s18, v1
.LBB91_8:
	s_or_b64 exec, exec, s[10:11]
	s_branch .LBB91_12
.LBB91_9:
	v_cmp_gt_i32_e32 vcc, s0, v32
	s_andn2_b64 s[6:7], s[6:7], exec
	s_and_b64 s[8:9], vcc, exec
	s_or_b64 s[6:7], s[6:7], s[8:9]
	s_and_saveexec_b64 s[8:9], s[6:7]
	s_cbranch_execnz .LBB91_13
.LBB91_10:
	s_endpgm
.LBB91_11:
                                        ; implicit-def: $vgpr1
	s_cbranch_execnz .LBB91_9
.LBB91_12:
	v_mov_b32_e32 v32, v1
	s_and_saveexec_b64 s[8:9], s[6:7]
	s_cbranch_execz .LBB91_10
.LBB91_13:
	s_load_dwordx8 s[8:15], s[4:5], 0x20
	v_ashrrev_i32_e32 v33, 31, v32
	v_lshlrev_b64 v[2:3], 2, v[32:33]
	v_and_b32_e32 v33, 7, v0
	s_load_dwordx2 s[6:7], s[4:5], 0x40
	s_waitcnt lgkmcnt(0)
	v_mov_b32_e32 v1, s9
	v_add_co_u32_e32 v4, vcc, s8, v2
	v_addc_co_u32_e32 v5, vcc, v1, v3, vcc
	v_add_co_u32_e32 v1, vcc, 4, v4
	global_load_dword v8, v[4:5], off
	v_addc_co_u32_e32 v4, vcc, 0, v5, vcc
	v_mov_b32_e32 v5, s11
	v_add_co_u32_e32 v2, vcc, s10, v2
	s_cmp_eq_u64 s[10:11], 0
	v_addc_co_u32_e32 v3, vcc, v5, v3, vcc
	s_cselect_b64 vcc, -1, 0
	v_cndmask_b32_e32 v3, v3, v4, vcc
	v_cndmask_b32_e32 v2, v2, v1, vcc
	global_load_dword v1, v[2:3], off
	v_mov_b32_e32 v2, s15
	s_cmp_eq_u32 s1, 1
	s_waitcnt vmcnt(1)
	v_subrev_u32_e32 v0, s18, v8
	v_add_u32_e32 v34, v0, v33
	v_ashrrev_i32_e32 v35, 31, v34
	s_waitcnt vmcnt(0)
	v_subrev_u32_e32 v42, s18, v1
	v_lshlrev_b64 v[0:1], 5, v[34:35]
	v_add_co_u32_e32 v36, vcc, s14, v0
	v_addc_co_u32_e32 v37, vcc, v2, v1, vcc
	v_cmp_lt_i32_e64 s[0:1], v34, v42
	s_cbranch_scc1 .LBB91_25
; %bb.14:
	s_mov_b32 s10, 0
	v_mov_b32_e32 v39, 0
	v_mov_b32_e32 v38, 0
	;; [unrolled: 1-line block ×4, first 2 shown]
	s_and_saveexec_b64 s[8:9], s[0:1]
	s_cbranch_execz .LBB91_24
; %bb.15:
	v_add_u32_e32 v0, v8, v33
	v_subrev_u32_e32 v0, s18, v0
	v_add_u32_e32 v0, 8, v0
	v_max_i32_e32 v0, v0, v42
	v_not_b32_e32 v1, v8
	v_add3_u32 v0, v0, s18, v1
	v_sub_u32_e32 v0, v0, v33
	v_lshrrev_b32_e32 v1, 3, v0
	v_add_u32_e32 v1, 1, v1
	v_and_b32_e32 v1, 3, v1
	s_mov_b32 s11, s10
	v_cmp_ne_u32_e32 vcc, 0, v1
	v_pk_mov_b32 v[38:39], s[10:11], s[10:11] op_sel:[0,1]
	v_pk_mov_b32 v[40:41], s[10:11], s[10:11] op_sel:[0,1]
	v_mov_b32_e32 v4, v34
	v_pk_mov_b32 v[6:7], v[36:37], v[36:37] op_sel:[0,1]
	s_and_saveexec_b64 s[10:11], vcc
	s_cbranch_execz .LBB91_19
; %bb.16:
	v_mov_b32_e32 v40, 0
	v_lshlrev_b32_e32 v1, 5, v1
	s_mov_b64 s[14:15], 0
	v_mov_b32_e32 v2, s13
	v_mov_b32_e32 v3, s7
	v_pk_mov_b32 v[6:7], v[36:37], v[36:37] op_sel:[0,1]
	v_mov_b32_e32 v4, v34
	v_mov_b32_e32 v41, v40
	;; [unrolled: 1-line block ×4, first 2 shown]
.LBB91_17:                              ; =>This Inner Loop Header: Depth=1
	v_ashrrev_i32_e32 v5, 31, v4
	v_lshlrev_b64 v[10:11], 2, v[4:5]
	v_add_co_u32_e32 v18, vcc, s12, v10
	v_addc_co_u32_e32 v19, vcc, v2, v11, vcc
	global_load_dword v5, v[18:19], off
	global_load_dwordx4 v[10:13], v[6:7], off
	global_load_dwordx4 v[14:17], v[6:7], off offset:16
	v_subrev_u32_e32 v1, 32, v1
	v_add_u32_e32 v4, 8, v4
	s_waitcnt vmcnt(2)
	v_subrev_u32_e32 v5, s18, v5
	v_lshlrev_b32_e32 v18, 2, v5
	v_ashrrev_i32_e32 v19, 31, v18
	v_lshlrev_b64 v[18:19], 1, v[18:19]
	v_add_co_u32_e32 v18, vcc, s6, v18
	v_addc_co_u32_e32 v19, vcc, v3, v19, vcc
	global_load_dwordx2 v[18:19], v[18:19], off
	s_waitcnt vmcnt(2)
	v_cvt_f32_f16_e32 v21, v12
	v_cvt_f32_f16_e32 v20, v10
	v_cvt_f32_f16_sdwa v23, v12 dst_sel:DWORD dst_unused:UNUSED_PAD src0_sel:WORD_1
	v_cvt_f32_f16_sdwa v22, v10 dst_sel:DWORD dst_unused:UNUSED_PAD src0_sel:WORD_1
	v_cvt_f32_f16_e32 v24, v11
	v_cvt_f32_f16_sdwa v12, v11 dst_sel:DWORD dst_unused:UNUSED_PAD src0_sel:WORD_1
	s_waitcnt vmcnt(1)
	v_cvt_f32_f16_e32 v11, v16
	v_cvt_f32_f16_e32 v10, v14
	v_cvt_f32_f16_sdwa v26, v14 dst_sel:DWORD dst_unused:UNUSED_PAD src0_sel:WORD_1
	v_cvt_f32_f16_sdwa v27, v16 dst_sel:DWORD dst_unused:UNUSED_PAD src0_sel:WORD_1
	v_cvt_f32_f16_e32 v25, v13
	v_cvt_f32_f16_e32 v29, v17
	;; [unrolled: 1-line block ×3, first 2 shown]
	v_cvt_f32_f16_sdwa v13, v13 dst_sel:DWORD dst_unused:UNUSED_PAD src0_sel:WORD_1
	v_cvt_f32_f16_sdwa v17, v17 dst_sel:DWORD dst_unused:UNUSED_PAD src0_sel:WORD_1
	;; [unrolled: 1-line block ×3, first 2 shown]
	v_add_co_u32_e32 v6, vcc, 0x100, v6
	v_addc_co_u32_e32 v7, vcc, 0, v7, vcc
	v_cmp_eq_u32_e32 vcc, 0, v1
	s_or_b64 s[14:15], vcc, s[14:15]
	s_waitcnt vmcnt(0)
	v_cvt_f32_f16_e32 v14, v18
	v_cvt_f32_f16_sdwa v18, v18 dst_sel:DWORD dst_unused:UNUSED_PAD src0_sel:WORD_1
	v_cvt_f32_f16_e32 v30, v19
	v_cvt_f32_f16_sdwa v44, v19 dst_sel:DWORD dst_unused:UNUSED_PAD src0_sel:WORD_1
	v_pk_fma_f32 v[20:21], v[20:21], v[14:15], v[40:41] op_sel_hi:[1,0,1]
	v_pk_fma_f32 v[10:11], v[10:11], v[14:15], v[38:39] op_sel_hi:[1,0,1]
	;; [unrolled: 1-line block ×8, first 2 shown]
	s_andn2_b64 exec, exec, s[14:15]
	s_cbranch_execnz .LBB91_17
; %bb.18:
	s_or_b64 exec, exec, s[14:15]
.LBB91_19:
	s_or_b64 exec, exec, s[10:11]
	v_cmp_lt_u32_e32 vcc, 23, v0
	s_and_saveexec_b64 s[10:11], vcc
	s_cbranch_execz .LBB91_23
; %bb.20:
	s_mov_b64 s[14:15], 0
	v_mov_b32_e32 v9, s13
	v_mov_b32_e32 v10, s7
.LBB91_21:                              ; =>This Inner Loop Header: Depth=1
	global_load_dwordx4 v[0:3], v[6:7], off
	v_ashrrev_i32_e32 v5, 31, v4
	global_load_dwordx4 v[12:15], v[6:7], off offset:16
	global_load_dwordx4 v[16:19], v[6:7], off offset:256
	;; [unrolled: 1-line block ×7, first 2 shown]
	v_add_co_u32_e32 v6, vcc, 0x400, v6
	v_lshlrev_b64 v[52:53], 2, v[4:5]
	v_addc_co_u32_e32 v7, vcc, 0, v7, vcc
	v_add_co_u32_e32 v52, vcc, s12, v52
	v_addc_co_u32_e32 v53, vcc, v9, v53, vcc
	global_load_dword v5, v[52:53], off
	global_load_dword v11, v[52:53], off offset:32
	global_load_dword v35, v[52:53], off offset:64
	;; [unrolled: 1-line block ×3, first 2 shown]
	v_add_u32_e32 v4, 32, v4
	v_cmp_ge_i32_e32 vcc, v4, v42
	s_or_b64 s[14:15], vcc, s[14:15]
	s_waitcnt vmcnt(10)
	v_cvt_f32_f16_sdwa v58, v12 dst_sel:DWORD dst_unused:UNUSED_PAD src0_sel:WORD_1
	s_waitcnt vmcnt(9)
	v_cvt_f32_f16_sdwa v62, v16 dst_sel:DWORD dst_unused:UNUSED_PAD src0_sel:WORD_1
	v_cvt_f32_f16_sdwa v59, v14 dst_sel:DWORD dst_unused:UNUSED_PAD src0_sel:WORD_1
	v_cvt_f32_f16_e32 v61, v15
	v_cvt_f32_f16_e32 v52, v0
	v_cvt_f32_f16_sdwa v54, v0 dst_sel:DWORD dst_unused:UNUSED_PAD src0_sel:WORD_1
	v_cvt_f32_f16_e32 v0, v12
	v_cvt_f32_f16_e32 v12, v16
	;; [unrolled: 1-line block ×3, first 2 shown]
	v_cvt_f32_f16_sdwa v55, v2 dst_sel:DWORD dst_unused:UNUSED_PAD src0_sel:WORD_1
	v_cvt_f32_f16_e32 v56, v1
	v_cvt_f32_f16_sdwa v2, v1 dst_sel:DWORD dst_unused:UNUSED_PAD src0_sel:WORD_1
	v_cvt_f32_f16_e32 v1, v14
	s_waitcnt vmcnt(3)
	v_subrev_u32_e32 v5, s18, v5
	v_lshlrev_b32_e32 v66, 2, v5
	s_waitcnt vmcnt(2)
	v_subrev_u32_e32 v11, s18, v11
	v_ashrrev_i32_e32 v67, 31, v66
	v_lshlrev_b32_e32 v68, 2, v11
	v_lshlrev_b64 v[66:67], 1, v[66:67]
	s_waitcnt vmcnt(1)
	v_subrev_u32_e32 v16, s18, v35
	v_ashrrev_i32_e32 v69, 31, v68
	v_add_co_u32_e32 v66, vcc, s6, v66
	v_lshlrev_b32_e32 v70, 2, v16
	v_lshlrev_b64 v[68:69], 1, v[68:69]
	v_addc_co_u32_e32 v67, vcc, v10, v67, vcc
	s_waitcnt vmcnt(0)
	v_subrev_u32_e32 v35, s18, v43
	v_ashrrev_i32_e32 v71, 31, v70
	v_add_co_u32_e32 v68, vcc, s6, v68
	v_lshlrev_b32_e32 v72, 2, v35
	v_lshlrev_b64 v[70:71], 1, v[70:71]
	v_addc_co_u32_e32 v69, vcc, v10, v69, vcc
	v_ashrrev_i32_e32 v73, 31, v72
	v_add_co_u32_e32 v70, vcc, s6, v70
	v_lshlrev_b64 v[72:73], 1, v[72:73]
	v_addc_co_u32_e32 v71, vcc, v10, v71, vcc
	v_add_co_u32_e32 v72, vcc, s6, v72
	v_addc_co_u32_e32 v73, vcc, v10, v73, vcc
	global_load_dwordx2 v[74:75], v[66:67], off
	global_load_dwordx2 v[76:77], v[68:69], off
	;; [unrolled: 1-line block ×4, first 2 shown]
	v_cvt_f32_f16_e32 v16, v20
	v_cvt_f32_f16_sdwa v66, v20 dst_sel:DWORD dst_unused:UNUSED_PAD src0_sel:WORD_1
	v_cvt_f32_f16_e32 v20, v24
	v_cvt_f32_f16_sdwa v70, v24 dst_sel:DWORD dst_unused:UNUSED_PAD src0_sel:WORD_1
	v_cvt_f32_f16_e32 v24, v28
	v_cvt_f32_f16_sdwa v82, v28 dst_sel:DWORD dst_unused:UNUSED_PAD src0_sel:WORD_1
	v_cvt_f32_f16_e32 v28, v44
	v_cvt_f32_f16_sdwa v86, v44 dst_sel:DWORD dst_unused:UNUSED_PAD src0_sel:WORD_1
	v_cvt_f32_f16_e32 v44, v48
	v_cvt_f32_f16_sdwa v90, v48 dst_sel:DWORD dst_unused:UNUSED_PAD src0_sel:WORD_1
	v_cvt_f32_f16_e32 v57, v3
	v_cvt_f32_f16_e32 v60, v13
	v_cvt_f32_f16_sdwa v3, v3 dst_sel:DWORD dst_unused:UNUSED_PAD src0_sel:WORD_1
	v_cvt_f32_f16_sdwa v15, v15 dst_sel:DWORD dst_unused:UNUSED_PAD src0_sel:WORD_1
	v_cvt_f32_f16_sdwa v14, v13 dst_sel:DWORD dst_unused:UNUSED_PAD src0_sel:WORD_1
	v_cvt_f32_f16_e32 v13, v18
	v_cvt_f32_f16_sdwa v63, v18 dst_sel:DWORD dst_unused:UNUSED_PAD src0_sel:WORD_1
	v_cvt_f32_f16_e32 v64, v17
	v_cvt_f32_f16_sdwa v18, v17 dst_sel:DWORD dst_unused:UNUSED_PAD src0_sel:WORD_1
	v_cvt_f32_f16_e32 v17, v22
	v_cvt_f32_f16_sdwa v67, v22 dst_sel:DWORD dst_unused:UNUSED_PAD src0_sel:WORD_1
	v_cvt_f32_f16_e32 v65, v19
	v_cvt_f32_f16_e32 v69, v23
	v_cvt_f32_f16_e32 v68, v21
	v_cvt_f32_f16_sdwa v19, v19 dst_sel:DWORD dst_unused:UNUSED_PAD src0_sel:WORD_1
	v_cvt_f32_f16_sdwa v23, v23 dst_sel:DWORD dst_unused:UNUSED_PAD src0_sel:WORD_1
	v_cvt_f32_f16_sdwa v22, v21 dst_sel:DWORD dst_unused:UNUSED_PAD src0_sel:WORD_1
	v_cvt_f32_f16_e32 v21, v26
	v_cvt_f32_f16_sdwa v71, v26 dst_sel:DWORD dst_unused:UNUSED_PAD src0_sel:WORD_1
	v_cvt_f32_f16_e32 v72, v25
	v_cvt_f32_f16_sdwa v26, v25 dst_sel:DWORD dst_unused:UNUSED_PAD src0_sel:WORD_1
	v_cvt_f32_f16_e32 v25, v30
	v_cvt_f32_f16_sdwa v83, v30 dst_sel:DWORD dst_unused:UNUSED_PAD src0_sel:WORD_1
	v_cvt_f32_f16_e32 v73, v27
	;; [unrolled: 12-line block ×3, first 2 shown]
	v_cvt_f32_f16_e32 v93, v51
	v_cvt_f32_f16_e32 v92, v49
	v_cvt_f32_f16_sdwa v47, v47 dst_sel:DWORD dst_unused:UNUSED_PAD src0_sel:WORD_1
	v_cvt_f32_f16_sdwa v51, v51 dst_sel:DWORD dst_unused:UNUSED_PAD src0_sel:WORD_1
	;; [unrolled: 1-line block ×3, first 2 shown]
	s_waitcnt vmcnt(3)
	v_cvt_f32_f16_e32 v48, v74
	v_cvt_f32_f16_sdwa v74, v74 dst_sel:DWORD dst_unused:UNUSED_PAD src0_sel:WORD_1
	v_cvt_f32_f16_e32 v94, v75
	v_cvt_f32_f16_sdwa v96, v75 dst_sel:DWORD dst_unused:UNUSED_PAD src0_sel:WORD_1
	s_waitcnt vmcnt(2)
	v_cvt_f32_f16_e32 v98, v76
	v_pk_fma_f32 v[40:41], v[52:53], v[48:49], v[40:41] op_sel_hi:[1,0,1]
	v_pk_fma_f32 v[0:1], v[0:1], v[48:49], v[38:39] op_sel_hi:[1,0,1]
	v_cvt_f32_f16_sdwa v52, v76 dst_sel:DWORD dst_unused:UNUSED_PAD src0_sel:WORD_1
	v_pk_fma_f32 v[40:41], v[54:55], v[74:75], v[40:41] op_sel_hi:[1,0,1]
	v_pk_fma_f32 v[0:1], v[58:59], v[74:75], v[0:1] op_sel_hi:[1,0,1]
	v_cvt_f32_f16_e32 v38, v77
	v_pk_fma_f32 v[40:41], v[56:57], v[94:95], v[40:41] op_sel_hi:[1,0,1]
	v_pk_fma_f32 v[0:1], v[60:61], v[94:95], v[0:1] op_sel_hi:[1,0,1]
	v_cvt_f32_f16_sdwa v48, v77 dst_sel:DWORD dst_unused:UNUSED_PAD src0_sel:WORD_1
	v_pk_fma_f32 v[2:3], v[2:3], v[96:97], v[40:41] op_sel_hi:[1,0,1]
	v_pk_fma_f32 v[0:1], v[14:15], v[96:97], v[0:1] op_sel_hi:[1,0,1]
	s_waitcnt vmcnt(1)
	v_cvt_f32_f16_e32 v76, v78
	v_pk_fma_f32 v[2:3], v[12:13], v[98:99], v[2:3] op_sel_hi:[1,0,1]
	v_pk_fma_f32 v[0:1], v[16:17], v[98:99], v[0:1] op_sel_hi:[1,0,1]
	v_cvt_f32_f16_sdwa v54, v78 dst_sel:DWORD dst_unused:UNUSED_PAD src0_sel:WORD_1
	v_pk_fma_f32 v[2:3], v[62:63], v[52:53], v[2:3] op_sel_hi:[1,0,1]
	v_pk_fma_f32 v[0:1], v[66:67], v[52:53], v[0:1] op_sel_hi:[1,0,1]
	v_cvt_f32_f16_e32 v58, v79
	v_pk_fma_f32 v[2:3], v[64:65], v[38:39], v[2:3] op_sel_hi:[1,0,1]
	v_pk_fma_f32 v[0:1], v[68:69], v[38:39], v[0:1] op_sel_hi:[1,0,1]
	v_cvt_f32_f16_sdwa v74, v79 dst_sel:DWORD dst_unused:UNUSED_PAD src0_sel:WORD_1
	v_pk_fma_f32 v[2:3], v[18:19], v[48:49], v[2:3] op_sel_hi:[1,0,1]
	v_pk_fma_f32 v[0:1], v[22:23], v[48:49], v[0:1] op_sel_hi:[1,0,1]
	;; [unrolled: 13-line block ×3, first 2 shown]
	v_pk_fma_f32 v[2:3], v[28:29], v[78:79], v[2:3] op_sel_hi:[1,0,1]
	v_pk_fma_f32 v[0:1], v[44:45], v[78:79], v[0:1] op_sel_hi:[1,0,1]
	;; [unrolled: 1-line block ×8, first 2 shown]
	s_andn2_b64 exec, exec, s[14:15]
	s_cbranch_execnz .LBB91_21
; %bb.22:
	s_or_b64 exec, exec, s[14:15]
.LBB91_23:
	s_or_b64 exec, exec, s[10:11]
.LBB91_24:
	s_or_b64 exec, exec, s[8:9]
	s_cbranch_execz .LBB91_26
	s_branch .LBB91_37
.LBB91_25:
                                        ; implicit-def: $vgpr39
                                        ; implicit-def: $vgpr41
.LBB91_26:
	s_mov_b32 s10, 0
	v_mov_b32_e32 v39, 0
	v_mov_b32_e32 v38, 0
	v_mov_b32_e32 v41, 0
	v_mov_b32_e32 v40, 0
	s_and_saveexec_b64 s[8:9], s[0:1]
	s_cbranch_execz .LBB91_36
; %bb.27:
	v_add_u32_e32 v0, v8, v33
	v_subrev_u32_e32 v0, s18, v0
	v_add_u32_e32 v0, 8, v0
	v_max_i32_e32 v0, v0, v42
	v_not_b32_e32 v1, v8
	v_add3_u32 v0, v0, s18, v1
	v_sub_u32_e32 v0, v0, v33
	v_lshrrev_b32_e32 v1, 3, v0
	v_add_u32_e32 v1, 1, v1
	v_and_b32_e32 v1, 3, v1
	s_mov_b32 s11, s10
	v_cmp_ne_u32_e32 vcc, 0, v1
	v_pk_mov_b32 v[38:39], s[10:11], s[10:11] op_sel:[0,1]
	v_pk_mov_b32 v[40:41], s[10:11], s[10:11] op_sel:[0,1]
	s_and_saveexec_b64 s[0:1], vcc
	s_cbranch_execz .LBB91_31
; %bb.28:
	v_mov_b32_e32 v40, 0
	v_lshlrev_b32_e32 v1, 5, v1
	s_mov_b64 s[10:11], 0
	v_mov_b32_e32 v2, s13
	v_mov_b32_e32 v3, s7
	;; [unrolled: 1-line block ×5, first 2 shown]
.LBB91_29:                              ; =>This Inner Loop Header: Depth=1
	v_ashrrev_i32_e32 v35, 31, v34
	v_lshlrev_b64 v[4:5], 2, v[34:35]
	v_add_co_u32_e32 v8, vcc, s12, v4
	v_addc_co_u32_e32 v9, vcc, v2, v5, vcc
	global_load_dword v10, v[8:9], off
	global_load_dwordx4 v[4:7], v[36:37], off
	v_subrev_u32_e32 v1, 32, v1
	v_add_u32_e32 v34, 8, v34
	s_waitcnt vmcnt(1)
	v_subrev_u32_e32 v8, s18, v10
	v_lshlrev_b32_e32 v8, 2, v8
	v_ashrrev_i32_e32 v9, 31, v8
	v_lshlrev_b64 v[8:9], 1, v[8:9]
	v_add_co_u32_e32 v12, vcc, s6, v8
	v_addc_co_u32_e32 v13, vcc, v3, v9, vcc
	global_load_dwordx2 v[14:15], v[12:13], off
	global_load_dwordx4 v[8:11], v[36:37], off offset:16
	s_waitcnt vmcnt(2)
	v_cvt_f32_f16_sdwa v13, v4 dst_sel:DWORD dst_unused:UNUSED_PAD src0_sel:WORD_1
	v_cvt_f32_f16_e32 v12, v4
	v_cvt_f32_f16_sdwa v23, v5 dst_sel:DWORD dst_unused:UNUSED_PAD src0_sel:WORD_1
	v_cvt_f32_f16_e32 v22, v5
	;; [unrolled: 2-line block ×4, first 2 shown]
	v_add_co_u32_e32 v36, vcc, 0x100, v36
	v_addc_co_u32_e32 v37, vcc, 0, v37, vcc
	v_cmp_eq_u32_e32 vcc, 0, v1
	s_or_b64 s[10:11], vcc, s[10:11]
	s_waitcnt vmcnt(1)
	v_cvt_f32_f16_e32 v24, v15
	s_waitcnt vmcnt(0)
	v_cvt_f32_f16_sdwa v21, v10 dst_sel:DWORD dst_unused:UNUSED_PAD src0_sel:WORD_1
	v_cvt_f32_f16_e32 v20, v10
	v_cvt_f32_f16_e32 v10, v14
	v_cvt_f32_f16_sdwa v14, v14 dst_sel:DWORD dst_unused:UNUSED_PAD src0_sel:WORD_1
	v_cvt_f32_f16_sdwa v19, v8 dst_sel:DWORD dst_unused:UNUSED_PAD src0_sel:WORD_1
	v_cvt_f32_f16_e32 v18, v8
	v_cvt_f32_f16_sdwa v7, v9 dst_sel:DWORD dst_unused:UNUSED_PAD src0_sel:WORD_1
	v_cvt_f32_f16_e32 v6, v9
	;; [unrolled: 2-line block ×3, first 2 shown]
	v_cvt_f32_f16_sdwa v26, v15 dst_sel:DWORD dst_unused:UNUSED_PAD src0_sel:WORD_1
	v_pk_fma_f32 v[12:13], v[12:13], v[10:11], v[40:41] op_sel_hi:[1,0,1]
	v_pk_fma_f32 v[10:11], v[22:23], v[10:11], v[38:39] op_sel_hi:[1,0,1]
	;; [unrolled: 1-line block ×8, first 2 shown]
	s_andn2_b64 exec, exec, s[10:11]
	s_cbranch_execnz .LBB91_29
; %bb.30:
	s_or_b64 exec, exec, s[10:11]
.LBB91_31:
	s_or_b64 exec, exec, s[0:1]
	v_cmp_lt_u32_e32 vcc, 23, v0
	s_and_saveexec_b64 s[0:1], vcc
	s_cbranch_execz .LBB91_35
; %bb.32:
	s_mov_b64 s[10:11], 0
	v_mov_b32_e32 v43, s13
	v_mov_b32_e32 v44, s7
.LBB91_33:                              ; =>This Inner Loop Header: Depth=1
	global_load_dwordx4 v[0:3], v[36:37], off
	global_load_dwordx4 v[4:7], v[36:37], off offset:16
	global_load_dwordx4 v[8:11], v[36:37], off offset:256
	;; [unrolled: 1-line block ×7, first 2 shown]
	v_ashrrev_i32_e32 v35, 31, v34
	v_add_co_u32_e32 v36, vcc, 0x400, v36
	v_lshlrev_b64 v[46:47], 2, v[34:35]
	v_addc_co_u32_e32 v37, vcc, 0, v37, vcc
	v_add_co_u32_e32 v46, vcc, s12, v46
	v_addc_co_u32_e32 v47, vcc, v43, v47, vcc
	global_load_dword v35, v[46:47], off
	global_load_dword v45, v[46:47], off offset:32
	global_load_dword v62, v[46:47], off offset:64
	;; [unrolled: 1-line block ×3, first 2 shown]
	v_add_u32_e32 v34, 32, v34
	v_cmp_ge_i32_e32 vcc, v34, v42
	s_or_b64 s[10:11], vcc, s[10:11]
	s_waitcnt vmcnt(11)
	v_cvt_f32_f16_sdwa v47, v0 dst_sel:DWORD dst_unused:UNUSED_PAD src0_sel:WORD_1
	v_cvt_f32_f16_e32 v46, v0
	v_cvt_f32_f16_sdwa v49, v2 dst_sel:DWORD dst_unused:UNUSED_PAD src0_sel:WORD_1
	v_cvt_f32_f16_e32 v48, v2
	s_waitcnt vmcnt(10)
	v_cvt_f32_f16_sdwa v51, v4 dst_sel:DWORD dst_unused:UNUSED_PAD src0_sel:WORD_1
	v_cvt_f32_f16_e32 v50, v4
	v_cvt_f32_f16_sdwa v53, v6 dst_sel:DWORD dst_unused:UNUSED_PAD src0_sel:WORD_1
	v_cvt_f32_f16_e32 v52, v6
	;; [unrolled: 2-line block ×6, first 2 shown]
	s_waitcnt vmcnt(9)
	v_cvt_f32_f16_sdwa v7, v8 dst_sel:DWORD dst_unused:UNUSED_PAD src0_sel:WORD_1
	v_cvt_f32_f16_e32 v6, v8
	s_waitcnt vmcnt(3)
	v_subrev_u32_e32 v8, s18, v35
	v_cvt_f32_f16_sdwa v61, v14 dst_sel:DWORD dst_unused:UNUSED_PAD src0_sel:WORD_1
	v_cvt_f32_f16_e32 v60, v14
	s_waitcnt vmcnt(0)
	v_subrev_u32_e32 v14, s18, v64
	v_lshlrev_b32_e32 v64, 2, v8
	v_cvt_f32_f16_sdwa v57, v10 dst_sel:DWORD dst_unused:UNUSED_PAD src0_sel:WORD_1
	v_cvt_f32_f16_e32 v56, v10
	v_subrev_u32_e32 v10, s18, v45
	v_ashrrev_i32_e32 v65, 31, v64
	v_lshlrev_b32_e32 v66, 2, v10
	v_lshlrev_b64 v[64:65], 1, v[64:65]
	v_cvt_f32_f16_sdwa v59, v12 dst_sel:DWORD dst_unused:UNUSED_PAD src0_sel:WORD_1
	v_cvt_f32_f16_e32 v58, v12
	v_subrev_u32_e32 v12, s18, v62
	v_ashrrev_i32_e32 v67, 31, v66
	v_add_co_u32_e32 v64, vcc, s6, v64
	v_lshlrev_b32_e32 v68, 2, v12
	v_lshlrev_b64 v[66:67], 1, v[66:67]
	v_addc_co_u32_e32 v65, vcc, v44, v65, vcc
	v_ashrrev_i32_e32 v69, 31, v68
	v_add_co_u32_e32 v66, vcc, s6, v66
	v_lshlrev_b32_e32 v70, 2, v14
	v_lshlrev_b64 v[68:69], 1, v[68:69]
	v_addc_co_u32_e32 v67, vcc, v44, v67, vcc
	v_ashrrev_i32_e32 v71, 31, v70
	v_add_co_u32_e32 v68, vcc, s6, v68
	v_lshlrev_b64 v[70:71], 1, v[70:71]
	v_addc_co_u32_e32 v69, vcc, v44, v69, vcc
	v_add_co_u32_e32 v70, vcc, s6, v70
	v_addc_co_u32_e32 v71, vcc, v44, v71, vcc
	global_load_dwordx2 v[72:73], v[64:65], off
	global_load_dwordx2 v[74:75], v[66:67], off
	;; [unrolled: 1-line block ×4, first 2 shown]
	v_cvt_f32_f16_sdwa v85, v26 dst_sel:DWORD dst_unused:UNUSED_PAD src0_sel:WORD_1
	v_cvt_f32_f16_e32 v84, v26
	v_cvt_f32_f16_sdwa v63, v9 dst_sel:DWORD dst_unused:UNUSED_PAD src0_sel:WORD_1
	v_cvt_f32_f16_e32 v62, v9
	;; [unrolled: 2-line block ×20, first 2 shown]
	s_waitcnt vmcnt(3)
	v_cvt_f32_f16_e32 v26, v72
	v_cvt_f32_f16_sdwa v72, v72 dst_sel:DWORD dst_unused:UNUSED_PAD src0_sel:WORD_1
	v_cvt_f32_f16_e32 v88, v73
	v_cvt_f32_f16_sdwa v90, v73 dst_sel:DWORD dst_unused:UNUSED_PAD src0_sel:WORD_1
	s_waitcnt vmcnt(2)
	v_cvt_f32_f16_e32 v92, v74
	v_pk_fma_f32 v[40:41], v[46:47], v[26:27], v[40:41] op_sel_hi:[1,0,1]
	v_pk_fma_f32 v[26:27], v[54:55], v[26:27], v[38:39] op_sel_hi:[1,0,1]
	v_cvt_f32_f16_sdwa v46, v74 dst_sel:DWORD dst_unused:UNUSED_PAD src0_sel:WORD_1
	v_pk_fma_f32 v[40:41], v[48:49], v[72:73], v[40:41] op_sel_hi:[1,0,1]
	v_pk_fma_f32 v[0:1], v[0:1], v[72:73], v[26:27] op_sel_hi:[1,0,1]
	v_cvt_f32_f16_e32 v38, v75
	v_pk_fma_f32 v[40:41], v[50:51], v[88:89], v[40:41] op_sel_hi:[1,0,1]
	v_pk_fma_f32 v[0:1], v[2:3], v[88:89], v[0:1] op_sel_hi:[1,0,1]
	v_cvt_f32_f16_sdwa v54, v75 dst_sel:DWORD dst_unused:UNUSED_PAD src0_sel:WORD_1
	v_pk_fma_f32 v[40:41], v[52:53], v[90:91], v[40:41] op_sel_hi:[1,0,1]
	v_pk_fma_f32 v[0:1], v[4:5], v[90:91], v[0:1] op_sel_hi:[1,0,1]
	s_waitcnt vmcnt(1)
	v_cvt_f32_f16_e32 v74, v76
	v_pk_fma_f32 v[4:5], v[6:7], v[92:93], v[40:41] op_sel_hi:[1,0,1]
	v_pk_fma_f32 v[0:1], v[62:63], v[92:93], v[0:1] op_sel_hi:[1,0,1]
	v_cvt_f32_f16_sdwa v48, v76 dst_sel:DWORD dst_unused:UNUSED_PAD src0_sel:WORD_1
	v_pk_fma_f32 v[4:5], v[56:57], v[46:47], v[4:5] op_sel_hi:[1,0,1]
	v_pk_fma_f32 v[0:1], v[8:9], v[46:47], v[0:1] op_sel_hi:[1,0,1]
	v_cvt_f32_f16_e32 v26, v77
	v_pk_fma_f32 v[4:5], v[58:59], v[38:39], v[4:5] op_sel_hi:[1,0,1]
	v_pk_fma_f32 v[0:1], v[10:11], v[38:39], v[0:1] op_sel_hi:[1,0,1]
	v_cvt_f32_f16_sdwa v72, v77 dst_sel:DWORD dst_unused:UNUSED_PAD src0_sel:WORD_1
	v_pk_fma_f32 v[4:5], v[60:61], v[54:55], v[4:5] op_sel_hi:[1,0,1]
	v_pk_fma_f32 v[0:1], v[12:13], v[54:55], v[0:1] op_sel_hi:[1,0,1]
	;; [unrolled: 13-line block ×3, first 2 shown]
	v_pk_fma_f32 v[4:5], v[22:23], v[76:77], v[4:5] op_sel_hi:[1,0,1]
	v_pk_fma_f32 v[0:1], v[82:83], v[76:77], v[0:1] op_sel_hi:[1,0,1]
	v_pk_fma_f32 v[4:5], v[80:81], v[50:51], v[4:5] op_sel_hi:[1,0,1]
	v_pk_fma_f32 v[0:1], v[28:29], v[50:51], v[0:1] op_sel_hi:[1,0,1]
	v_pk_fma_f32 v[4:5], v[30:31], v[2:3], v[4:5] op_sel_hi:[1,0,1]
	v_pk_fma_f32 v[0:1], v[86:87], v[2:3], v[0:1] op_sel_hi:[1,0,1]
	v_pk_fma_f32 v[40:41], v[84:85], v[78:79], v[4:5] op_sel_hi:[1,0,1]
	v_pk_fma_f32 v[38:39], v[24:25], v[78:79], v[0:1] op_sel_hi:[1,0,1]
	s_andn2_b64 exec, exec, s[10:11]
	s_cbranch_execnz .LBB91_33
; %bb.34:
	s_or_b64 exec, exec, s[10:11]
.LBB91_35:
	s_or_b64 exec, exec, s[0:1]
.LBB91_36:
	s_or_b64 exec, exec, s[8:9]
.LBB91_37:
	v_mov_b32_dpp v0, v40 row_shr:1 row_mask:0xf bank_mask:0xf
	v_mov_b32_dpp v1, v41 row_shr:1 row_mask:0xf bank_mask:0xf
	;; [unrolled: 1-line block ×4, first 2 shown]
	v_pk_add_f32 v[0:1], v[40:41], v[0:1]
	v_pk_add_f32 v[4:5], v[38:39], v[4:5]
	v_cmp_eq_u32_e32 vcc, 7, v33
	v_mov_b32_dpp v2, v0 row_shr:2 row_mask:0xf bank_mask:0xf
	v_mov_b32_dpp v3, v1 row_shr:2 row_mask:0xf bank_mask:0xf
	;; [unrolled: 1-line block ×4, first 2 shown]
	v_pk_add_f32 v[0:1], v[0:1], v[2:3]
	v_pk_add_f32 v[4:5], v[4:5], v[6:7]
	s_nop 0
	v_mov_b32_dpp v2, v0 row_shr:4 row_mask:0xf bank_mask:0xe
	v_mov_b32_dpp v3, v1 row_shr:4 row_mask:0xf bank_mask:0xe
	;; [unrolled: 1-line block ×4, first 2 shown]
	s_and_b64 exec, exec, vcc
	s_cbranch_execz .LBB91_10
; %bb.38:
	s_load_dwordx2 s[0:1], s[4:5], 0x50
	v_cmp_eq_f32_e64 s[4:5], s16, 0
	v_pk_add_f32 v[2:3], v[0:1], v[2:3]
	v_pk_add_f32 v[0:1], v[4:5], v[6:7]
	s_and_b64 vcc, exec, s[4:5]
	v_lshlrev_b32_e32 v4, 2, v32
	s_cbranch_vccz .LBB91_40
; %bb.39:
	v_ashrrev_i32_e32 v5, 31, v4
	v_lshlrev_b64 v[6:7], 2, v[4:5]
	s_waitcnt lgkmcnt(0)
	v_mov_b32_e32 v5, s1
	v_add_co_u32_e32 v10, vcc, s0, v6
	v_addc_co_u32_e32 v11, vcc, v5, v7, vcc
	v_pk_mul_f32 v[6:7], s[2:3], v[2:3] op_sel_hi:[0,1]
	v_pk_mul_f32 v[8:9], s[2:3], v[0:1] op_sel_hi:[0,1]
	global_store_dwordx4 v[10:11], v[6:9], off
	s_cbranch_execnz .LBB91_10
	s_branch .LBB91_41
.LBB91_40:
.LBB91_41:
	v_ashrrev_i32_e32 v5, 31, v4
	v_lshlrev_b64 v[4:5], 2, v[4:5]
	s_waitcnt lgkmcnt(0)
	v_mov_b32_e32 v6, s1
	v_add_co_u32_e32 v8, vcc, s0, v4
	v_addc_co_u32_e32 v9, vcc, v6, v5, vcc
	global_load_dwordx4 v[4:7], v[8:9], off
	v_pk_mul_f32 v[2:3], s[2:3], v[2:3] op_sel_hi:[0,1]
	v_pk_mul_f32 v[10:11], s[2:3], v[0:1] op_sel_hi:[0,1]
	s_waitcnt vmcnt(0)
	v_pk_fma_f32 v[0:1], s[16:17], v[4:5], v[2:3] op_sel_hi:[0,1,1]
	v_pk_fma_f32 v[2:3], s[16:17], v[6:7], v[10:11] op_sel_hi:[0,1,1]
	global_store_dwordx4 v[8:9], v[0:3], off
	s_endpgm
	.section	.rodata,"a",@progbits
	.p2align	6, 0x0
	.amdhsa_kernel _ZN9rocsparseL18bsrxmvn_4x4_kernelILj128ELj8EfiiDF16_DF16_fEEvT3_20rocsparse_direction_NS_24const_host_device_scalarIT1_EES1_PKS1_PKT2_SA_S7_PKT4_PKT5_S5_PT6_21rocsparse_index_base_b
		.amdhsa_group_segment_fixed_size 0
		.amdhsa_private_segment_fixed_size 0
		.amdhsa_kernarg_size 96
		.amdhsa_user_sgpr_count 6
		.amdhsa_user_sgpr_private_segment_buffer 1
		.amdhsa_user_sgpr_dispatch_ptr 0
		.amdhsa_user_sgpr_queue_ptr 0
		.amdhsa_user_sgpr_kernarg_segment_ptr 1
		.amdhsa_user_sgpr_dispatch_id 0
		.amdhsa_user_sgpr_flat_scratch_init 0
		.amdhsa_user_sgpr_kernarg_preload_length 0
		.amdhsa_user_sgpr_kernarg_preload_offset 0
		.amdhsa_user_sgpr_private_segment_size 0
		.amdhsa_uses_dynamic_stack 0
		.amdhsa_system_sgpr_private_segment_wavefront_offset 0
		.amdhsa_system_sgpr_workgroup_id_x 1
		.amdhsa_system_sgpr_workgroup_id_y 0
		.amdhsa_system_sgpr_workgroup_id_z 0
		.amdhsa_system_sgpr_workgroup_info 0
		.amdhsa_system_vgpr_workitem_id 0
		.amdhsa_next_free_vgpr 100
		.amdhsa_next_free_sgpr 20
		.amdhsa_accum_offset 100
		.amdhsa_reserve_vcc 1
		.amdhsa_reserve_flat_scratch 0
		.amdhsa_float_round_mode_32 0
		.amdhsa_float_round_mode_16_64 0
		.amdhsa_float_denorm_mode_32 3
		.amdhsa_float_denorm_mode_16_64 3
		.amdhsa_dx10_clamp 1
		.amdhsa_ieee_mode 1
		.amdhsa_fp16_overflow 0
		.amdhsa_tg_split 0
		.amdhsa_exception_fp_ieee_invalid_op 0
		.amdhsa_exception_fp_denorm_src 0
		.amdhsa_exception_fp_ieee_div_zero 0
		.amdhsa_exception_fp_ieee_overflow 0
		.amdhsa_exception_fp_ieee_underflow 0
		.amdhsa_exception_fp_ieee_inexact 0
		.amdhsa_exception_int_div_zero 0
	.end_amdhsa_kernel
	.section	.text._ZN9rocsparseL18bsrxmvn_4x4_kernelILj128ELj8EfiiDF16_DF16_fEEvT3_20rocsparse_direction_NS_24const_host_device_scalarIT1_EES1_PKS1_PKT2_SA_S7_PKT4_PKT5_S5_PT6_21rocsparse_index_base_b,"axG",@progbits,_ZN9rocsparseL18bsrxmvn_4x4_kernelILj128ELj8EfiiDF16_DF16_fEEvT3_20rocsparse_direction_NS_24const_host_device_scalarIT1_EES1_PKS1_PKT2_SA_S7_PKT4_PKT5_S5_PT6_21rocsparse_index_base_b,comdat
.Lfunc_end91:
	.size	_ZN9rocsparseL18bsrxmvn_4x4_kernelILj128ELj8EfiiDF16_DF16_fEEvT3_20rocsparse_direction_NS_24const_host_device_scalarIT1_EES1_PKS1_PKT2_SA_S7_PKT4_PKT5_S5_PT6_21rocsparse_index_base_b, .Lfunc_end91-_ZN9rocsparseL18bsrxmvn_4x4_kernelILj128ELj8EfiiDF16_DF16_fEEvT3_20rocsparse_direction_NS_24const_host_device_scalarIT1_EES1_PKS1_PKT2_SA_S7_PKT4_PKT5_S5_PT6_21rocsparse_index_base_b
                                        ; -- End function
	.section	.AMDGPU.csdata,"",@progbits
; Kernel info:
; codeLenInByte = 3920
; NumSgprs: 24
; NumVgprs: 100
; NumAgprs: 0
; TotalNumVgprs: 100
; ScratchSize: 0
; MemoryBound: 0
; FloatMode: 240
; IeeeMode: 1
; LDSByteSize: 0 bytes/workgroup (compile time only)
; SGPRBlocks: 2
; VGPRBlocks: 12
; NumSGPRsForWavesPerEU: 24
; NumVGPRsForWavesPerEU: 100
; AccumOffset: 100
; Occupancy: 4
; WaveLimiterHint : 1
; COMPUTE_PGM_RSRC2:SCRATCH_EN: 0
; COMPUTE_PGM_RSRC2:USER_SGPR: 6
; COMPUTE_PGM_RSRC2:TRAP_HANDLER: 0
; COMPUTE_PGM_RSRC2:TGID_X_EN: 1
; COMPUTE_PGM_RSRC2:TGID_Y_EN: 0
; COMPUTE_PGM_RSRC2:TGID_Z_EN: 0
; COMPUTE_PGM_RSRC2:TIDIG_COMP_CNT: 0
; COMPUTE_PGM_RSRC3_GFX90A:ACCUM_OFFSET: 24
; COMPUTE_PGM_RSRC3_GFX90A:TG_SPLIT: 0
	.section	.text._ZN9rocsparseL18bsrxmvn_4x4_kernelILj128ELj16EfiiDF16_DF16_fEEvT3_20rocsparse_direction_NS_24const_host_device_scalarIT1_EES1_PKS1_PKT2_SA_S7_PKT4_PKT5_S5_PT6_21rocsparse_index_base_b,"axG",@progbits,_ZN9rocsparseL18bsrxmvn_4x4_kernelILj128ELj16EfiiDF16_DF16_fEEvT3_20rocsparse_direction_NS_24const_host_device_scalarIT1_EES1_PKS1_PKT2_SA_S7_PKT4_PKT5_S5_PT6_21rocsparse_index_base_b,comdat
	.globl	_ZN9rocsparseL18bsrxmvn_4x4_kernelILj128ELj16EfiiDF16_DF16_fEEvT3_20rocsparse_direction_NS_24const_host_device_scalarIT1_EES1_PKS1_PKT2_SA_S7_PKT4_PKT5_S5_PT6_21rocsparse_index_base_b ; -- Begin function _ZN9rocsparseL18bsrxmvn_4x4_kernelILj128ELj16EfiiDF16_DF16_fEEvT3_20rocsparse_direction_NS_24const_host_device_scalarIT1_EES1_PKS1_PKT2_SA_S7_PKT4_PKT5_S5_PT6_21rocsparse_index_base_b
	.p2align	8
	.type	_ZN9rocsparseL18bsrxmvn_4x4_kernelILj128ELj16EfiiDF16_DF16_fEEvT3_20rocsparse_direction_NS_24const_host_device_scalarIT1_EES1_PKS1_PKT2_SA_S7_PKT4_PKT5_S5_PT6_21rocsparse_index_base_b,@function
_ZN9rocsparseL18bsrxmvn_4x4_kernelILj128ELj16EfiiDF16_DF16_fEEvT3_20rocsparse_direction_NS_24const_host_device_scalarIT1_EES1_PKS1_PKT2_SA_S7_PKT4_PKT5_S5_PT6_21rocsparse_index_base_b: ; @_ZN9rocsparseL18bsrxmvn_4x4_kernelILj128ELj16EfiiDF16_DF16_fEEvT3_20rocsparse_direction_NS_24const_host_device_scalarIT1_EES1_PKS1_PKT2_SA_S7_PKT4_PKT5_S5_PT6_21rocsparse_index_base_b
; %bb.0:
	s_load_dwordx2 s[18:19], s[4:5], 0x58
	s_load_dwordx2 s[2:3], s[4:5], 0x8
	;; [unrolled: 1-line block ×3, first 2 shown]
	s_waitcnt lgkmcnt(0)
	s_bitcmp1_b32 s19, 0
	s_cselect_b64 s[8:9], -1, 0
	s_xor_b64 s[0:1], s[8:9], -1
	s_and_b64 vcc, exec, s[8:9]
	s_cbranch_vccnz .LBB92_2
; %bb.1:
	s_load_dword s2, s[2:3], 0x0
.LBB92_2:
	s_andn2_b64 vcc, exec, s[0:1]
	s_cbranch_vccnz .LBB92_4
; %bb.3:
	s_load_dword s16, s[16:17], 0x0
.LBB92_4:
	s_waitcnt lgkmcnt(0)
	v_cmp_neq_f32_e64 s[0:1], s2, 0
	v_cmp_neq_f32_e64 s[8:9], s16, 1.0
	s_or_b64 s[0:1], s[0:1], s[8:9]
	s_andn2_b64 vcc, exec, s[0:1]
	s_cbranch_vccnz .LBB92_10
; %bb.5:
	s_load_dwordx2 s[8:9], s[4:5], 0x18
	s_load_dwordx2 s[0:1], s[4:5], 0x0
	v_lshrrev_b32_e32 v1, 4, v0
	v_lshl_or_b32 v32, s6, 3, v1
	s_mov_b64 s[6:7], 0
	s_waitcnt lgkmcnt(0)
	s_cmp_lg_u64 s[8:9], 0
	s_cbranch_scc0 .LBB92_11
; %bb.6:
	s_load_dword s3, s[4:5], 0x10
                                        ; implicit-def: $vgpr1
	s_waitcnt lgkmcnt(0)
	v_cmp_gt_i32_e32 vcc, s3, v32
	s_and_saveexec_b64 s[10:11], vcc
	s_xor_b64 s[10:11], exec, s[10:11]
	s_cbranch_execz .LBB92_8
; %bb.7:
	v_ashrrev_i32_e32 v33, 31, v32
	v_lshlrev_b64 v[2:3], 2, v[32:33]
	v_mov_b32_e32 v1, s9
	v_add_co_u32_e32 v2, vcc, s8, v2
	v_addc_co_u32_e32 v3, vcc, v1, v3, vcc
	global_load_dword v1, v[2:3], off
	s_mov_b64 s[6:7], exec
	s_waitcnt vmcnt(0)
	v_subrev_u32_e32 v1, s18, v1
.LBB92_8:
	s_or_b64 exec, exec, s[10:11]
	s_branch .LBB92_12
.LBB92_9:
	v_cmp_gt_i32_e32 vcc, s0, v32
	s_andn2_b64 s[6:7], s[6:7], exec
	s_and_b64 s[8:9], vcc, exec
	s_or_b64 s[6:7], s[6:7], s[8:9]
	s_and_saveexec_b64 s[8:9], s[6:7]
	s_cbranch_execnz .LBB92_13
.LBB92_10:
	s_endpgm
.LBB92_11:
                                        ; implicit-def: $vgpr1
	s_cbranch_execnz .LBB92_9
.LBB92_12:
	v_mov_b32_e32 v32, v1
	s_and_saveexec_b64 s[8:9], s[6:7]
	s_cbranch_execz .LBB92_10
.LBB92_13:
	s_load_dwordx8 s[8:15], s[4:5], 0x20
	v_ashrrev_i32_e32 v33, 31, v32
	v_lshlrev_b64 v[2:3], 2, v[32:33]
	v_and_b32_e32 v33, 15, v0
	s_load_dwordx2 s[6:7], s[4:5], 0x40
	s_waitcnt lgkmcnt(0)
	v_mov_b32_e32 v1, s9
	v_add_co_u32_e32 v4, vcc, s8, v2
	v_addc_co_u32_e32 v5, vcc, v1, v3, vcc
	v_add_co_u32_e32 v1, vcc, 4, v4
	global_load_dword v8, v[4:5], off
	v_addc_co_u32_e32 v4, vcc, 0, v5, vcc
	v_mov_b32_e32 v5, s11
	v_add_co_u32_e32 v2, vcc, s10, v2
	s_cmp_eq_u64 s[10:11], 0
	v_addc_co_u32_e32 v3, vcc, v5, v3, vcc
	s_cselect_b64 vcc, -1, 0
	v_cndmask_b32_e32 v3, v3, v4, vcc
	v_cndmask_b32_e32 v2, v2, v1, vcc
	global_load_dword v1, v[2:3], off
	v_mov_b32_e32 v2, s15
	s_cmp_eq_u32 s1, 1
	s_waitcnt vmcnt(1)
	v_subrev_u32_e32 v0, s18, v8
	v_add_u32_e32 v34, v0, v33
	v_ashrrev_i32_e32 v35, 31, v34
	s_waitcnt vmcnt(0)
	v_subrev_u32_e32 v42, s18, v1
	v_lshlrev_b64 v[0:1], 5, v[34:35]
	v_add_co_u32_e32 v36, vcc, s14, v0
	v_addc_co_u32_e32 v37, vcc, v2, v1, vcc
	v_cmp_lt_i32_e64 s[0:1], v34, v42
	s_cbranch_scc1 .LBB92_25
; %bb.14:
	v_mov_b32_e32 v39, 0
	v_mov_b32_e32 v38, 0
	;; [unrolled: 1-line block ×4, first 2 shown]
	s_and_saveexec_b64 s[8:9], s[0:1]
	s_cbranch_execz .LBB92_24
; %bb.15:
	v_add_u32_e32 v0, v8, v33
	v_subrev_u32_e32 v0, s18, v0
	v_add_u32_e32 v0, 16, v0
	v_max_i32_e32 v0, v0, v42
	v_not_b32_e32 v1, v8
	v_add3_u32 v0, v0, s18, v1
	v_sub_u32_e32 v0, v0, v33
	v_lshrrev_b32_e32 v1, 4, v0
	v_add_u32_e32 v1, 1, v1
	v_and_b32_e32 v1, 3, v1
	v_mov_b32_e32 v40, 0
	v_cmp_ne_u32_e32 vcc, 0, v1
	v_mov_b32_e32 v41, v40
	v_mov_b32_e32 v38, v40
	;; [unrolled: 1-line block ×4, first 2 shown]
	v_pk_mov_b32 v[6:7], v[36:37], v[36:37] op_sel:[0,1]
	s_and_saveexec_b64 s[10:11], vcc
	s_cbranch_execz .LBB92_19
; %bb.16:
	v_mov_b32_e32 v39, 0
	v_lshlrev_b32_e32 v1, 5, v1
	s_mov_b64 s[14:15], 0
	v_mov_b32_e32 v2, s13
	v_mov_b32_e32 v3, s7
	v_pk_mov_b32 v[6:7], v[36:37], v[36:37] op_sel:[0,1]
	v_mov_b32_e32 v4, v34
	v_mov_b32_e32 v38, v39
	;; [unrolled: 1-line block ×4, first 2 shown]
.LBB92_17:                              ; =>This Inner Loop Header: Depth=1
	v_ashrrev_i32_e32 v5, 31, v4
	v_lshlrev_b64 v[10:11], 2, v[4:5]
	v_add_co_u32_e32 v18, vcc, s12, v10
	v_addc_co_u32_e32 v19, vcc, v2, v11, vcc
	global_load_dword v5, v[18:19], off
	global_load_dwordx4 v[10:13], v[6:7], off
	global_load_dwordx4 v[14:17], v[6:7], off offset:16
	v_subrev_u32_e32 v1, 32, v1
	v_add_u32_e32 v4, 16, v4
	s_waitcnt vmcnt(2)
	v_subrev_u32_e32 v5, s18, v5
	v_lshlrev_b32_e32 v18, 2, v5
	v_ashrrev_i32_e32 v19, 31, v18
	v_lshlrev_b64 v[18:19], 1, v[18:19]
	v_add_co_u32_e32 v18, vcc, s6, v18
	v_addc_co_u32_e32 v19, vcc, v3, v19, vcc
	global_load_dwordx2 v[18:19], v[18:19], off
	s_waitcnt vmcnt(2)
	v_cvt_f32_f16_e32 v20, v10
	v_cvt_f32_f16_e32 v21, v12
	v_cvt_f32_f16_sdwa v23, v12 dst_sel:DWORD dst_unused:UNUSED_PAD src0_sel:WORD_1
	v_cvt_f32_f16_sdwa v22, v10 dst_sel:DWORD dst_unused:UNUSED_PAD src0_sel:WORD_1
	v_cvt_f32_f16_e32 v24, v11
	v_cvt_f32_f16_sdwa v12, v11 dst_sel:DWORD dst_unused:UNUSED_PAD src0_sel:WORD_1
	s_waitcnt vmcnt(1)
	v_cvt_f32_f16_e32 v10, v14
	v_cvt_f32_f16_e32 v11, v16
	v_cvt_f32_f16_sdwa v26, v14 dst_sel:DWORD dst_unused:UNUSED_PAD src0_sel:WORD_1
	v_cvt_f32_f16_sdwa v27, v16 dst_sel:DWORD dst_unused:UNUSED_PAD src0_sel:WORD_1
	v_cvt_f32_f16_e32 v25, v13
	v_cvt_f32_f16_e32 v29, v17
	v_cvt_f32_f16_e32 v28, v15
	v_cvt_f32_f16_sdwa v13, v13 dst_sel:DWORD dst_unused:UNUSED_PAD src0_sel:WORD_1
	v_cvt_f32_f16_sdwa v17, v17 dst_sel:DWORD dst_unused:UNUSED_PAD src0_sel:WORD_1
	;; [unrolled: 1-line block ×3, first 2 shown]
	v_add_co_u32_e32 v6, vcc, 0x200, v6
	v_addc_co_u32_e32 v7, vcc, 0, v7, vcc
	v_cmp_eq_u32_e32 vcc, 0, v1
	s_or_b64 s[14:15], vcc, s[14:15]
	s_waitcnt vmcnt(0)
	v_cvt_f32_f16_e32 v14, v18
	v_cvt_f32_f16_sdwa v18, v18 dst_sel:DWORD dst_unused:UNUSED_PAD src0_sel:WORD_1
	v_cvt_f32_f16_e32 v30, v19
	v_cvt_f32_f16_sdwa v44, v19 dst_sel:DWORD dst_unused:UNUSED_PAD src0_sel:WORD_1
	v_pk_fma_f32 v[20:21], v[20:21], v[14:15], v[40:41] op_sel_hi:[1,0,1]
	v_pk_fma_f32 v[10:11], v[10:11], v[14:15], v[38:39] op_sel_hi:[1,0,1]
	;; [unrolled: 1-line block ×8, first 2 shown]
	s_andn2_b64 exec, exec, s[14:15]
	s_cbranch_execnz .LBB92_17
; %bb.18:
	s_or_b64 exec, exec, s[14:15]
.LBB92_19:
	s_or_b64 exec, exec, s[10:11]
	v_cmp_lt_u32_e32 vcc, 47, v0
	s_and_saveexec_b64 s[10:11], vcc
	s_cbranch_execz .LBB92_23
; %bb.20:
	s_mov_b64 s[14:15], 0
	v_mov_b32_e32 v9, s13
	v_mov_b32_e32 v10, s7
.LBB92_21:                              ; =>This Inner Loop Header: Depth=1
	global_load_dwordx4 v[0:3], v[6:7], off
	v_ashrrev_i32_e32 v5, 31, v4
	global_load_dwordx4 v[12:15], v[6:7], off offset:16
	global_load_dwordx4 v[16:19], v[6:7], off offset:512
	;; [unrolled: 1-line block ×7, first 2 shown]
	v_add_co_u32_e32 v6, vcc, 0x800, v6
	v_lshlrev_b64 v[52:53], 2, v[4:5]
	v_addc_co_u32_e32 v7, vcc, 0, v7, vcc
	v_add_co_u32_e32 v52, vcc, s12, v52
	v_addc_co_u32_e32 v53, vcc, v9, v53, vcc
	global_load_dword v5, v[52:53], off
	global_load_dword v11, v[52:53], off offset:64
	global_load_dword v35, v[52:53], off offset:128
	;; [unrolled: 1-line block ×3, first 2 shown]
	v_add_u32_e32 v4, 64, v4
	v_cmp_ge_i32_e32 vcc, v4, v42
	s_or_b64 s[14:15], vcc, s[14:15]
	s_waitcnt vmcnt(10)
	v_cvt_f32_f16_sdwa v59, v14 dst_sel:DWORD dst_unused:UNUSED_PAD src0_sel:WORD_1
	v_cvt_f32_f16_e32 v60, v13
	s_waitcnt vmcnt(9)
	v_cvt_f32_f16_sdwa v63, v18 dst_sel:DWORD dst_unused:UNUSED_PAD src0_sel:WORD_1
	v_cvt_f32_f16_e32 v64, v17
	v_cvt_f32_f16_e32 v53, v2
	v_cvt_f32_f16_sdwa v55, v2 dst_sel:DWORD dst_unused:UNUSED_PAD src0_sel:WORD_1
	v_cvt_f32_f16_e32 v56, v1
	v_cvt_f32_f16_sdwa v2, v1 dst_sel:DWORD dst_unused:UNUSED_PAD src0_sel:WORD_1
	;; [unrolled: 2-line block ×4, first 2 shown]
	v_cvt_f32_f16_e32 v52, v0
	s_waitcnt vmcnt(3)
	v_subrev_u32_e32 v5, s18, v5
	v_lshlrev_b32_e32 v66, 2, v5
	s_waitcnt vmcnt(2)
	v_subrev_u32_e32 v11, s18, v11
	v_ashrrev_i32_e32 v67, 31, v66
	v_lshlrev_b32_e32 v68, 2, v11
	v_lshlrev_b64 v[66:67], 1, v[66:67]
	s_waitcnt vmcnt(1)
	v_subrev_u32_e32 v17, s18, v35
	v_ashrrev_i32_e32 v69, 31, v68
	v_add_co_u32_e32 v66, vcc, s6, v66
	v_lshlrev_b32_e32 v70, 2, v17
	v_lshlrev_b64 v[68:69], 1, v[68:69]
	v_addc_co_u32_e32 v67, vcc, v10, v67, vcc
	s_waitcnt vmcnt(0)
	v_subrev_u32_e32 v35, s18, v43
	v_ashrrev_i32_e32 v71, 31, v70
	v_add_co_u32_e32 v68, vcc, s6, v68
	v_lshlrev_b32_e32 v72, 2, v35
	v_lshlrev_b64 v[70:71], 1, v[70:71]
	v_addc_co_u32_e32 v69, vcc, v10, v69, vcc
	v_ashrrev_i32_e32 v73, 31, v72
	v_add_co_u32_e32 v70, vcc, s6, v70
	v_lshlrev_b64 v[72:73], 1, v[72:73]
	v_addc_co_u32_e32 v71, vcc, v10, v71, vcc
	v_add_co_u32_e32 v72, vcc, s6, v72
	v_addc_co_u32_e32 v73, vcc, v10, v73, vcc
	global_load_dwordx2 v[74:75], v[66:67], off
	global_load_dwordx2 v[76:77], v[68:69], off
	;; [unrolled: 1-line block ×4, first 2 shown]
	v_cvt_f32_f16_sdwa v54, v0 dst_sel:DWORD dst_unused:UNUSED_PAD src0_sel:WORD_1
	v_cvt_f32_f16_e32 v0, v12
	v_cvt_f32_f16_sdwa v58, v12 dst_sel:DWORD dst_unused:UNUSED_PAD src0_sel:WORD_1
	v_cvt_f32_f16_e32 v12, v16
	;; [unrolled: 2-line block ×8, first 2 shown]
	v_cvt_f32_f16_e32 v61, v15
	v_cvt_f32_f16_sdwa v3, v3 dst_sel:DWORD dst_unused:UNUSED_PAD src0_sel:WORD_1
	v_cvt_f32_f16_sdwa v15, v15 dst_sel:DWORD dst_unused:UNUSED_PAD src0_sel:WORD_1
	v_cvt_f32_f16_e32 v17, v22
	v_cvt_f32_f16_sdwa v67, v22 dst_sel:DWORD dst_unused:UNUSED_PAD src0_sel:WORD_1
	v_cvt_f32_f16_e32 v65, v19
	v_cvt_f32_f16_e32 v69, v23
	;; [unrolled: 1-line block ×3, first 2 shown]
	v_cvt_f32_f16_sdwa v19, v19 dst_sel:DWORD dst_unused:UNUSED_PAD src0_sel:WORD_1
	v_cvt_f32_f16_sdwa v23, v23 dst_sel:DWORD dst_unused:UNUSED_PAD src0_sel:WORD_1
	;; [unrolled: 1-line block ×3, first 2 shown]
	v_cvt_f32_f16_e32 v21, v26
	v_cvt_f32_f16_sdwa v71, v26 dst_sel:DWORD dst_unused:UNUSED_PAD src0_sel:WORD_1
	v_cvt_f32_f16_e32 v72, v25
	v_cvt_f32_f16_sdwa v26, v25 dst_sel:DWORD dst_unused:UNUSED_PAD src0_sel:WORD_1
	;; [unrolled: 2-line block ×3, first 2 shown]
	v_cvt_f32_f16_e32 v73, v27
	v_cvt_f32_f16_e32 v85, v31
	;; [unrolled: 1-line block ×3, first 2 shown]
	v_cvt_f32_f16_sdwa v27, v27 dst_sel:DWORD dst_unused:UNUSED_PAD src0_sel:WORD_1
	v_cvt_f32_f16_sdwa v31, v31 dst_sel:DWORD dst_unused:UNUSED_PAD src0_sel:WORD_1
	;; [unrolled: 1-line block ×3, first 2 shown]
	v_cvt_f32_f16_e32 v29, v46
	v_cvt_f32_f16_sdwa v87, v46 dst_sel:DWORD dst_unused:UNUSED_PAD src0_sel:WORD_1
	v_cvt_f32_f16_e32 v88, v45
	v_cvt_f32_f16_sdwa v46, v45 dst_sel:DWORD dst_unused:UNUSED_PAD src0_sel:WORD_1
	;; [unrolled: 2-line block ×3, first 2 shown]
	v_cvt_f32_f16_e32 v89, v47
	v_cvt_f32_f16_e32 v93, v51
	;; [unrolled: 1-line block ×3, first 2 shown]
	v_cvt_f32_f16_sdwa v47, v47 dst_sel:DWORD dst_unused:UNUSED_PAD src0_sel:WORD_1
	v_cvt_f32_f16_sdwa v51, v51 dst_sel:DWORD dst_unused:UNUSED_PAD src0_sel:WORD_1
	;; [unrolled: 1-line block ×3, first 2 shown]
	s_waitcnt vmcnt(3)
	v_cvt_f32_f16_e32 v48, v74
	v_cvt_f32_f16_sdwa v74, v74 dst_sel:DWORD dst_unused:UNUSED_PAD src0_sel:WORD_1
	v_cvt_f32_f16_e32 v94, v75
	v_cvt_f32_f16_sdwa v96, v75 dst_sel:DWORD dst_unused:UNUSED_PAD src0_sel:WORD_1
	s_waitcnt vmcnt(2)
	v_cvt_f32_f16_e32 v98, v76
	v_pk_fma_f32 v[40:41], v[52:53], v[48:49], v[40:41] op_sel_hi:[1,0,1]
	v_pk_fma_f32 v[0:1], v[0:1], v[48:49], v[38:39] op_sel_hi:[1,0,1]
	v_cvt_f32_f16_sdwa v52, v76 dst_sel:DWORD dst_unused:UNUSED_PAD src0_sel:WORD_1
	v_pk_fma_f32 v[40:41], v[54:55], v[74:75], v[40:41] op_sel_hi:[1,0,1]
	v_pk_fma_f32 v[0:1], v[58:59], v[74:75], v[0:1] op_sel_hi:[1,0,1]
	v_cvt_f32_f16_e32 v38, v77
	v_pk_fma_f32 v[40:41], v[56:57], v[94:95], v[40:41] op_sel_hi:[1,0,1]
	v_pk_fma_f32 v[0:1], v[60:61], v[94:95], v[0:1] op_sel_hi:[1,0,1]
	v_cvt_f32_f16_sdwa v48, v77 dst_sel:DWORD dst_unused:UNUSED_PAD src0_sel:WORD_1
	v_pk_fma_f32 v[2:3], v[2:3], v[96:97], v[40:41] op_sel_hi:[1,0,1]
	v_pk_fma_f32 v[0:1], v[14:15], v[96:97], v[0:1] op_sel_hi:[1,0,1]
	s_waitcnt vmcnt(1)
	v_cvt_f32_f16_e32 v76, v78
	v_pk_fma_f32 v[2:3], v[12:13], v[98:99], v[2:3] op_sel_hi:[1,0,1]
	v_pk_fma_f32 v[0:1], v[16:17], v[98:99], v[0:1] op_sel_hi:[1,0,1]
	v_cvt_f32_f16_sdwa v54, v78 dst_sel:DWORD dst_unused:UNUSED_PAD src0_sel:WORD_1
	v_pk_fma_f32 v[2:3], v[62:63], v[52:53], v[2:3] op_sel_hi:[1,0,1]
	v_pk_fma_f32 v[0:1], v[66:67], v[52:53], v[0:1] op_sel_hi:[1,0,1]
	v_cvt_f32_f16_e32 v58, v79
	v_pk_fma_f32 v[2:3], v[64:65], v[38:39], v[2:3] op_sel_hi:[1,0,1]
	v_pk_fma_f32 v[0:1], v[68:69], v[38:39], v[0:1] op_sel_hi:[1,0,1]
	v_cvt_f32_f16_sdwa v74, v79 dst_sel:DWORD dst_unused:UNUSED_PAD src0_sel:WORD_1
	v_pk_fma_f32 v[2:3], v[18:19], v[48:49], v[2:3] op_sel_hi:[1,0,1]
	v_pk_fma_f32 v[0:1], v[22:23], v[48:49], v[0:1] op_sel_hi:[1,0,1]
	;; [unrolled: 13-line block ×3, first 2 shown]
	v_pk_fma_f32 v[2:3], v[28:29], v[78:79], v[2:3] op_sel_hi:[1,0,1]
	v_pk_fma_f32 v[0:1], v[44:45], v[78:79], v[0:1] op_sel_hi:[1,0,1]
	;; [unrolled: 1-line block ×8, first 2 shown]
	s_andn2_b64 exec, exec, s[14:15]
	s_cbranch_execnz .LBB92_21
; %bb.22:
	s_or_b64 exec, exec, s[14:15]
.LBB92_23:
	s_or_b64 exec, exec, s[10:11]
.LBB92_24:
	s_or_b64 exec, exec, s[8:9]
	s_cbranch_execz .LBB92_26
	s_branch .LBB92_37
.LBB92_25:
                                        ; implicit-def: $vgpr39
                                        ; implicit-def: $vgpr41
.LBB92_26:
	v_mov_b32_e32 v39, 0
	v_mov_b32_e32 v38, 0
	;; [unrolled: 1-line block ×4, first 2 shown]
	s_and_saveexec_b64 s[8:9], s[0:1]
	s_cbranch_execz .LBB92_36
; %bb.27:
	v_add_u32_e32 v0, v8, v33
	v_subrev_u32_e32 v0, s18, v0
	v_add_u32_e32 v0, 16, v0
	v_max_i32_e32 v0, v0, v42
	v_not_b32_e32 v1, v8
	v_add3_u32 v0, v0, s18, v1
	v_sub_u32_e32 v0, v0, v33
	v_lshrrev_b32_e32 v1, 4, v0
	v_add_u32_e32 v1, 1, v1
	v_and_b32_e32 v1, 3, v1
	v_mov_b32_e32 v40, 0
	v_cmp_ne_u32_e32 vcc, 0, v1
	v_mov_b32_e32 v41, v40
	v_mov_b32_e32 v38, v40
	;; [unrolled: 1-line block ×3, first 2 shown]
	s_and_saveexec_b64 s[0:1], vcc
	s_cbranch_execz .LBB92_31
; %bb.28:
	v_mov_b32_e32 v39, 0
	v_lshlrev_b32_e32 v1, 5, v1
	s_mov_b64 s[10:11], 0
	v_mov_b32_e32 v2, s13
	v_mov_b32_e32 v3, s7
	v_mov_b32_e32 v38, v39
	v_mov_b32_e32 v41, v39
	v_mov_b32_e32 v40, v39
.LBB92_29:                              ; =>This Inner Loop Header: Depth=1
	v_ashrrev_i32_e32 v35, 31, v34
	v_lshlrev_b64 v[4:5], 2, v[34:35]
	v_add_co_u32_e32 v8, vcc, s12, v4
	v_addc_co_u32_e32 v9, vcc, v2, v5, vcc
	global_load_dword v10, v[8:9], off
	global_load_dwordx4 v[4:7], v[36:37], off
	v_subrev_u32_e32 v1, 32, v1
	v_add_u32_e32 v34, 16, v34
	s_waitcnt vmcnt(1)
	v_subrev_u32_e32 v8, s18, v10
	v_lshlrev_b32_e32 v8, 2, v8
	v_ashrrev_i32_e32 v9, 31, v8
	v_lshlrev_b64 v[8:9], 1, v[8:9]
	v_add_co_u32_e32 v12, vcc, s6, v8
	v_addc_co_u32_e32 v13, vcc, v3, v9, vcc
	global_load_dwordx2 v[14:15], v[12:13], off
	global_load_dwordx4 v[8:11], v[36:37], off offset:16
	s_waitcnt vmcnt(2)
	v_cvt_f32_f16_sdwa v13, v4 dst_sel:DWORD dst_unused:UNUSED_PAD src0_sel:WORD_1
	v_cvt_f32_f16_e32 v12, v4
	v_cvt_f32_f16_sdwa v17, v5 dst_sel:DWORD dst_unused:UNUSED_PAD src0_sel:WORD_1
	v_cvt_f32_f16_e32 v16, v5
	;; [unrolled: 2-line block ×4, first 2 shown]
	v_add_co_u32_e32 v36, vcc, 0x200, v36
	v_addc_co_u32_e32 v37, vcc, 0, v37, vcc
	v_cmp_eq_u32_e32 vcc, 0, v1
	s_or_b64 s[10:11], vcc, s[10:11]
	s_waitcnt vmcnt(1)
	v_cvt_f32_f16_e32 v24, v15
	s_waitcnt vmcnt(0)
	v_cvt_f32_f16_sdwa v21, v10 dst_sel:DWORD dst_unused:UNUSED_PAD src0_sel:WORD_1
	v_cvt_f32_f16_e32 v20, v10
	v_cvt_f32_f16_e32 v10, v14
	v_cvt_f32_f16_sdwa v14, v14 dst_sel:DWORD dst_unused:UNUSED_PAD src0_sel:WORD_1
	v_cvt_f32_f16_sdwa v19, v8 dst_sel:DWORD dst_unused:UNUSED_PAD src0_sel:WORD_1
	v_cvt_f32_f16_e32 v18, v8
	v_cvt_f32_f16_sdwa v7, v9 dst_sel:DWORD dst_unused:UNUSED_PAD src0_sel:WORD_1
	v_cvt_f32_f16_e32 v6, v9
	;; [unrolled: 2-line block ×3, first 2 shown]
	v_cvt_f32_f16_sdwa v26, v15 dst_sel:DWORD dst_unused:UNUSED_PAD src0_sel:WORD_1
	v_pk_fma_f32 v[12:13], v[12:13], v[10:11], v[40:41] op_sel_hi:[1,0,1]
	v_pk_fma_f32 v[10:11], v[16:17], v[10:11], v[38:39] op_sel_hi:[1,0,1]
	;; [unrolled: 1-line block ×8, first 2 shown]
	s_andn2_b64 exec, exec, s[10:11]
	s_cbranch_execnz .LBB92_29
; %bb.30:
	s_or_b64 exec, exec, s[10:11]
.LBB92_31:
	s_or_b64 exec, exec, s[0:1]
	v_cmp_lt_u32_e32 vcc, 47, v0
	s_and_saveexec_b64 s[0:1], vcc
	s_cbranch_execz .LBB92_35
; %bb.32:
	s_mov_b64 s[10:11], 0
	v_mov_b32_e32 v43, s13
	v_mov_b32_e32 v44, s7
.LBB92_33:                              ; =>This Inner Loop Header: Depth=1
	global_load_dwordx4 v[0:3], v[36:37], off
	global_load_dwordx4 v[4:7], v[36:37], off offset:16
	global_load_dwordx4 v[8:11], v[36:37], off offset:512
	;; [unrolled: 1-line block ×7, first 2 shown]
	v_ashrrev_i32_e32 v35, 31, v34
	v_add_co_u32_e32 v36, vcc, 0x800, v36
	v_lshlrev_b64 v[46:47], 2, v[34:35]
	v_addc_co_u32_e32 v37, vcc, 0, v37, vcc
	v_add_co_u32_e32 v46, vcc, s12, v46
	v_addc_co_u32_e32 v47, vcc, v43, v47, vcc
	global_load_dword v35, v[46:47], off
	global_load_dword v45, v[46:47], off offset:64
	global_load_dword v60, v[46:47], off offset:128
	;; [unrolled: 1-line block ×3, first 2 shown]
	v_add_u32_e32 v34, 64, v34
	v_cmp_ge_i32_e32 vcc, v34, v42
	s_or_b64 s[10:11], vcc, s[10:11]
	s_waitcnt vmcnt(11)
	v_cvt_f32_f16_sdwa v47, v0 dst_sel:DWORD dst_unused:UNUSED_PAD src0_sel:WORD_1
	v_cvt_f32_f16_e32 v46, v0
	v_cvt_f32_f16_sdwa v49, v1 dst_sel:DWORD dst_unused:UNUSED_PAD src0_sel:WORD_1
	v_cvt_f32_f16_e32 v48, v1
	;; [unrolled: 2-line block ×3, first 2 shown]
	s_waitcnt vmcnt(10)
	v_cvt_f32_f16_sdwa v51, v4 dst_sel:DWORD dst_unused:UNUSED_PAD src0_sel:WORD_1
	v_cvt_f32_f16_e32 v50, v4
	v_cvt_f32_f16_sdwa v53, v6 dst_sel:DWORD dst_unused:UNUSED_PAD src0_sel:WORD_1
	v_cvt_f32_f16_e32 v52, v6
	;; [unrolled: 2-line block ×5, first 2 shown]
	s_waitcnt vmcnt(9)
	v_cvt_f32_f16_sdwa v7, v8 dst_sel:DWORD dst_unused:UNUSED_PAD src0_sel:WORD_1
	v_cvt_f32_f16_e32 v6, v8
	v_cvt_f32_f16_sdwa v57, v9 dst_sel:DWORD dst_unused:UNUSED_PAD src0_sel:WORD_1
	v_cvt_f32_f16_e32 v56, v9
	;; [unrolled: 2-line block ×3, first 2 shown]
	s_waitcnt vmcnt(3)
	v_subrev_u32_e32 v10, s18, v35
	v_cvt_f32_f16_sdwa v59, v12 dst_sel:DWORD dst_unused:UNUSED_PAD src0_sel:WORD_1
	v_cvt_f32_f16_e32 v58, v12
	s_waitcnt vmcnt(2)
	v_subrev_u32_e32 v12, s18, v45
	s_waitcnt vmcnt(0)
	v_subrev_u32_e32 v45, s18, v62
	v_lshlrev_b32_e32 v62, 2, v10
	v_ashrrev_i32_e32 v63, 31, v62
	v_lshlrev_b32_e32 v64, 2, v12
	v_lshlrev_b64 v[62:63], 1, v[62:63]
	v_subrev_u32_e32 v35, s18, v60
	v_ashrrev_i32_e32 v65, 31, v64
	v_add_co_u32_e32 v62, vcc, s6, v62
	v_lshlrev_b32_e32 v66, 2, v35
	v_lshlrev_b64 v[64:65], 1, v[64:65]
	v_addc_co_u32_e32 v63, vcc, v44, v63, vcc
	v_ashrrev_i32_e32 v67, 31, v66
	v_add_co_u32_e32 v64, vcc, s6, v64
	v_lshlrev_b32_e32 v68, 2, v45
	v_lshlrev_b64 v[66:67], 1, v[66:67]
	v_addc_co_u32_e32 v65, vcc, v44, v65, vcc
	v_ashrrev_i32_e32 v69, 31, v68
	v_add_co_u32_e32 v66, vcc, s6, v66
	v_lshlrev_b64 v[68:69], 1, v[68:69]
	v_addc_co_u32_e32 v67, vcc, v44, v67, vcc
	v_add_co_u32_e32 v68, vcc, s6, v68
	v_addc_co_u32_e32 v69, vcc, v44, v69, vcc
	global_load_dwordx2 v[70:71], v[62:63], off
	global_load_dwordx2 v[72:73], v[64:65], off
	;; [unrolled: 1-line block ×4, first 2 shown]
	v_cvt_f32_f16_sdwa v85, v26 dst_sel:DWORD dst_unused:UNUSED_PAD src0_sel:WORD_1
	v_cvt_f32_f16_e32 v84, v26
	v_cvt_f32_f16_sdwa v61, v14 dst_sel:DWORD dst_unused:UNUSED_PAD src0_sel:WORD_1
	v_cvt_f32_f16_e32 v60, v14
	;; [unrolled: 2-line block ×20, first 2 shown]
	s_waitcnt vmcnt(3)
	v_cvt_f32_f16_e32 v26, v70
	v_cvt_f32_f16_sdwa v70, v70 dst_sel:DWORD dst_unused:UNUSED_PAD src0_sel:WORD_1
	v_cvt_f32_f16_e32 v88, v71
	v_cvt_f32_f16_sdwa v90, v71 dst_sel:DWORD dst_unused:UNUSED_PAD src0_sel:WORD_1
	s_waitcnt vmcnt(2)
	v_cvt_f32_f16_e32 v92, v72
	v_pk_fma_f32 v[40:41], v[46:47], v[26:27], v[40:41] op_sel_hi:[1,0,1]
	v_pk_fma_f32 v[26:27], v[48:49], v[26:27], v[38:39] op_sel_hi:[1,0,1]
	v_cvt_f32_f16_sdwa v46, v72 dst_sel:DWORD dst_unused:UNUSED_PAD src0_sel:WORD_1
	v_pk_fma_f32 v[0:1], v[0:1], v[70:71], v[40:41] op_sel_hi:[1,0,1]
	v_pk_fma_f32 v[26:27], v[54:55], v[70:71], v[26:27] op_sel_hi:[1,0,1]
	v_cvt_f32_f16_e32 v38, v73
	v_pk_fma_f32 v[0:1], v[50:51], v[88:89], v[0:1] op_sel_hi:[1,0,1]
	v_pk_fma_f32 v[2:3], v[2:3], v[88:89], v[26:27] op_sel_hi:[1,0,1]
	v_cvt_f32_f16_sdwa v48, v73 dst_sel:DWORD dst_unused:UNUSED_PAD src0_sel:WORD_1
	v_pk_fma_f32 v[0:1], v[52:53], v[90:91], v[0:1] op_sel_hi:[1,0,1]
	v_pk_fma_f32 v[2:3], v[4:5], v[90:91], v[2:3] op_sel_hi:[1,0,1]
	s_waitcnt vmcnt(1)
	v_cvt_f32_f16_e32 v72, v74
	v_pk_fma_f32 v[0:1], v[6:7], v[92:93], v[0:1] op_sel_hi:[1,0,1]
	v_pk_fma_f32 v[2:3], v[56:57], v[92:93], v[2:3] op_sel_hi:[1,0,1]
	v_cvt_f32_f16_sdwa v40, v74 dst_sel:DWORD dst_unused:UNUSED_PAD src0_sel:WORD_1
	v_pk_fma_f32 v[0:1], v[8:9], v[46:47], v[0:1] op_sel_hi:[1,0,1]
	v_pk_fma_f32 v[2:3], v[62:63], v[46:47], v[2:3] op_sel_hi:[1,0,1]
	v_cvt_f32_f16_e32 v54, v75
	v_pk_fma_f32 v[0:1], v[58:59], v[38:39], v[0:1] op_sel_hi:[1,0,1]
	v_pk_fma_f32 v[2:3], v[10:11], v[38:39], v[2:3] op_sel_hi:[1,0,1]
	v_cvt_f32_f16_sdwa v70, v75 dst_sel:DWORD dst_unused:UNUSED_PAD src0_sel:WORD_1
	v_pk_fma_f32 v[0:1], v[60:61], v[48:49], v[0:1] op_sel_hi:[1,0,1]
	v_pk_fma_f32 v[2:3], v[12:13], v[48:49], v[2:3] op_sel_hi:[1,0,1]
	;; [unrolled: 13-line block ×3, first 2 shown]
	v_pk_fma_f32 v[0:1], v[22:23], v[74:75], v[0:1] op_sel_hi:[1,0,1]
	v_pk_fma_f32 v[2:3], v[80:81], v[74:75], v[2:3] op_sel_hi:[1,0,1]
	;; [unrolled: 1-line block ×8, first 2 shown]
	s_andn2_b64 exec, exec, s[10:11]
	s_cbranch_execnz .LBB92_33
; %bb.34:
	s_or_b64 exec, exec, s[10:11]
.LBB92_35:
	s_or_b64 exec, exec, s[0:1]
.LBB92_36:
	s_or_b64 exec, exec, s[8:9]
.LBB92_37:
	v_mov_b32_dpp v0, v40 row_shr:1 row_mask:0xf bank_mask:0xf
	v_mov_b32_dpp v1, v41 row_shr:1 row_mask:0xf bank_mask:0xf
	;; [unrolled: 1-line block ×4, first 2 shown]
	v_pk_add_f32 v[0:1], v[40:41], v[0:1]
	v_pk_add_f32 v[4:5], v[38:39], v[4:5]
	v_cmp_eq_u32_e32 vcc, 15, v33
	v_mov_b32_dpp v2, v0 row_shr:2 row_mask:0xf bank_mask:0xf
	v_mov_b32_dpp v3, v1 row_shr:2 row_mask:0xf bank_mask:0xf
	;; [unrolled: 1-line block ×4, first 2 shown]
	v_pk_add_f32 v[0:1], v[0:1], v[2:3]
	v_pk_add_f32 v[4:5], v[4:5], v[6:7]
	s_nop 0
	v_mov_b32_dpp v2, v0 row_shr:4 row_mask:0xf bank_mask:0xe
	v_mov_b32_dpp v3, v1 row_shr:4 row_mask:0xf bank_mask:0xe
	;; [unrolled: 1-line block ×4, first 2 shown]
	v_pk_add_f32 v[0:1], v[0:1], v[2:3]
	v_pk_add_f32 v[4:5], v[4:5], v[6:7]
	s_nop 0
	v_mov_b32_dpp v2, v0 row_shr:8 row_mask:0xf bank_mask:0xc
	v_mov_b32_dpp v3, v1 row_shr:8 row_mask:0xf bank_mask:0xc
	;; [unrolled: 1-line block ×4, first 2 shown]
	s_and_b64 exec, exec, vcc
	s_cbranch_execz .LBB92_10
; %bb.38:
	s_load_dwordx2 s[0:1], s[4:5], 0x50
	v_cmp_eq_f32_e64 s[4:5], s16, 0
	v_pk_add_f32 v[2:3], v[0:1], v[2:3]
	v_pk_add_f32 v[0:1], v[4:5], v[6:7]
	s_and_b64 vcc, exec, s[4:5]
	v_lshlrev_b32_e32 v4, 2, v32
	s_cbranch_vccz .LBB92_40
; %bb.39:
	v_ashrrev_i32_e32 v5, 31, v4
	v_lshlrev_b64 v[6:7], 2, v[4:5]
	s_waitcnt lgkmcnt(0)
	v_mov_b32_e32 v5, s1
	v_add_co_u32_e32 v10, vcc, s0, v6
	v_addc_co_u32_e32 v11, vcc, v5, v7, vcc
	v_pk_mul_f32 v[6:7], s[2:3], v[2:3] op_sel_hi:[0,1]
	v_pk_mul_f32 v[8:9], s[2:3], v[0:1] op_sel_hi:[0,1]
	global_store_dwordx4 v[10:11], v[6:9], off
	s_cbranch_execnz .LBB92_10
	s_branch .LBB92_41
.LBB92_40:
.LBB92_41:
	v_ashrrev_i32_e32 v5, 31, v4
	v_lshlrev_b64 v[4:5], 2, v[4:5]
	s_waitcnt lgkmcnt(0)
	v_mov_b32_e32 v6, s1
	v_add_co_u32_e32 v8, vcc, s0, v4
	v_addc_co_u32_e32 v9, vcc, v6, v5, vcc
	global_load_dwordx4 v[4:7], v[8:9], off
	v_pk_mul_f32 v[2:3], s[2:3], v[2:3] op_sel_hi:[0,1]
	v_pk_mul_f32 v[10:11], s[2:3], v[0:1] op_sel_hi:[0,1]
	s_waitcnt vmcnt(0)
	v_pk_fma_f32 v[0:1], s[16:17], v[4:5], v[2:3] op_sel_hi:[0,1,1]
	v_pk_fma_f32 v[2:3], s[16:17], v[6:7], v[10:11] op_sel_hi:[0,1,1]
	global_store_dwordx4 v[8:9], v[0:3], off
	s_endpgm
	.section	.rodata,"a",@progbits
	.p2align	6, 0x0
	.amdhsa_kernel _ZN9rocsparseL18bsrxmvn_4x4_kernelILj128ELj16EfiiDF16_DF16_fEEvT3_20rocsparse_direction_NS_24const_host_device_scalarIT1_EES1_PKS1_PKT2_SA_S7_PKT4_PKT5_S5_PT6_21rocsparse_index_base_b
		.amdhsa_group_segment_fixed_size 0
		.amdhsa_private_segment_fixed_size 0
		.amdhsa_kernarg_size 96
		.amdhsa_user_sgpr_count 6
		.amdhsa_user_sgpr_private_segment_buffer 1
		.amdhsa_user_sgpr_dispatch_ptr 0
		.amdhsa_user_sgpr_queue_ptr 0
		.amdhsa_user_sgpr_kernarg_segment_ptr 1
		.amdhsa_user_sgpr_dispatch_id 0
		.amdhsa_user_sgpr_flat_scratch_init 0
		.amdhsa_user_sgpr_kernarg_preload_length 0
		.amdhsa_user_sgpr_kernarg_preload_offset 0
		.amdhsa_user_sgpr_private_segment_size 0
		.amdhsa_uses_dynamic_stack 0
		.amdhsa_system_sgpr_private_segment_wavefront_offset 0
		.amdhsa_system_sgpr_workgroup_id_x 1
		.amdhsa_system_sgpr_workgroup_id_y 0
		.amdhsa_system_sgpr_workgroup_id_z 0
		.amdhsa_system_sgpr_workgroup_info 0
		.amdhsa_system_vgpr_workitem_id 0
		.amdhsa_next_free_vgpr 100
		.amdhsa_next_free_sgpr 20
		.amdhsa_accum_offset 100
		.amdhsa_reserve_vcc 1
		.amdhsa_reserve_flat_scratch 0
		.amdhsa_float_round_mode_32 0
		.amdhsa_float_round_mode_16_64 0
		.amdhsa_float_denorm_mode_32 3
		.amdhsa_float_denorm_mode_16_64 3
		.amdhsa_dx10_clamp 1
		.amdhsa_ieee_mode 1
		.amdhsa_fp16_overflow 0
		.amdhsa_tg_split 0
		.amdhsa_exception_fp_ieee_invalid_op 0
		.amdhsa_exception_fp_denorm_src 0
		.amdhsa_exception_fp_ieee_div_zero 0
		.amdhsa_exception_fp_ieee_overflow 0
		.amdhsa_exception_fp_ieee_underflow 0
		.amdhsa_exception_fp_ieee_inexact 0
		.amdhsa_exception_int_div_zero 0
	.end_amdhsa_kernel
	.section	.text._ZN9rocsparseL18bsrxmvn_4x4_kernelILj128ELj16EfiiDF16_DF16_fEEvT3_20rocsparse_direction_NS_24const_host_device_scalarIT1_EES1_PKS1_PKT2_SA_S7_PKT4_PKT5_S5_PT6_21rocsparse_index_base_b,"axG",@progbits,_ZN9rocsparseL18bsrxmvn_4x4_kernelILj128ELj16EfiiDF16_DF16_fEEvT3_20rocsparse_direction_NS_24const_host_device_scalarIT1_EES1_PKS1_PKT2_SA_S7_PKT4_PKT5_S5_PT6_21rocsparse_index_base_b,comdat
.Lfunc_end92:
	.size	_ZN9rocsparseL18bsrxmvn_4x4_kernelILj128ELj16EfiiDF16_DF16_fEEvT3_20rocsparse_direction_NS_24const_host_device_scalarIT1_EES1_PKS1_PKT2_SA_S7_PKT4_PKT5_S5_PT6_21rocsparse_index_base_b, .Lfunc_end92-_ZN9rocsparseL18bsrxmvn_4x4_kernelILj128ELj16EfiiDF16_DF16_fEEvT3_20rocsparse_direction_NS_24const_host_device_scalarIT1_EES1_PKS1_PKT2_SA_S7_PKT4_PKT5_S5_PT6_21rocsparse_index_base_b
                                        ; -- End function
	.section	.AMDGPU.csdata,"",@progbits
; Kernel info:
; codeLenInByte = 3960
; NumSgprs: 24
; NumVgprs: 100
; NumAgprs: 0
; TotalNumVgprs: 100
; ScratchSize: 0
; MemoryBound: 0
; FloatMode: 240
; IeeeMode: 1
; LDSByteSize: 0 bytes/workgroup (compile time only)
; SGPRBlocks: 2
; VGPRBlocks: 12
; NumSGPRsForWavesPerEU: 24
; NumVGPRsForWavesPerEU: 100
; AccumOffset: 100
; Occupancy: 4
; WaveLimiterHint : 1
; COMPUTE_PGM_RSRC2:SCRATCH_EN: 0
; COMPUTE_PGM_RSRC2:USER_SGPR: 6
; COMPUTE_PGM_RSRC2:TRAP_HANDLER: 0
; COMPUTE_PGM_RSRC2:TGID_X_EN: 1
; COMPUTE_PGM_RSRC2:TGID_Y_EN: 0
; COMPUTE_PGM_RSRC2:TGID_Z_EN: 0
; COMPUTE_PGM_RSRC2:TIDIG_COMP_CNT: 0
; COMPUTE_PGM_RSRC3_GFX90A:ACCUM_OFFSET: 24
; COMPUTE_PGM_RSRC3_GFX90A:TG_SPLIT: 0
	.section	.text._ZN9rocsparseL18bsrxmvn_4x4_kernelILj128ELj32EfiiDF16_DF16_fEEvT3_20rocsparse_direction_NS_24const_host_device_scalarIT1_EES1_PKS1_PKT2_SA_S7_PKT4_PKT5_S5_PT6_21rocsparse_index_base_b,"axG",@progbits,_ZN9rocsparseL18bsrxmvn_4x4_kernelILj128ELj32EfiiDF16_DF16_fEEvT3_20rocsparse_direction_NS_24const_host_device_scalarIT1_EES1_PKS1_PKT2_SA_S7_PKT4_PKT5_S5_PT6_21rocsparse_index_base_b,comdat
	.globl	_ZN9rocsparseL18bsrxmvn_4x4_kernelILj128ELj32EfiiDF16_DF16_fEEvT3_20rocsparse_direction_NS_24const_host_device_scalarIT1_EES1_PKS1_PKT2_SA_S7_PKT4_PKT5_S5_PT6_21rocsparse_index_base_b ; -- Begin function _ZN9rocsparseL18bsrxmvn_4x4_kernelILj128ELj32EfiiDF16_DF16_fEEvT3_20rocsparse_direction_NS_24const_host_device_scalarIT1_EES1_PKS1_PKT2_SA_S7_PKT4_PKT5_S5_PT6_21rocsparse_index_base_b
	.p2align	8
	.type	_ZN9rocsparseL18bsrxmvn_4x4_kernelILj128ELj32EfiiDF16_DF16_fEEvT3_20rocsparse_direction_NS_24const_host_device_scalarIT1_EES1_PKS1_PKT2_SA_S7_PKT4_PKT5_S5_PT6_21rocsparse_index_base_b,@function
_ZN9rocsparseL18bsrxmvn_4x4_kernelILj128ELj32EfiiDF16_DF16_fEEvT3_20rocsparse_direction_NS_24const_host_device_scalarIT1_EES1_PKS1_PKT2_SA_S7_PKT4_PKT5_S5_PT6_21rocsparse_index_base_b: ; @_ZN9rocsparseL18bsrxmvn_4x4_kernelILj128ELj32EfiiDF16_DF16_fEEvT3_20rocsparse_direction_NS_24const_host_device_scalarIT1_EES1_PKS1_PKT2_SA_S7_PKT4_PKT5_S5_PT6_21rocsparse_index_base_b
; %bb.0:
	s_load_dwordx2 s[18:19], s[4:5], 0x58
	s_load_dwordx2 s[2:3], s[4:5], 0x8
	;; [unrolled: 1-line block ×3, first 2 shown]
	s_waitcnt lgkmcnt(0)
	s_bitcmp1_b32 s19, 0
	s_cselect_b64 s[8:9], -1, 0
	s_xor_b64 s[0:1], s[8:9], -1
	s_and_b64 vcc, exec, s[8:9]
	s_cbranch_vccnz .LBB93_2
; %bb.1:
	s_load_dword s2, s[2:3], 0x0
.LBB93_2:
	s_andn2_b64 vcc, exec, s[0:1]
	s_cbranch_vccnz .LBB93_4
; %bb.3:
	s_load_dword s16, s[16:17], 0x0
.LBB93_4:
	s_waitcnt lgkmcnt(0)
	v_cmp_neq_f32_e64 s[0:1], s2, 0
	v_cmp_neq_f32_e64 s[8:9], s16, 1.0
	s_or_b64 s[0:1], s[0:1], s[8:9]
	s_andn2_b64 vcc, exec, s[0:1]
	s_cbranch_vccnz .LBB93_10
; %bb.5:
	s_load_dwordx2 s[8:9], s[4:5], 0x18
	s_load_dwordx2 s[0:1], s[4:5], 0x0
	v_lshrrev_b32_e32 v1, 5, v0
	v_lshl_or_b32 v32, s6, 2, v1
	s_mov_b64 s[6:7], 0
	s_waitcnt lgkmcnt(0)
	s_cmp_lg_u64 s[8:9], 0
	s_cbranch_scc0 .LBB93_11
; %bb.6:
	s_load_dword s3, s[4:5], 0x10
                                        ; implicit-def: $vgpr1
	s_waitcnt lgkmcnt(0)
	v_cmp_gt_i32_e32 vcc, s3, v32
	s_and_saveexec_b64 s[10:11], vcc
	s_xor_b64 s[10:11], exec, s[10:11]
	s_cbranch_execz .LBB93_8
; %bb.7:
	v_ashrrev_i32_e32 v33, 31, v32
	v_lshlrev_b64 v[2:3], 2, v[32:33]
	v_mov_b32_e32 v1, s9
	v_add_co_u32_e32 v2, vcc, s8, v2
	v_addc_co_u32_e32 v3, vcc, v1, v3, vcc
	global_load_dword v1, v[2:3], off
	s_mov_b64 s[6:7], exec
	s_waitcnt vmcnt(0)
	v_subrev_u32_e32 v1, s18, v1
.LBB93_8:
	s_or_b64 exec, exec, s[10:11]
	s_branch .LBB93_12
.LBB93_9:
	v_cmp_gt_i32_e32 vcc, s0, v32
	s_andn2_b64 s[6:7], s[6:7], exec
	s_and_b64 s[8:9], vcc, exec
	s_or_b64 s[6:7], s[6:7], s[8:9]
	s_and_saveexec_b64 s[8:9], s[6:7]
	s_cbranch_execnz .LBB93_13
.LBB93_10:
	s_endpgm
.LBB93_11:
                                        ; implicit-def: $vgpr1
	s_cbranch_execnz .LBB93_9
.LBB93_12:
	v_mov_b32_e32 v32, v1
	s_and_saveexec_b64 s[8:9], s[6:7]
	s_cbranch_execz .LBB93_10
.LBB93_13:
	s_load_dwordx8 s[8:15], s[4:5], 0x20
	v_ashrrev_i32_e32 v33, 31, v32
	v_lshlrev_b64 v[2:3], 2, v[32:33]
	v_and_b32_e32 v33, 31, v0
	s_load_dwordx2 s[6:7], s[4:5], 0x40
	s_waitcnt lgkmcnt(0)
	v_mov_b32_e32 v1, s9
	v_add_co_u32_e32 v4, vcc, s8, v2
	v_addc_co_u32_e32 v5, vcc, v1, v3, vcc
	v_add_co_u32_e32 v1, vcc, 4, v4
	global_load_dword v8, v[4:5], off
	v_addc_co_u32_e32 v4, vcc, 0, v5, vcc
	v_mov_b32_e32 v5, s11
	v_add_co_u32_e32 v2, vcc, s10, v2
	s_cmp_eq_u64 s[10:11], 0
	v_addc_co_u32_e32 v3, vcc, v5, v3, vcc
	s_cselect_b64 vcc, -1, 0
	v_cndmask_b32_e32 v3, v3, v4, vcc
	v_cndmask_b32_e32 v2, v2, v1, vcc
	global_load_dword v1, v[2:3], off
	v_mov_b32_e32 v2, s15
	s_cmp_eq_u32 s1, 1
	s_waitcnt vmcnt(1)
	v_subrev_u32_e32 v0, s18, v8
	v_add_u32_e32 v34, v0, v33
	v_ashrrev_i32_e32 v35, 31, v34
	s_waitcnt vmcnt(0)
	v_subrev_u32_e32 v42, s18, v1
	v_lshlrev_b64 v[0:1], 5, v[34:35]
	v_add_co_u32_e32 v36, vcc, s14, v0
	v_addc_co_u32_e32 v37, vcc, v2, v1, vcc
	v_cmp_lt_i32_e64 s[0:1], v34, v42
	s_cbranch_scc1 .LBB93_25
; %bb.14:
	s_mov_b32 s10, 0
	v_mov_b32_e32 v39, 0
	v_mov_b32_e32 v38, 0
	;; [unrolled: 1-line block ×4, first 2 shown]
	s_and_saveexec_b64 s[8:9], s[0:1]
	s_cbranch_execz .LBB93_24
; %bb.15:
	v_add_u32_e32 v0, v8, v33
	v_subrev_u32_e32 v0, s18, v0
	v_add_u32_e32 v0, 32, v0
	v_max_i32_e32 v0, v0, v42
	v_not_b32_e32 v1, v8
	v_add3_u32 v0, v0, s18, v1
	v_sub_u32_e32 v0, v0, v33
	v_lshrrev_b32_e32 v1, 5, v0
	v_add_u32_e32 v1, 1, v1
	v_and_b32_e32 v1, 3, v1
	s_mov_b32 s11, s10
	v_cmp_ne_u32_e32 vcc, 0, v1
	v_pk_mov_b32 v[40:41], s[10:11], s[10:11] op_sel:[0,1]
	v_pk_mov_b32 v[38:39], s[10:11], s[10:11] op_sel:[0,1]
	v_mov_b32_e32 v4, v34
	v_pk_mov_b32 v[6:7], v[36:37], v[36:37] op_sel:[0,1]
	s_and_saveexec_b64 s[10:11], vcc
	s_cbranch_execz .LBB93_19
; %bb.16:
	v_mov_b32_e32 v38, 0
	v_lshlrev_b32_e32 v1, 5, v1
	s_mov_b64 s[14:15], 0
	v_mov_b32_e32 v2, s13
	v_mov_b32_e32 v3, s7
	v_pk_mov_b32 v[6:7], v[36:37], v[36:37] op_sel:[0,1]
	v_mov_b32_e32 v4, v34
	v_mov_b32_e32 v39, v38
	;; [unrolled: 1-line block ×4, first 2 shown]
.LBB93_17:                              ; =>This Inner Loop Header: Depth=1
	v_ashrrev_i32_e32 v5, 31, v4
	v_lshlrev_b64 v[10:11], 2, v[4:5]
	v_add_co_u32_e32 v18, vcc, s12, v10
	v_addc_co_u32_e32 v19, vcc, v2, v11, vcc
	global_load_dword v5, v[18:19], off
	global_load_dwordx4 v[10:13], v[6:7], off
	global_load_dwordx4 v[14:17], v[6:7], off offset:16
	v_subrev_u32_e32 v1, 32, v1
	v_add_u32_e32 v4, 32, v4
	s_waitcnt vmcnt(2)
	v_subrev_u32_e32 v5, s18, v5
	v_lshlrev_b32_e32 v18, 2, v5
	v_ashrrev_i32_e32 v19, 31, v18
	v_lshlrev_b64 v[18:19], 1, v[18:19]
	v_add_co_u32_e32 v18, vcc, s6, v18
	v_addc_co_u32_e32 v19, vcc, v3, v19, vcc
	global_load_dwordx2 v[18:19], v[18:19], off
	s_waitcnt vmcnt(2)
	v_cvt_f32_f16_sdwa v20, v10 dst_sel:DWORD dst_unused:UNUSED_PAD src0_sel:WORD_1
	v_cvt_f32_f16_e32 v23, v12
	v_cvt_f32_f16_e32 v22, v10
	s_waitcnt vmcnt(1)
	v_cvt_f32_f16_sdwa v10, v14 dst_sel:DWORD dst_unused:UNUSED_PAD src0_sel:WORD_1
	v_cvt_f32_f16_e32 v27, v16
	v_cvt_f32_f16_e32 v26, v14
	v_cvt_f32_f16_sdwa v21, v12 dst_sel:DWORD dst_unused:UNUSED_PAD src0_sel:WORD_1
	v_cvt_f32_f16_e32 v24, v11
	v_cvt_f32_f16_sdwa v12, v11 dst_sel:DWORD dst_unused:UNUSED_PAD src0_sel:WORD_1
	v_cvt_f32_f16_sdwa v11, v16 dst_sel:DWORD dst_unused:UNUSED_PAD src0_sel:WORD_1
	v_cvt_f32_f16_e32 v25, v13
	v_cvt_f32_f16_e32 v29, v17
	v_cvt_f32_f16_e32 v28, v15
	v_cvt_f32_f16_sdwa v13, v13 dst_sel:DWORD dst_unused:UNUSED_PAD src0_sel:WORD_1
	v_cvt_f32_f16_sdwa v17, v17 dst_sel:DWORD dst_unused:UNUSED_PAD src0_sel:WORD_1
	;; [unrolled: 1-line block ×3, first 2 shown]
	v_add_co_u32_e32 v6, vcc, 0x400, v6
	v_addc_co_u32_e32 v7, vcc, 0, v7, vcc
	v_cmp_eq_u32_e32 vcc, 0, v1
	s_or_b64 s[14:15], vcc, s[14:15]
	s_waitcnt vmcnt(0)
	v_cvt_f32_f16_e32 v14, v18
	v_cvt_f32_f16_sdwa v18, v18 dst_sel:DWORD dst_unused:UNUSED_PAD src0_sel:WORD_1
	v_cvt_f32_f16_e32 v30, v19
	v_cvt_f32_f16_sdwa v44, v19 dst_sel:DWORD dst_unused:UNUSED_PAD src0_sel:WORD_1
	v_pk_fma_f32 v[22:23], v[22:23], v[14:15], v[40:41] op_sel_hi:[1,0,1]
	v_pk_fma_f32 v[14:15], v[26:27], v[14:15], v[38:39] op_sel_hi:[1,0,1]
	;; [unrolled: 1-line block ×8, first 2 shown]
	s_andn2_b64 exec, exec, s[14:15]
	s_cbranch_execnz .LBB93_17
; %bb.18:
	s_or_b64 exec, exec, s[14:15]
.LBB93_19:
	s_or_b64 exec, exec, s[10:11]
	s_movk_i32 s3, 0x5f
	v_cmp_lt_u32_e32 vcc, s3, v0
	s_and_saveexec_b64 s[10:11], vcc
	s_cbranch_execz .LBB93_23
; %bb.20:
	s_mov_b64 s[14:15], 0
	v_mov_b32_e32 v9, s13
	v_mov_b32_e32 v10, s7
.LBB93_21:                              ; =>This Inner Loop Header: Depth=1
	global_load_dwordx4 v[0:3], v[6:7], off
	v_ashrrev_i32_e32 v5, 31, v4
	global_load_dwordx4 v[12:15], v[6:7], off offset:16
	global_load_dwordx4 v[16:19], v[6:7], off offset:1024
	;; [unrolled: 1-line block ×7, first 2 shown]
	v_add_co_u32_e32 v6, vcc, 0x1000, v6
	v_lshlrev_b64 v[52:53], 2, v[4:5]
	v_addc_co_u32_e32 v7, vcc, 0, v7, vcc
	v_add_co_u32_e32 v52, vcc, s12, v52
	v_addc_co_u32_e32 v53, vcc, v9, v53, vcc
	global_load_dword v5, v[52:53], off
	global_load_dword v11, v[52:53], off offset:128
	global_load_dword v35, v[52:53], off offset:256
	;; [unrolled: 1-line block ×3, first 2 shown]
	v_add_u32_e32 v4, 0x80, v4
	v_cmp_ge_i32_e32 vcc, v4, v42
	s_or_b64 s[14:15], vcc, s[14:15]
	s_waitcnt vmcnt(10)
	v_cvt_f32_f16_e32 v59, v14
	v_cvt_f32_f16_e32 v60, v13
	s_waitcnt vmcnt(9)
	v_cvt_f32_f16_e32 v63, v18
	v_cvt_f32_f16_e32 v64, v17
	;; [unrolled: 1-line block ×3, first 2 shown]
	v_cvt_f32_f16_sdwa v53, v2 dst_sel:DWORD dst_unused:UNUSED_PAD src0_sel:WORD_1
	v_cvt_f32_f16_e32 v56, v1
	v_cvt_f32_f16_sdwa v2, v1 dst_sel:DWORD dst_unused:UNUSED_PAD src0_sel:WORD_1
	v_cvt_f32_f16_sdwa v1, v14 dst_sel:DWORD dst_unused:UNUSED_PAD src0_sel:WORD_1
	;; [unrolled: 1-line block ×6, first 2 shown]
	s_waitcnt vmcnt(3)
	v_subrev_u32_e32 v5, s18, v5
	v_lshlrev_b32_e32 v66, 2, v5
	s_waitcnt vmcnt(2)
	v_subrev_u32_e32 v11, s18, v11
	v_ashrrev_i32_e32 v67, 31, v66
	v_lshlrev_b32_e32 v68, 2, v11
	v_lshlrev_b64 v[66:67], 1, v[66:67]
	s_waitcnt vmcnt(1)
	v_subrev_u32_e32 v17, s18, v35
	v_ashrrev_i32_e32 v69, 31, v68
	v_add_co_u32_e32 v66, vcc, s6, v66
	v_lshlrev_b32_e32 v70, 2, v17
	v_lshlrev_b64 v[68:69], 1, v[68:69]
	v_addc_co_u32_e32 v67, vcc, v10, v67, vcc
	s_waitcnt vmcnt(0)
	v_subrev_u32_e32 v35, s18, v43
	v_ashrrev_i32_e32 v71, 31, v70
	v_add_co_u32_e32 v68, vcc, s6, v68
	v_lshlrev_b32_e32 v72, 2, v35
	v_lshlrev_b64 v[70:71], 1, v[70:71]
	v_addc_co_u32_e32 v69, vcc, v10, v69, vcc
	v_ashrrev_i32_e32 v73, 31, v72
	v_add_co_u32_e32 v70, vcc, s6, v70
	v_lshlrev_b64 v[72:73], 1, v[72:73]
	v_addc_co_u32_e32 v71, vcc, v10, v71, vcc
	v_add_co_u32_e32 v72, vcc, s6, v72
	v_addc_co_u32_e32 v73, vcc, v10, v73, vcc
	global_load_dwordx2 v[74:75], v[66:67], off
	global_load_dwordx2 v[76:77], v[68:69], off
	;; [unrolled: 1-line block ×4, first 2 shown]
	v_cvt_f32_f16_e32 v54, v0
	v_cvt_f32_f16_sdwa v0, v12 dst_sel:DWORD dst_unused:UNUSED_PAD src0_sel:WORD_1
	v_cvt_f32_f16_e32 v58, v12
	v_cvt_f32_f16_sdwa v12, v16 dst_sel:DWORD dst_unused:UNUSED_PAD src0_sel:WORD_1
	;; [unrolled: 2-line block ×7, first 2 shown]
	v_cvt_f32_f16_e32 v90, v48
	v_cvt_f32_f16_e32 v57, v3
	;; [unrolled: 1-line block ×3, first 2 shown]
	v_cvt_f32_f16_sdwa v3, v3 dst_sel:DWORD dst_unused:UNUSED_PAD src0_sel:WORD_1
	v_cvt_f32_f16_sdwa v15, v15 dst_sel:DWORD dst_unused:UNUSED_PAD src0_sel:WORD_1
	v_cvt_f32_f16_e32 v67, v22
	v_cvt_f32_f16_sdwa v17, v22 dst_sel:DWORD dst_unused:UNUSED_PAD src0_sel:WORD_1
	v_cvt_f32_f16_e32 v65, v19
	v_cvt_f32_f16_e32 v69, v23
	;; [unrolled: 1-line block ×3, first 2 shown]
	v_cvt_f32_f16_sdwa v19, v19 dst_sel:DWORD dst_unused:UNUSED_PAD src0_sel:WORD_1
	v_cvt_f32_f16_sdwa v23, v23 dst_sel:DWORD dst_unused:UNUSED_PAD src0_sel:WORD_1
	;; [unrolled: 1-line block ×3, first 2 shown]
	v_cvt_f32_f16_e32 v71, v26
	v_cvt_f32_f16_e32 v83, v30
	v_cvt_f32_f16_sdwa v21, v26 dst_sel:DWORD dst_unused:UNUSED_PAD src0_sel:WORD_1
	v_cvt_f32_f16_e32 v72, v25
	v_cvt_f32_f16_sdwa v26, v25 dst_sel:DWORD dst_unused:UNUSED_PAD src0_sel:WORD_1
	v_cvt_f32_f16_sdwa v25, v30 dst_sel:DWORD dst_unused:UNUSED_PAD src0_sel:WORD_1
	v_cvt_f32_f16_e32 v73, v27
	v_cvt_f32_f16_e32 v85, v31
	;; [unrolled: 1-line block ×3, first 2 shown]
	v_cvt_f32_f16_sdwa v27, v27 dst_sel:DWORD dst_unused:UNUSED_PAD src0_sel:WORD_1
	v_cvt_f32_f16_sdwa v31, v31 dst_sel:DWORD dst_unused:UNUSED_PAD src0_sel:WORD_1
	;; [unrolled: 1-line block ×3, first 2 shown]
	v_cvt_f32_f16_e32 v87, v46
	v_cvt_f32_f16_e32 v91, v50
	v_cvt_f32_f16_sdwa v29, v46 dst_sel:DWORD dst_unused:UNUSED_PAD src0_sel:WORD_1
	v_cvt_f32_f16_e32 v88, v45
	v_cvt_f32_f16_sdwa v46, v45 dst_sel:DWORD dst_unused:UNUSED_PAD src0_sel:WORD_1
	v_cvt_f32_f16_sdwa v45, v50 dst_sel:DWORD dst_unused:UNUSED_PAD src0_sel:WORD_1
	v_cvt_f32_f16_e32 v89, v47
	v_cvt_f32_f16_e32 v93, v51
	;; [unrolled: 1-line block ×3, first 2 shown]
	v_cvt_f32_f16_sdwa v47, v47 dst_sel:DWORD dst_unused:UNUSED_PAD src0_sel:WORD_1
	v_cvt_f32_f16_sdwa v51, v51 dst_sel:DWORD dst_unused:UNUSED_PAD src0_sel:WORD_1
	;; [unrolled: 1-line block ×3, first 2 shown]
	s_waitcnt vmcnt(3)
	v_cvt_f32_f16_e32 v48, v74
	v_cvt_f32_f16_sdwa v74, v74 dst_sel:DWORD dst_unused:UNUSED_PAD src0_sel:WORD_1
	v_cvt_f32_f16_e32 v94, v75
	v_cvt_f32_f16_sdwa v96, v75 dst_sel:DWORD dst_unused:UNUSED_PAD src0_sel:WORD_1
	s_waitcnt vmcnt(2)
	v_cvt_f32_f16_e32 v98, v76
	v_pk_fma_f32 v[40:41], v[54:55], v[48:49], v[40:41] op_sel_hi:[1,0,1]
	v_pk_fma_f32 v[38:39], v[58:59], v[48:49], v[38:39] op_sel_hi:[1,0,1]
	v_cvt_f32_f16_sdwa v54, v76 dst_sel:DWORD dst_unused:UNUSED_PAD src0_sel:WORD_1
	v_pk_fma_f32 v[40:41], v[52:53], v[74:75], v[40:41] op_sel_hi:[1,0,1]
	v_pk_fma_f32 v[0:1], v[0:1], v[74:75], v[38:39] op_sel_hi:[1,0,1]
	v_cvt_f32_f16_e32 v48, v77
	v_pk_fma_f32 v[40:41], v[56:57], v[94:95], v[40:41] op_sel_hi:[1,0,1]
	v_pk_fma_f32 v[0:1], v[60:61], v[94:95], v[0:1] op_sel_hi:[1,0,1]
	v_cvt_f32_f16_sdwa v58, v77 dst_sel:DWORD dst_unused:UNUSED_PAD src0_sel:WORD_1
	v_pk_fma_f32 v[2:3], v[2:3], v[96:97], v[40:41] op_sel_hi:[1,0,1]
	v_pk_fma_f32 v[0:1], v[14:15], v[96:97], v[0:1] op_sel_hi:[1,0,1]
	s_waitcnt vmcnt(1)
	v_cvt_f32_f16_e32 v76, v78
	v_pk_fma_f32 v[2:3], v[62:63], v[98:99], v[2:3] op_sel_hi:[1,0,1]
	v_pk_fma_f32 v[0:1], v[66:67], v[98:99], v[0:1] op_sel_hi:[1,0,1]
	v_cvt_f32_f16_sdwa v52, v78 dst_sel:DWORD dst_unused:UNUSED_PAD src0_sel:WORD_1
	v_pk_fma_f32 v[2:3], v[12:13], v[54:55], v[2:3] op_sel_hi:[1,0,1]
	v_pk_fma_f32 v[0:1], v[16:17], v[54:55], v[0:1] op_sel_hi:[1,0,1]
	v_cvt_f32_f16_e32 v38, v79
	v_pk_fma_f32 v[2:3], v[64:65], v[48:49], v[2:3] op_sel_hi:[1,0,1]
	v_pk_fma_f32 v[0:1], v[68:69], v[48:49], v[0:1] op_sel_hi:[1,0,1]
	v_cvt_f32_f16_sdwa v74, v79 dst_sel:DWORD dst_unused:UNUSED_PAD src0_sel:WORD_1
	v_pk_fma_f32 v[2:3], v[18:19], v[58:59], v[2:3] op_sel_hi:[1,0,1]
	v_pk_fma_f32 v[0:1], v[22:23], v[58:59], v[0:1] op_sel_hi:[1,0,1]
	;; [unrolled: 13-line block ×3, first 2 shown]
	v_pk_fma_f32 v[2:3], v[86:87], v[78:79], v[2:3] op_sel_hi:[1,0,1]
	v_pk_fma_f32 v[0:1], v[90:91], v[78:79], v[0:1] op_sel_hi:[1,0,1]
	v_pk_fma_f32 v[2:3], v[28:29], v[56:57], v[2:3] op_sel_hi:[1,0,1]
	v_pk_fma_f32 v[0:1], v[44:45], v[56:57], v[0:1] op_sel_hi:[1,0,1]
	v_pk_fma_f32 v[2:3], v[88:89], v[60:61], v[2:3] op_sel_hi:[1,0,1]
	v_pk_fma_f32 v[0:1], v[92:93], v[60:61], v[0:1] op_sel_hi:[1,0,1]
	v_pk_fma_f32 v[40:41], v[46:47], v[80:81], v[2:3] op_sel_hi:[1,0,1]
	v_pk_fma_f32 v[38:39], v[50:51], v[80:81], v[0:1] op_sel_hi:[1,0,1]
	s_andn2_b64 exec, exec, s[14:15]
	s_cbranch_execnz .LBB93_21
; %bb.22:
	s_or_b64 exec, exec, s[14:15]
.LBB93_23:
	s_or_b64 exec, exec, s[10:11]
.LBB93_24:
	s_or_b64 exec, exec, s[8:9]
	s_cbranch_execz .LBB93_26
	s_branch .LBB93_37
.LBB93_25:
                                        ; implicit-def: $vgpr39
                                        ; implicit-def: $vgpr41
.LBB93_26:
	s_mov_b32 s10, 0
	v_mov_b32_e32 v39, 0
	v_mov_b32_e32 v38, 0
	;; [unrolled: 1-line block ×4, first 2 shown]
	s_and_saveexec_b64 s[8:9], s[0:1]
	s_cbranch_execz .LBB93_36
; %bb.27:
	v_add_u32_e32 v0, v8, v33
	v_subrev_u32_e32 v0, s18, v0
	v_add_u32_e32 v0, 32, v0
	v_max_i32_e32 v0, v0, v42
	v_not_b32_e32 v1, v8
	v_add3_u32 v0, v0, s18, v1
	v_sub_u32_e32 v0, v0, v33
	v_lshrrev_b32_e32 v1, 5, v0
	v_add_u32_e32 v1, 1, v1
	v_and_b32_e32 v1, 3, v1
	s_mov_b32 s11, s10
	v_cmp_ne_u32_e32 vcc, 0, v1
	v_pk_mov_b32 v[40:41], s[10:11], s[10:11] op_sel:[0,1]
	v_pk_mov_b32 v[38:39], s[10:11], s[10:11] op_sel:[0,1]
	s_and_saveexec_b64 s[0:1], vcc
	s_cbranch_execz .LBB93_31
; %bb.28:
	v_mov_b32_e32 v38, 0
	v_lshlrev_b32_e32 v1, 5, v1
	s_mov_b64 s[10:11], 0
	v_mov_b32_e32 v2, s13
	v_mov_b32_e32 v3, s7
	;; [unrolled: 1-line block ×5, first 2 shown]
.LBB93_29:                              ; =>This Inner Loop Header: Depth=1
	v_ashrrev_i32_e32 v35, 31, v34
	v_lshlrev_b64 v[4:5], 2, v[34:35]
	v_add_co_u32_e32 v8, vcc, s12, v4
	v_addc_co_u32_e32 v9, vcc, v2, v5, vcc
	global_load_dword v10, v[8:9], off
	global_load_dwordx4 v[4:7], v[36:37], off
	v_subrev_u32_e32 v1, 32, v1
	v_add_u32_e32 v34, 32, v34
	s_waitcnt vmcnt(1)
	v_subrev_u32_e32 v8, s18, v10
	v_lshlrev_b32_e32 v8, 2, v8
	v_ashrrev_i32_e32 v9, 31, v8
	v_lshlrev_b64 v[8:9], 1, v[8:9]
	v_add_co_u32_e32 v12, vcc, s6, v8
	v_addc_co_u32_e32 v13, vcc, v3, v9, vcc
	global_load_dwordx2 v[14:15], v[12:13], off
	global_load_dwordx4 v[8:11], v[36:37], off offset:16
	s_waitcnt vmcnt(2)
	v_cvt_f32_f16_sdwa v13, v4 dst_sel:DWORD dst_unused:UNUSED_PAD src0_sel:WORD_1
	v_cvt_f32_f16_e32 v12, v4
	v_cvt_f32_f16_sdwa v17, v5 dst_sel:DWORD dst_unused:UNUSED_PAD src0_sel:WORD_1
	v_cvt_f32_f16_e32 v16, v5
	;; [unrolled: 2-line block ×4, first 2 shown]
	v_add_co_u32_e32 v36, vcc, 0x400, v36
	v_addc_co_u32_e32 v37, vcc, 0, v37, vcc
	v_cmp_eq_u32_e32 vcc, 0, v1
	s_or_b64 s[10:11], vcc, s[10:11]
	s_waitcnt vmcnt(1)
	v_cvt_f32_f16_e32 v24, v15
	s_waitcnt vmcnt(0)
	v_cvt_f32_f16_sdwa v21, v10 dst_sel:DWORD dst_unused:UNUSED_PAD src0_sel:WORD_1
	v_cvt_f32_f16_e32 v20, v10
	v_cvt_f32_f16_e32 v10, v14
	v_cvt_f32_f16_sdwa v14, v14 dst_sel:DWORD dst_unused:UNUSED_PAD src0_sel:WORD_1
	v_cvt_f32_f16_sdwa v7, v8 dst_sel:DWORD dst_unused:UNUSED_PAD src0_sel:WORD_1
	v_cvt_f32_f16_e32 v6, v8
	v_cvt_f32_f16_sdwa v23, v9 dst_sel:DWORD dst_unused:UNUSED_PAD src0_sel:WORD_1
	v_cvt_f32_f16_e32 v22, v9
	;; [unrolled: 2-line block ×3, first 2 shown]
	v_cvt_f32_f16_sdwa v26, v15 dst_sel:DWORD dst_unused:UNUSED_PAD src0_sel:WORD_1
	v_pk_fma_f32 v[12:13], v[12:13], v[10:11], v[40:41] op_sel_hi:[1,0,1]
	v_pk_fma_f32 v[10:11], v[16:17], v[10:11], v[38:39] op_sel_hi:[1,0,1]
	;; [unrolled: 1-line block ×8, first 2 shown]
	s_andn2_b64 exec, exec, s[10:11]
	s_cbranch_execnz .LBB93_29
; %bb.30:
	s_or_b64 exec, exec, s[10:11]
.LBB93_31:
	s_or_b64 exec, exec, s[0:1]
	s_movk_i32 s0, 0x5f
	v_cmp_lt_u32_e32 vcc, s0, v0
	s_and_saveexec_b64 s[0:1], vcc
	s_cbranch_execz .LBB93_35
; %bb.32:
	s_mov_b64 s[10:11], 0
	v_mov_b32_e32 v43, s13
	v_mov_b32_e32 v44, s7
.LBB93_33:                              ; =>This Inner Loop Header: Depth=1
	global_load_dwordx4 v[0:3], v[36:37], off
	global_load_dwordx4 v[4:7], v[36:37], off offset:16
	global_load_dwordx4 v[12:15], v[36:37], off offset:1024
	;; [unrolled: 1-line block ×7, first 2 shown]
	v_ashrrev_i32_e32 v35, 31, v34
	v_add_co_u32_e32 v36, vcc, 0x1000, v36
	v_lshlrev_b64 v[46:47], 2, v[34:35]
	v_addc_co_u32_e32 v37, vcc, 0, v37, vcc
	v_add_co_u32_e32 v46, vcc, s12, v46
	v_addc_co_u32_e32 v47, vcc, v43, v47, vcc
	global_load_dword v35, v[46:47], off
	global_load_dword v45, v[46:47], off offset:128
	global_load_dword v60, v[46:47], off offset:256
	;; [unrolled: 1-line block ×3, first 2 shown]
	v_add_u32_e32 v34, 0x80, v34
	v_cmp_ge_i32_e32 vcc, v34, v42
	s_or_b64 s[10:11], vcc, s[10:11]
	s_waitcnt vmcnt(11)
	v_cvt_f32_f16_sdwa v47, v0 dst_sel:DWORD dst_unused:UNUSED_PAD src0_sel:WORD_1
	v_cvt_f32_f16_e32 v46, v0
	v_cvt_f32_f16_sdwa v49, v1 dst_sel:DWORD dst_unused:UNUSED_PAD src0_sel:WORD_1
	v_cvt_f32_f16_e32 v48, v1
	;; [unrolled: 2-line block ×4, first 2 shown]
	s_waitcnt vmcnt(10)
	v_cvt_f32_f16_sdwa v3, v4 dst_sel:DWORD dst_unused:UNUSED_PAD src0_sel:WORD_1
	v_cvt_f32_f16_e32 v2, v4
	v_cvt_f32_f16_sdwa v53, v6 dst_sel:DWORD dst_unused:UNUSED_PAD src0_sel:WORD_1
	v_cvt_f32_f16_e32 v52, v6
	;; [unrolled: 2-line block ×4, first 2 shown]
	s_waitcnt vmcnt(9)
	v_cvt_f32_f16_sdwa v7, v12 dst_sel:DWORD dst_unused:UNUSED_PAD src0_sel:WORD_1
	v_cvt_f32_f16_e32 v6, v12
	v_cvt_f32_f16_sdwa v57, v13 dst_sel:DWORD dst_unused:UNUSED_PAD src0_sel:WORD_1
	v_cvt_f32_f16_e32 v56, v13
	;; [unrolled: 2-line block ×3, first 2 shown]
	s_waitcnt vmcnt(3)
	v_subrev_u32_e32 v14, s18, v35
	s_waitcnt vmcnt(2)
	v_subrev_u32_e32 v35, s18, v45
	s_waitcnt vmcnt(1)
	v_subrev_u32_e32 v45, s18, v60
	s_waitcnt vmcnt(0)
	v_subrev_u32_e32 v61, s18, v61
	v_lshlrev_b32_e32 v60, 2, v14
	v_lshlrev_b32_e32 v66, 2, v61
	v_ashrrev_i32_e32 v61, 31, v60
	v_lshlrev_b32_e32 v62, 2, v35
	v_lshlrev_b64 v[60:61], 1, v[60:61]
	v_ashrrev_i32_e32 v63, 31, v62
	v_add_co_u32_e32 v60, vcc, s6, v60
	v_lshlrev_b32_e32 v64, 2, v45
	v_lshlrev_b64 v[62:63], 1, v[62:63]
	v_addc_co_u32_e32 v61, vcc, v44, v61, vcc
	v_ashrrev_i32_e32 v65, 31, v64
	v_add_co_u32_e32 v62, vcc, s6, v62
	v_lshlrev_b64 v[64:65], 1, v[64:65]
	v_addc_co_u32_e32 v63, vcc, v44, v63, vcc
	v_ashrrev_i32_e32 v67, 31, v66
	v_add_co_u32_e32 v64, vcc, s6, v64
	v_lshlrev_b64 v[66:67], 1, v[66:67]
	v_addc_co_u32_e32 v65, vcc, v44, v65, vcc
	v_add_co_u32_e32 v66, vcc, s6, v66
	v_addc_co_u32_e32 v67, vcc, v44, v67, vcc
	global_load_dwordx2 v[68:69], v[60:61], off
	global_load_dwordx2 v[70:71], v[62:63], off
	;; [unrolled: 1-line block ×4, first 2 shown]
	v_cvt_f32_f16_sdwa v85, v26 dst_sel:DWORD dst_unused:UNUSED_PAD src0_sel:WORD_1
	v_cvt_f32_f16_e32 v84, v26
	v_cvt_f32_f16_sdwa v59, v15 dst_sel:DWORD dst_unused:UNUSED_PAD src0_sel:WORD_1
	v_cvt_f32_f16_e32 v58, v15
	;; [unrolled: 2-line block ×21, first 2 shown]
	s_waitcnt vmcnt(3)
	v_cvt_f32_f16_e32 v26, v68
	v_cvt_f32_f16_sdwa v68, v68 dst_sel:DWORD dst_unused:UNUSED_PAD src0_sel:WORD_1
	v_cvt_f32_f16_e32 v88, v69
	v_cvt_f32_f16_sdwa v90, v69 dst_sel:DWORD dst_unused:UNUSED_PAD src0_sel:WORD_1
	s_waitcnt vmcnt(2)
	v_cvt_f32_f16_e32 v92, v70
	v_pk_fma_f32 v[40:41], v[46:47], v[26:27], v[40:41] op_sel_hi:[1,0,1]
	v_pk_fma_f32 v[26:27], v[48:49], v[26:27], v[38:39] op_sel_hi:[1,0,1]
	v_cvt_f32_f16_sdwa v46, v70 dst_sel:DWORD dst_unused:UNUSED_PAD src0_sel:WORD_1
	v_pk_fma_f32 v[0:1], v[0:1], v[68:69], v[40:41] op_sel_hi:[1,0,1]
	v_pk_fma_f32 v[26:27], v[50:51], v[68:69], v[26:27] op_sel_hi:[1,0,1]
	v_cvt_f32_f16_e32 v38, v71
	v_pk_fma_f32 v[0:1], v[2:3], v[88:89], v[0:1] op_sel_hi:[1,0,1]
	v_pk_fma_f32 v[26:27], v[54:55], v[88:89], v[26:27] op_sel_hi:[1,0,1]
	v_cvt_f32_f16_sdwa v48, v71 dst_sel:DWORD dst_unused:UNUSED_PAD src0_sel:WORD_1
	v_pk_fma_f32 v[0:1], v[52:53], v[90:91], v[0:1] op_sel_hi:[1,0,1]
	v_pk_fma_f32 v[4:5], v[4:5], v[90:91], v[26:27] op_sel_hi:[1,0,1]
	s_waitcnt vmcnt(1)
	v_cvt_f32_f16_e32 v70, v72
	v_pk_fma_f32 v[0:1], v[6:7], v[92:93], v[0:1] op_sel_hi:[1,0,1]
	v_pk_fma_f32 v[4:5], v[56:57], v[92:93], v[4:5] op_sel_hi:[1,0,1]
	v_cvt_f32_f16_sdwa v40, v72 dst_sel:DWORD dst_unused:UNUSED_PAD src0_sel:WORD_1
	v_pk_fma_f32 v[0:1], v[12:13], v[46:47], v[0:1] op_sel_hi:[1,0,1]
	v_pk_fma_f32 v[4:5], v[58:59], v[46:47], v[4:5] op_sel_hi:[1,0,1]
	v_cvt_f32_f16_e32 v50, v73
	v_pk_fma_f32 v[0:1], v[14:15], v[38:39], v[0:1] op_sel_hi:[1,0,1]
	v_pk_fma_f32 v[4:5], v[62:63], v[38:39], v[4:5] op_sel_hi:[1,0,1]
	v_cvt_f32_f16_sdwa v68, v73 dst_sel:DWORD dst_unused:UNUSED_PAD src0_sel:WORD_1
	v_pk_fma_f32 v[0:1], v[60:61], v[48:49], v[0:1] op_sel_hi:[1,0,1]
	v_pk_fma_f32 v[4:5], v[8:9], v[48:49], v[4:5] op_sel_hi:[1,0,1]
	;; [unrolled: 13-line block ×3, first 2 shown]
	v_pk_fma_f32 v[0:1], v[22:23], v[72:73], v[0:1] op_sel_hi:[1,0,1]
	v_pk_fma_f32 v[4:5], v[80:81], v[72:73], v[4:5] op_sel_hi:[1,0,1]
	;; [unrolled: 1-line block ×8, first 2 shown]
	s_andn2_b64 exec, exec, s[10:11]
	s_cbranch_execnz .LBB93_33
; %bb.34:
	s_or_b64 exec, exec, s[10:11]
.LBB93_35:
	s_or_b64 exec, exec, s[0:1]
.LBB93_36:
	s_or_b64 exec, exec, s[8:9]
.LBB93_37:
	v_mov_b32_dpp v0, v40 row_shr:1 row_mask:0xf bank_mask:0xf
	v_mov_b32_dpp v1, v41 row_shr:1 row_mask:0xf bank_mask:0xf
	;; [unrolled: 1-line block ×4, first 2 shown]
	v_pk_add_f32 v[0:1], v[40:41], v[0:1]
	v_pk_add_f32 v[4:5], v[38:39], v[4:5]
	v_cmp_eq_u32_e32 vcc, 31, v33
	v_mov_b32_dpp v2, v0 row_shr:2 row_mask:0xf bank_mask:0xf
	v_mov_b32_dpp v3, v1 row_shr:2 row_mask:0xf bank_mask:0xf
	v_mov_b32_dpp v6, v4 row_shr:2 row_mask:0xf bank_mask:0xf
	v_mov_b32_dpp v7, v5 row_shr:2 row_mask:0xf bank_mask:0xf
	v_pk_add_f32 v[0:1], v[0:1], v[2:3]
	v_pk_add_f32 v[4:5], v[4:5], v[6:7]
	s_nop 0
	v_mov_b32_dpp v2, v0 row_shr:4 row_mask:0xf bank_mask:0xe
	v_mov_b32_dpp v3, v1 row_shr:4 row_mask:0xf bank_mask:0xe
	v_mov_b32_dpp v6, v4 row_shr:4 row_mask:0xf bank_mask:0xe
	v_mov_b32_dpp v7, v5 row_shr:4 row_mask:0xf bank_mask:0xe
	v_pk_add_f32 v[0:1], v[0:1], v[2:3]
	v_pk_add_f32 v[4:5], v[4:5], v[6:7]
	s_nop 0
	;; [unrolled: 7-line block ×3, first 2 shown]
	v_mov_b32_dpp v2, v0 row_bcast:15 row_mask:0xa bank_mask:0xf
	v_mov_b32_dpp v3, v1 row_bcast:15 row_mask:0xa bank_mask:0xf
	;; [unrolled: 1-line block ×4, first 2 shown]
	s_and_b64 exec, exec, vcc
	s_cbranch_execz .LBB93_10
; %bb.38:
	s_load_dwordx2 s[0:1], s[4:5], 0x50
	v_cmp_eq_f32_e64 s[4:5], s16, 0
	v_pk_add_f32 v[2:3], v[0:1], v[2:3]
	v_pk_add_f32 v[0:1], v[4:5], v[6:7]
	s_and_b64 vcc, exec, s[4:5]
	v_lshlrev_b32_e32 v4, 2, v32
	s_cbranch_vccz .LBB93_40
; %bb.39:
	v_ashrrev_i32_e32 v5, 31, v4
	v_lshlrev_b64 v[6:7], 2, v[4:5]
	s_waitcnt lgkmcnt(0)
	v_mov_b32_e32 v5, s1
	v_add_co_u32_e32 v10, vcc, s0, v6
	v_addc_co_u32_e32 v11, vcc, v5, v7, vcc
	v_pk_mul_f32 v[6:7], s[2:3], v[2:3] op_sel_hi:[0,1]
	v_pk_mul_f32 v[8:9], s[2:3], v[0:1] op_sel_hi:[0,1]
	global_store_dwordx4 v[10:11], v[6:9], off
	s_cbranch_execnz .LBB93_10
	s_branch .LBB93_41
.LBB93_40:
.LBB93_41:
	v_ashrrev_i32_e32 v5, 31, v4
	v_lshlrev_b64 v[4:5], 2, v[4:5]
	s_waitcnt lgkmcnt(0)
	v_mov_b32_e32 v6, s1
	v_add_co_u32_e32 v8, vcc, s0, v4
	v_addc_co_u32_e32 v9, vcc, v6, v5, vcc
	global_load_dwordx4 v[4:7], v[8:9], off
	v_pk_mul_f32 v[2:3], s[2:3], v[2:3] op_sel_hi:[0,1]
	v_pk_mul_f32 v[10:11], s[2:3], v[0:1] op_sel_hi:[0,1]
	s_waitcnt vmcnt(0)
	v_pk_fma_f32 v[0:1], s[16:17], v[4:5], v[2:3] op_sel_hi:[0,1,1]
	v_pk_fma_f32 v[2:3], s[16:17], v[6:7], v[10:11] op_sel_hi:[0,1,1]
	global_store_dwordx4 v[8:9], v[0:3], off
	s_endpgm
	.section	.rodata,"a",@progbits
	.p2align	6, 0x0
	.amdhsa_kernel _ZN9rocsparseL18bsrxmvn_4x4_kernelILj128ELj32EfiiDF16_DF16_fEEvT3_20rocsparse_direction_NS_24const_host_device_scalarIT1_EES1_PKS1_PKT2_SA_S7_PKT4_PKT5_S5_PT6_21rocsparse_index_base_b
		.amdhsa_group_segment_fixed_size 0
		.amdhsa_private_segment_fixed_size 0
		.amdhsa_kernarg_size 96
		.amdhsa_user_sgpr_count 6
		.amdhsa_user_sgpr_private_segment_buffer 1
		.amdhsa_user_sgpr_dispatch_ptr 0
		.amdhsa_user_sgpr_queue_ptr 0
		.amdhsa_user_sgpr_kernarg_segment_ptr 1
		.amdhsa_user_sgpr_dispatch_id 0
		.amdhsa_user_sgpr_flat_scratch_init 0
		.amdhsa_user_sgpr_kernarg_preload_length 0
		.amdhsa_user_sgpr_kernarg_preload_offset 0
		.amdhsa_user_sgpr_private_segment_size 0
		.amdhsa_uses_dynamic_stack 0
		.amdhsa_system_sgpr_private_segment_wavefront_offset 0
		.amdhsa_system_sgpr_workgroup_id_x 1
		.amdhsa_system_sgpr_workgroup_id_y 0
		.amdhsa_system_sgpr_workgroup_id_z 0
		.amdhsa_system_sgpr_workgroup_info 0
		.amdhsa_system_vgpr_workitem_id 0
		.amdhsa_next_free_vgpr 100
		.amdhsa_next_free_sgpr 20
		.amdhsa_accum_offset 100
		.amdhsa_reserve_vcc 1
		.amdhsa_reserve_flat_scratch 0
		.amdhsa_float_round_mode_32 0
		.amdhsa_float_round_mode_16_64 0
		.amdhsa_float_denorm_mode_32 3
		.amdhsa_float_denorm_mode_16_64 3
		.amdhsa_dx10_clamp 1
		.amdhsa_ieee_mode 1
		.amdhsa_fp16_overflow 0
		.amdhsa_tg_split 0
		.amdhsa_exception_fp_ieee_invalid_op 0
		.amdhsa_exception_fp_denorm_src 0
		.amdhsa_exception_fp_ieee_div_zero 0
		.amdhsa_exception_fp_ieee_overflow 0
		.amdhsa_exception_fp_ieee_underflow 0
		.amdhsa_exception_fp_ieee_inexact 0
		.amdhsa_exception_int_div_zero 0
	.end_amdhsa_kernel
	.section	.text._ZN9rocsparseL18bsrxmvn_4x4_kernelILj128ELj32EfiiDF16_DF16_fEEvT3_20rocsparse_direction_NS_24const_host_device_scalarIT1_EES1_PKS1_PKT2_SA_S7_PKT4_PKT5_S5_PT6_21rocsparse_index_base_b,"axG",@progbits,_ZN9rocsparseL18bsrxmvn_4x4_kernelILj128ELj32EfiiDF16_DF16_fEEvT3_20rocsparse_direction_NS_24const_host_device_scalarIT1_EES1_PKS1_PKT2_SA_S7_PKT4_PKT5_S5_PT6_21rocsparse_index_base_b,comdat
.Lfunc_end93:
	.size	_ZN9rocsparseL18bsrxmvn_4x4_kernelILj128ELj32EfiiDF16_DF16_fEEvT3_20rocsparse_direction_NS_24const_host_device_scalarIT1_EES1_PKS1_PKT2_SA_S7_PKT4_PKT5_S5_PT6_21rocsparse_index_base_b, .Lfunc_end93-_ZN9rocsparseL18bsrxmvn_4x4_kernelILj128ELj32EfiiDF16_DF16_fEEvT3_20rocsparse_direction_NS_24const_host_device_scalarIT1_EES1_PKS1_PKT2_SA_S7_PKT4_PKT5_S5_PT6_21rocsparse_index_base_b
                                        ; -- End function
	.section	.AMDGPU.csdata,"",@progbits
; Kernel info:
; codeLenInByte = 4048
; NumSgprs: 24
; NumVgprs: 100
; NumAgprs: 0
; TotalNumVgprs: 100
; ScratchSize: 0
; MemoryBound: 0
; FloatMode: 240
; IeeeMode: 1
; LDSByteSize: 0 bytes/workgroup (compile time only)
; SGPRBlocks: 2
; VGPRBlocks: 12
; NumSGPRsForWavesPerEU: 24
; NumVGPRsForWavesPerEU: 100
; AccumOffset: 100
; Occupancy: 4
; WaveLimiterHint : 1
; COMPUTE_PGM_RSRC2:SCRATCH_EN: 0
; COMPUTE_PGM_RSRC2:USER_SGPR: 6
; COMPUTE_PGM_RSRC2:TRAP_HANDLER: 0
; COMPUTE_PGM_RSRC2:TGID_X_EN: 1
; COMPUTE_PGM_RSRC2:TGID_Y_EN: 0
; COMPUTE_PGM_RSRC2:TGID_Z_EN: 0
; COMPUTE_PGM_RSRC2:TIDIG_COMP_CNT: 0
; COMPUTE_PGM_RSRC3_GFX90A:ACCUM_OFFSET: 24
; COMPUTE_PGM_RSRC3_GFX90A:TG_SPLIT: 0
	.section	.text._ZN9rocsparseL18bsrxmvn_4x4_kernelILj128ELj64EfiiDF16_DF16_fEEvT3_20rocsparse_direction_NS_24const_host_device_scalarIT1_EES1_PKS1_PKT2_SA_S7_PKT4_PKT5_S5_PT6_21rocsparse_index_base_b,"axG",@progbits,_ZN9rocsparseL18bsrxmvn_4x4_kernelILj128ELj64EfiiDF16_DF16_fEEvT3_20rocsparse_direction_NS_24const_host_device_scalarIT1_EES1_PKS1_PKT2_SA_S7_PKT4_PKT5_S5_PT6_21rocsparse_index_base_b,comdat
	.globl	_ZN9rocsparseL18bsrxmvn_4x4_kernelILj128ELj64EfiiDF16_DF16_fEEvT3_20rocsparse_direction_NS_24const_host_device_scalarIT1_EES1_PKS1_PKT2_SA_S7_PKT4_PKT5_S5_PT6_21rocsparse_index_base_b ; -- Begin function _ZN9rocsparseL18bsrxmvn_4x4_kernelILj128ELj64EfiiDF16_DF16_fEEvT3_20rocsparse_direction_NS_24const_host_device_scalarIT1_EES1_PKS1_PKT2_SA_S7_PKT4_PKT5_S5_PT6_21rocsparse_index_base_b
	.p2align	8
	.type	_ZN9rocsparseL18bsrxmvn_4x4_kernelILj128ELj64EfiiDF16_DF16_fEEvT3_20rocsparse_direction_NS_24const_host_device_scalarIT1_EES1_PKS1_PKT2_SA_S7_PKT4_PKT5_S5_PT6_21rocsparse_index_base_b,@function
_ZN9rocsparseL18bsrxmvn_4x4_kernelILj128ELj64EfiiDF16_DF16_fEEvT3_20rocsparse_direction_NS_24const_host_device_scalarIT1_EES1_PKS1_PKT2_SA_S7_PKT4_PKT5_S5_PT6_21rocsparse_index_base_b: ; @_ZN9rocsparseL18bsrxmvn_4x4_kernelILj128ELj64EfiiDF16_DF16_fEEvT3_20rocsparse_direction_NS_24const_host_device_scalarIT1_EES1_PKS1_PKT2_SA_S7_PKT4_PKT5_S5_PT6_21rocsparse_index_base_b
; %bb.0:
	s_load_dwordx2 s[18:19], s[4:5], 0x58
	s_load_dwordx2 s[2:3], s[4:5], 0x8
	;; [unrolled: 1-line block ×3, first 2 shown]
	s_waitcnt lgkmcnt(0)
	s_bitcmp1_b32 s19, 0
	s_cselect_b64 s[8:9], -1, 0
	s_xor_b64 s[0:1], s[8:9], -1
	s_and_b64 vcc, exec, s[8:9]
	s_cbranch_vccnz .LBB94_2
; %bb.1:
	s_load_dword s2, s[2:3], 0x0
.LBB94_2:
	s_andn2_b64 vcc, exec, s[0:1]
	s_cbranch_vccnz .LBB94_4
; %bb.3:
	s_load_dword s16, s[16:17], 0x0
.LBB94_4:
	s_waitcnt lgkmcnt(0)
	v_cmp_neq_f32_e64 s[0:1], s2, 0
	v_cmp_neq_f32_e64 s[8:9], s16, 1.0
	s_or_b64 s[0:1], s[0:1], s[8:9]
	s_andn2_b64 vcc, exec, s[0:1]
	s_cbranch_vccnz .LBB94_10
; %bb.5:
	s_load_dwordx2 s[8:9], s[4:5], 0x18
	s_load_dwordx2 s[0:1], s[4:5], 0x0
	v_lshrrev_b32_e32 v1, 6, v0
	v_lshl_or_b32 v16, s6, 1, v1
	s_mov_b64 s[6:7], 0
	s_waitcnt lgkmcnt(0)
	s_cmp_lg_u64 s[8:9], 0
	s_cbranch_scc0 .LBB94_11
; %bb.6:
	s_load_dword s3, s[4:5], 0x10
                                        ; implicit-def: $vgpr1
	s_waitcnt lgkmcnt(0)
	v_cmp_gt_i32_e32 vcc, s3, v16
	s_and_saveexec_b64 s[10:11], vcc
	s_xor_b64 s[10:11], exec, s[10:11]
	s_cbranch_execz .LBB94_8
; %bb.7:
	v_ashrrev_i32_e32 v17, 31, v16
	v_lshlrev_b64 v[2:3], 2, v[16:17]
	v_mov_b32_e32 v1, s9
	v_add_co_u32_e32 v2, vcc, s8, v2
	v_addc_co_u32_e32 v3, vcc, v1, v3, vcc
	global_load_dword v1, v[2:3], off
	s_mov_b64 s[6:7], exec
	s_waitcnt vmcnt(0)
	v_subrev_u32_e32 v1, s18, v1
.LBB94_8:
	s_or_b64 exec, exec, s[10:11]
	s_branch .LBB94_12
.LBB94_9:
	v_cmp_gt_i32_e32 vcc, s0, v16
	s_andn2_b64 s[6:7], s[6:7], exec
	s_and_b64 s[8:9], vcc, exec
	s_or_b64 s[6:7], s[6:7], s[8:9]
	s_and_saveexec_b64 s[8:9], s[6:7]
	s_cbranch_execnz .LBB94_13
.LBB94_10:
	s_endpgm
.LBB94_11:
                                        ; implicit-def: $vgpr1
	s_cbranch_execnz .LBB94_9
.LBB94_12:
	v_mov_b32_e32 v16, v1
	s_and_saveexec_b64 s[8:9], s[6:7]
	s_cbranch_execz .LBB94_10
.LBB94_13:
	s_load_dwordx8 s[8:15], s[4:5], 0x20
	v_ashrrev_i32_e32 v17, 31, v16
	v_lshlrev_b64 v[2:3], 2, v[16:17]
	v_and_b32_e32 v17, 63, v0
	s_load_dwordx2 s[6:7], s[4:5], 0x40
	s_waitcnt lgkmcnt(0)
	v_mov_b32_e32 v1, s9
	v_add_co_u32_e32 v4, vcc, s8, v2
	v_addc_co_u32_e32 v5, vcc, v1, v3, vcc
	v_add_co_u32_e32 v1, vcc, 4, v4
	global_load_dword v8, v[4:5], off
	v_addc_co_u32_e32 v4, vcc, 0, v5, vcc
	v_mov_b32_e32 v5, s11
	v_add_co_u32_e32 v2, vcc, s10, v2
	s_cmp_eq_u64 s[10:11], 0
	v_addc_co_u32_e32 v3, vcc, v5, v3, vcc
	s_cselect_b64 vcc, -1, 0
	v_cndmask_b32_e32 v3, v3, v4, vcc
	v_cndmask_b32_e32 v2, v2, v1, vcc
	global_load_dword v1, v[2:3], off
	v_mov_b32_e32 v2, s15
	s_cmp_eq_u32 s1, 1
	s_waitcnt vmcnt(1)
	v_subrev_u32_e32 v0, s18, v8
	v_add_u32_e32 v18, v0, v17
	v_ashrrev_i32_e32 v19, 31, v18
	s_waitcnt vmcnt(0)
	v_subrev_u32_e32 v28, s18, v1
	v_lshlrev_b64 v[0:1], 5, v[18:19]
	v_add_co_u32_e32 v20, vcc, s14, v0
	v_addc_co_u32_e32 v21, vcc, v2, v1, vcc
	v_cmp_lt_i32_e64 s[0:1], v18, v28
	s_cbranch_scc1 .LBB94_25
; %bb.14:
	s_mov_b32 s10, 0
	v_mov_b32_e32 v23, 0
	v_mov_b32_e32 v22, 0
	v_mov_b32_e32 v25, 0
	v_mov_b32_e32 v24, 0
	s_and_saveexec_b64 s[8:9], s[0:1]
	s_cbranch_execz .LBB94_24
; %bb.15:
	v_add_u32_e32 v0, v8, v17
	v_subrev_u32_e32 v0, s18, v0
	v_add_u32_e32 v0, 64, v0
	v_max_i32_e32 v0, v0, v28
	v_not_b32_e32 v1, v8
	v_add3_u32 v0, v0, s18, v1
	v_sub_u32_e32 v0, v0, v17
	v_lshrrev_b32_e32 v1, 6, v0
	v_add_u32_e32 v1, 1, v1
	v_and_b32_e32 v1, 3, v1
	s_mov_b32 s11, s10
	v_cmp_ne_u32_e32 vcc, 0, v1
	v_pk_mov_b32 v[24:25], s[10:11], s[10:11] op_sel:[0,1]
	v_pk_mov_b32 v[22:23], s[10:11], s[10:11] op_sel:[0,1]
	v_mov_b32_e32 v4, v18
	v_pk_mov_b32 v[6:7], v[20:21], v[20:21] op_sel:[0,1]
	s_and_saveexec_b64 s[10:11], vcc
	s_cbranch_execz .LBB94_19
; %bb.16:
	v_mov_b32_e32 v22, 0
	v_lshlrev_b32_e32 v1, 5, v1
	s_mov_b64 s[14:15], 0
	v_mov_b32_e32 v2, s13
	v_mov_b32_e32 v3, s7
	v_pk_mov_b32 v[6:7], v[20:21], v[20:21] op_sel:[0,1]
	v_mov_b32_e32 v4, v18
	v_mov_b32_e32 v23, v22
	;; [unrolled: 1-line block ×4, first 2 shown]
.LBB94_17:                              ; =>This Inner Loop Header: Depth=1
	v_ashrrev_i32_e32 v5, 31, v4
	v_lshlrev_b64 v[10:11], 2, v[4:5]
	v_add_co_u32_e32 v14, vcc, s12, v10
	v_addc_co_u32_e32 v15, vcc, v2, v11, vcc
	global_load_dword v5, v[14:15], off
	global_load_dwordx4 v[10:13], v[6:7], off
	global_load_dwordx4 v[30:33], v[6:7], off offset:16
	v_subrev_u32_e32 v1, 32, v1
	v_add_u32_e32 v4, 64, v4
	s_waitcnt vmcnt(2)
	v_subrev_u32_e32 v5, s18, v5
	v_lshlrev_b32_e32 v14, 2, v5
	v_ashrrev_i32_e32 v15, 31, v14
	v_lshlrev_b64 v[14:15], 1, v[14:15]
	v_add_co_u32_e32 v14, vcc, s6, v14
	v_addc_co_u32_e32 v15, vcc, v3, v15, vcc
	global_load_dwordx2 v[14:15], v[14:15], off
	s_waitcnt vmcnt(2)
	v_cvt_f32_f16_e32 v35, v12
	v_cvt_f32_f16_e32 v34, v10
	s_waitcnt vmcnt(1)
	v_cvt_f32_f16_e32 v39, v32
	v_cvt_f32_f16_e32 v38, v30
	v_cvt_f32_f16_sdwa v40, v30 dst_sel:DWORD dst_unused:UNUSED_PAD src0_sel:WORD_1
	v_cvt_f32_f16_sdwa v37, v12 dst_sel:DWORD dst_unused:UNUSED_PAD src0_sel:WORD_1
	;; [unrolled: 1-line block ×4, first 2 shown]
	v_cvt_f32_f16_e32 v26, v11
	v_cvt_f32_f16_e32 v27, v13
	v_cvt_f32_f16_sdwa v12, v11 dst_sel:DWORD dst_unused:UNUSED_PAD src0_sel:WORD_1
	v_cvt_f32_f16_e32 v10, v31
	v_cvt_f32_f16_e32 v11, v33
	v_cvt_f32_f16_sdwa v13, v13 dst_sel:DWORD dst_unused:UNUSED_PAD src0_sel:WORD_1
	v_cvt_f32_f16_sdwa v33, v33 dst_sel:DWORD dst_unused:UNUSED_PAD src0_sel:WORD_1
	;; [unrolled: 1-line block ×3, first 2 shown]
	v_add_co_u32_e32 v6, vcc, 0x800, v6
	v_addc_co_u32_e32 v7, vcc, 0, v7, vcc
	v_cmp_eq_u32_e32 vcc, 0, v1
	s_or_b64 s[14:15], vcc, s[14:15]
	s_waitcnt vmcnt(0)
	v_cvt_f32_f16_e32 v30, v14
	v_cvt_f32_f16_sdwa v14, v14 dst_sel:DWORD dst_unused:UNUSED_PAD src0_sel:WORD_1
	v_cvt_f32_f16_e32 v42, v15
	v_cvt_f32_f16_sdwa v44, v15 dst_sel:DWORD dst_unused:UNUSED_PAD src0_sel:WORD_1
	v_pk_fma_f32 v[24:25], v[34:35], v[30:31], v[24:25] op_sel_hi:[1,0,1]
	v_pk_fma_f32 v[22:23], v[38:39], v[30:31], v[22:23] op_sel_hi:[1,0,1]
	;; [unrolled: 1-line block ×8, first 2 shown]
	s_andn2_b64 exec, exec, s[14:15]
	s_cbranch_execnz .LBB94_17
; %bb.18:
	s_or_b64 exec, exec, s[14:15]
.LBB94_19:
	s_or_b64 exec, exec, s[10:11]
	s_movk_i32 s3, 0xbf
	v_cmp_lt_u32_e32 vcc, s3, v0
	s_and_saveexec_b64 s[10:11], vcc
	s_cbranch_execz .LBB94_23
; %bb.20:
	s_mov_b64 s[14:15], 0
	v_mov_b32_e32 v9, s13
	v_mov_b32_e32 v10, s7
	s_movk_i32 s3, 0x1000
.LBB94_21:                              ; =>This Inner Loop Header: Depth=1
	v_add_co_u32_e32 v26, vcc, s3, v6
	v_addc_co_u32_e32 v27, vcc, 0, v7, vcc
	global_load_dwordx4 v[0:3], v[6:7], off
	v_ashrrev_i32_e32 v5, 31, v4
	global_load_dwordx4 v[12:15], v[6:7], off offset:16
	global_load_dwordx4 v[30:33], v[6:7], off offset:2048
	;; [unrolled: 1-line block ×3, first 2 shown]
	v_add_co_u32_e32 v6, vcc, 0x2000, v6
	v_lshlrev_b64 v[54:55], 2, v[4:5]
	v_addc_co_u32_e32 v7, vcc, 0, v7, vcc
	global_load_dwordx4 v[38:41], v[26:27], off
	global_load_dwordx4 v[42:45], v[26:27], off offset:16
	global_load_dwordx4 v[46:49], v[26:27], off offset:2048
	;; [unrolled: 1-line block ×3, first 2 shown]
	v_add_co_u32_e32 v26, vcc, s12, v54
	v_addc_co_u32_e32 v27, vcc, v9, v55, vcc
	global_load_dword v5, v[26:27], off
	global_load_dword v11, v[26:27], off offset:256
	global_load_dword v19, v[26:27], off offset:512
	;; [unrolled: 1-line block ×3, first 2 shown]
	v_add_u32_e32 v4, 0x100, v4
	v_cmp_ge_i32_e32 vcc, v4, v28
	s_or_b64 s[14:15], vcc, s[14:15]
	s_waitcnt vmcnt(10)
	v_cvt_f32_f16_e32 v59, v14
	v_cvt_f32_f16_e32 v55, v2
	;; [unrolled: 1-line block ×4, first 2 shown]
	v_cvt_f32_f16_sdwa v57, v2 dst_sel:DWORD dst_unused:UNUSED_PAD src0_sel:WORD_1
	v_cvt_f32_f16_sdwa v56, v0 dst_sel:DWORD dst_unused:UNUSED_PAD src0_sel:WORD_1
	;; [unrolled: 1-line block ×4, first 2 shown]
	s_waitcnt vmcnt(4)
	v_cvt_f32_f16_e32 v90, v50
	v_cvt_f32_f16_sdwa v92, v50 dst_sel:DWORD dst_unused:UNUSED_PAD src0_sel:WORD_1
	s_waitcnt vmcnt(3)
	v_subrev_u32_e32 v5, s18, v5
	v_lshlrev_b32_e32 v66, 2, v5
	s_waitcnt vmcnt(2)
	v_subrev_u32_e32 v11, s18, v11
	v_ashrrev_i32_e32 v67, 31, v66
	v_lshlrev_b32_e32 v68, 2, v11
	v_lshlrev_b64 v[66:67], 1, v[66:67]
	s_waitcnt vmcnt(1)
	v_subrev_u32_e32 v19, s18, v19
	v_ashrrev_i32_e32 v69, 31, v68
	v_add_co_u32_e32 v66, vcc, s6, v66
	v_lshlrev_b32_e32 v70, 2, v19
	v_lshlrev_b64 v[68:69], 1, v[68:69]
	v_addc_co_u32_e32 v67, vcc, v10, v67, vcc
	s_waitcnt vmcnt(0)
	v_subrev_u32_e32 v29, s18, v29
	v_ashrrev_i32_e32 v71, 31, v70
	v_add_co_u32_e32 v68, vcc, s6, v68
	v_lshlrev_b32_e32 v72, 2, v29
	v_lshlrev_b64 v[70:71], 1, v[70:71]
	v_addc_co_u32_e32 v69, vcc, v10, v69, vcc
	v_ashrrev_i32_e32 v73, 31, v72
	v_add_co_u32_e32 v70, vcc, s6, v70
	v_lshlrev_b64 v[72:73], 1, v[72:73]
	v_addc_co_u32_e32 v71, vcc, v10, v71, vcc
	v_add_co_u32_e32 v72, vcc, s6, v72
	v_addc_co_u32_e32 v73, vcc, v10, v73, vcc
	global_load_dwordx2 v[74:75], v[66:67], off
	global_load_dwordx2 v[76:77], v[68:69], off
	;; [unrolled: 1-line block ×4, first 2 shown]
	v_cvt_f32_f16_e32 v26, v1
	v_cvt_f32_f16_e32 v27, v3
	v_cvt_f32_f16_sdwa v2, v1 dst_sel:DWORD dst_unused:UNUSED_PAD src0_sel:WORD_1
	v_cvt_f32_f16_e32 v0, v13
	v_cvt_f32_f16_e32 v1, v15
	v_cvt_f32_f16_sdwa v3, v3 dst_sel:DWORD dst_unused:UNUSED_PAD src0_sel:WORD_1
	v_cvt_f32_f16_sdwa v15, v15 dst_sel:DWORD dst_unused:UNUSED_PAD src0_sel:WORD_1
	;; [unrolled: 1-line block ×3, first 2 shown]
	v_cvt_f32_f16_e32 v63, v32
	v_cvt_f32_f16_e32 v62, v30
	v_cvt_f32_f16_e32 v67, v36
	v_cvt_f32_f16_e32 v66, v34
	v_cvt_f32_f16_sdwa v65, v32 dst_sel:DWORD dst_unused:UNUSED_PAD src0_sel:WORD_1
	v_cvt_f32_f16_sdwa v64, v30 dst_sel:DWORD dst_unused:UNUSED_PAD src0_sel:WORD_1
	;; [unrolled: 1-line block ×4, first 2 shown]
	v_cvt_f32_f16_e32 v12, v31
	v_cvt_f32_f16_e32 v13, v33
	v_cvt_f32_f16_sdwa v32, v31 dst_sel:DWORD dst_unused:UNUSED_PAD src0_sel:WORD_1
	v_cvt_f32_f16_e32 v30, v35
	v_cvt_f32_f16_e32 v31, v37
	v_cvt_f32_f16_sdwa v33, v33 dst_sel:DWORD dst_unused:UNUSED_PAD src0_sel:WORD_1
	v_cvt_f32_f16_sdwa v37, v37 dst_sel:DWORD dst_unused:UNUSED_PAD src0_sel:WORD_1
	;; [unrolled: 1-line block ×3, first 2 shown]
	v_cvt_f32_f16_e32 v71, v40
	v_cvt_f32_f16_e32 v70, v38
	;; [unrolled: 1-line block ×4, first 2 shown]
	v_cvt_f32_f16_sdwa v73, v40 dst_sel:DWORD dst_unused:UNUSED_PAD src0_sel:WORD_1
	v_cvt_f32_f16_sdwa v72, v38 dst_sel:DWORD dst_unused:UNUSED_PAD src0_sel:WORD_1
	;; [unrolled: 1-line block ×4, first 2 shown]
	v_cvt_f32_f16_e32 v34, v39
	v_cvt_f32_f16_e32 v35, v41
	v_cvt_f32_f16_sdwa v40, v39 dst_sel:DWORD dst_unused:UNUSED_PAD src0_sel:WORD_1
	v_cvt_f32_f16_e32 v38, v43
	v_cvt_f32_f16_e32 v39, v45
	v_cvt_f32_f16_sdwa v41, v41 dst_sel:DWORD dst_unused:UNUSED_PAD src0_sel:WORD_1
	v_cvt_f32_f16_sdwa v45, v45 dst_sel:DWORD dst_unused:UNUSED_PAD src0_sel:WORD_1
	;; [unrolled: 1-line block ×3, first 2 shown]
	v_cvt_f32_f16_e32 v87, v48
	v_cvt_f32_f16_e32 v86, v46
	;; [unrolled: 1-line block ×3, first 2 shown]
	v_cvt_f32_f16_sdwa v89, v48 dst_sel:DWORD dst_unused:UNUSED_PAD src0_sel:WORD_1
	v_cvt_f32_f16_sdwa v88, v46 dst_sel:DWORD dst_unused:UNUSED_PAD src0_sel:WORD_1
	;; [unrolled: 1-line block ×3, first 2 shown]
	v_cvt_f32_f16_e32 v42, v47
	v_cvt_f32_f16_e32 v43, v49
	v_cvt_f32_f16_sdwa v48, v47 dst_sel:DWORD dst_unused:UNUSED_PAD src0_sel:WORD_1
	v_cvt_f32_f16_e32 v46, v51
	v_cvt_f32_f16_e32 v47, v53
	v_cvt_f32_f16_sdwa v49, v49 dst_sel:DWORD dst_unused:UNUSED_PAD src0_sel:WORD_1
	v_cvt_f32_f16_sdwa v53, v53 dst_sel:DWORD dst_unused:UNUSED_PAD src0_sel:WORD_1
	;; [unrolled: 1-line block ×3, first 2 shown]
	s_waitcnt vmcnt(3)
	v_cvt_f32_f16_e32 v50, v74
	v_cvt_f32_f16_sdwa v74, v74 dst_sel:DWORD dst_unused:UNUSED_PAD src0_sel:WORD_1
	v_cvt_f32_f16_e32 v94, v75
	v_cvt_f32_f16_sdwa v96, v75 dst_sel:DWORD dst_unused:UNUSED_PAD src0_sel:WORD_1
	s_waitcnt vmcnt(2)
	v_cvt_f32_f16_e32 v98, v76
	v_pk_fma_f32 v[24:25], v[54:55], v[50:51], v[24:25] op_sel_hi:[1,0,1]
	v_pk_fma_f32 v[22:23], v[58:59], v[50:51], v[22:23] op_sel_hi:[1,0,1]
	v_cvt_f32_f16_sdwa v54, v76 dst_sel:DWORD dst_unused:UNUSED_PAD src0_sel:WORD_1
	v_pk_fma_f32 v[24:25], v[56:57], v[74:75], v[24:25] op_sel_hi:[1,0,1]
	v_pk_fma_f32 v[22:23], v[60:61], v[74:75], v[22:23] op_sel_hi:[1,0,1]
	v_cvt_f32_f16_e32 v50, v77
	v_pk_fma_f32 v[24:25], v[26:27], v[94:95], v[24:25] op_sel_hi:[1,0,1]
	v_pk_fma_f32 v[0:1], v[0:1], v[94:95], v[22:23] op_sel_hi:[1,0,1]
	v_cvt_f32_f16_sdwa v58, v77 dst_sel:DWORD dst_unused:UNUSED_PAD src0_sel:WORD_1
	v_pk_fma_f32 v[2:3], v[2:3], v[96:97], v[24:25] op_sel_hi:[1,0,1]
	v_pk_fma_f32 v[0:1], v[14:15], v[96:97], v[0:1] op_sel_hi:[1,0,1]
	s_waitcnt vmcnt(1)
	v_cvt_f32_f16_e32 v76, v78
	v_pk_fma_f32 v[2:3], v[62:63], v[98:99], v[2:3] op_sel_hi:[1,0,1]
	v_pk_fma_f32 v[0:1], v[66:67], v[98:99], v[0:1] op_sel_hi:[1,0,1]
	v_cvt_f32_f16_sdwa v56, v78 dst_sel:DWORD dst_unused:UNUSED_PAD src0_sel:WORD_1
	v_pk_fma_f32 v[2:3], v[64:65], v[54:55], v[2:3] op_sel_hi:[1,0,1]
	v_pk_fma_f32 v[0:1], v[68:69], v[54:55], v[0:1] op_sel_hi:[1,0,1]
	v_cvt_f32_f16_e32 v60, v79
	v_pk_fma_f32 v[2:3], v[12:13], v[50:51], v[2:3] op_sel_hi:[1,0,1]
	v_pk_fma_f32 v[0:1], v[30:31], v[50:51], v[0:1] op_sel_hi:[1,0,1]
	v_cvt_f32_f16_sdwa v74, v79 dst_sel:DWORD dst_unused:UNUSED_PAD src0_sel:WORD_1
	v_pk_fma_f32 v[2:3], v[32:33], v[58:59], v[2:3] op_sel_hi:[1,0,1]
	v_pk_fma_f32 v[0:1], v[36:37], v[58:59], v[0:1] op_sel_hi:[1,0,1]
	;; [unrolled: 13-line block ×3, first 2 shown]
	v_pk_fma_f32 v[2:3], v[86:87], v[78:79], v[2:3] op_sel_hi:[1,0,1]
	v_pk_fma_f32 v[0:1], v[90:91], v[78:79], v[0:1] op_sel_hi:[1,0,1]
	;; [unrolled: 1-line block ×8, first 2 shown]
	s_andn2_b64 exec, exec, s[14:15]
	s_cbranch_execnz .LBB94_21
; %bb.22:
	s_or_b64 exec, exec, s[14:15]
.LBB94_23:
	s_or_b64 exec, exec, s[10:11]
.LBB94_24:
	s_or_b64 exec, exec, s[8:9]
	s_cbranch_execz .LBB94_26
	s_branch .LBB94_37
.LBB94_25:
                                        ; implicit-def: $vgpr23
                                        ; implicit-def: $vgpr25
.LBB94_26:
	s_mov_b32 s10, 0
	v_mov_b32_e32 v23, 0
	v_mov_b32_e32 v22, 0
	;; [unrolled: 1-line block ×4, first 2 shown]
	s_and_saveexec_b64 s[8:9], s[0:1]
	s_cbranch_execz .LBB94_36
; %bb.27:
	v_add_u32_e32 v0, v8, v17
	v_subrev_u32_e32 v0, s18, v0
	v_add_u32_e32 v0, 64, v0
	v_max_i32_e32 v0, v0, v28
	v_not_b32_e32 v1, v8
	v_add3_u32 v0, v0, s18, v1
	v_sub_u32_e32 v0, v0, v17
	v_lshrrev_b32_e32 v1, 6, v0
	v_add_u32_e32 v1, 1, v1
	v_and_b32_e32 v1, 3, v1
	s_mov_b32 s11, s10
	v_cmp_ne_u32_e32 vcc, 0, v1
	v_pk_mov_b32 v[24:25], s[10:11], s[10:11] op_sel:[0,1]
	v_pk_mov_b32 v[22:23], s[10:11], s[10:11] op_sel:[0,1]
	s_and_saveexec_b64 s[0:1], vcc
	s_cbranch_execz .LBB94_31
; %bb.28:
	v_mov_b32_e32 v22, 0
	v_lshlrev_b32_e32 v1, 5, v1
	s_mov_b64 s[10:11], 0
	v_mov_b32_e32 v2, s13
	v_mov_b32_e32 v3, s7
	;; [unrolled: 1-line block ×5, first 2 shown]
.LBB94_29:                              ; =>This Inner Loop Header: Depth=1
	v_ashrrev_i32_e32 v19, 31, v18
	v_lshlrev_b64 v[4:5], 2, v[18:19]
	v_add_co_u32_e32 v8, vcc, s12, v4
	v_addc_co_u32_e32 v9, vcc, v2, v5, vcc
	global_load_dword v10, v[8:9], off
	global_load_dwordx4 v[4:7], v[20:21], off
	v_subrev_u32_e32 v1, 32, v1
	v_add_u32_e32 v18, 64, v18
	s_waitcnt vmcnt(1)
	v_subrev_u32_e32 v8, s18, v10
	v_lshlrev_b32_e32 v8, 2, v8
	v_ashrrev_i32_e32 v9, 31, v8
	v_lshlrev_b64 v[8:9], 1, v[8:9]
	v_add_co_u32_e32 v12, vcc, s6, v8
	v_addc_co_u32_e32 v13, vcc, v3, v9, vcc
	global_load_dwordx2 v[14:15], v[12:13], off
	global_load_dwordx4 v[8:11], v[20:21], off offset:16
	s_waitcnt vmcnt(2)
	v_cvt_f32_f16_sdwa v13, v4 dst_sel:DWORD dst_unused:UNUSED_PAD src0_sel:WORD_1
	v_cvt_f32_f16_e32 v12, v4
	v_cvt_f32_f16_sdwa v27, v6 dst_sel:DWORD dst_unused:UNUSED_PAD src0_sel:WORD_1
	v_cvt_f32_f16_e32 v26, v6
	;; [unrolled: 2-line block ×4, first 2 shown]
	v_add_co_u32_e32 v20, vcc, 0x800, v20
	v_addc_co_u32_e32 v21, vcc, 0, v21, vcc
	v_cmp_eq_u32_e32 vcc, 0, v1
	s_or_b64 s[10:11], vcc, s[10:11]
	s_waitcnt vmcnt(1)
	v_cvt_f32_f16_e32 v36, v15
	s_waitcnt vmcnt(0)
	v_cvt_f32_f16_sdwa v7, v8 dst_sel:DWORD dst_unused:UNUSED_PAD src0_sel:WORD_1
	v_cvt_f32_f16_e32 v6, v8
	v_cvt_f32_f16_sdwa v33, v9 dst_sel:DWORD dst_unused:UNUSED_PAD src0_sel:WORD_1
	v_cvt_f32_f16_e32 v32, v9
	v_cvt_f32_f16_sdwa v9, v10 dst_sel:DWORD dst_unused:UNUSED_PAD src0_sel:WORD_1
	v_cvt_f32_f16_e32 v8, v10
	v_cvt_f32_f16_e32 v10, v14
	v_cvt_f32_f16_sdwa v14, v14 dst_sel:DWORD dst_unused:UNUSED_PAD src0_sel:WORD_1
	v_cvt_f32_f16_sdwa v35, v11 dst_sel:DWORD dst_unused:UNUSED_PAD src0_sel:WORD_1
	v_cvt_f32_f16_e32 v34, v11
	v_cvt_f32_f16_sdwa v38, v15 dst_sel:DWORD dst_unused:UNUSED_PAD src0_sel:WORD_1
	v_pk_fma_f32 v[12:13], v[12:13], v[10:11], v[24:25] op_sel_hi:[1,0,1]
	v_pk_fma_f32 v[10:11], v[30:31], v[10:11], v[22:23] op_sel_hi:[1,0,1]
	;; [unrolled: 1-line block ×8, first 2 shown]
	s_andn2_b64 exec, exec, s[10:11]
	s_cbranch_execnz .LBB94_29
; %bb.30:
	s_or_b64 exec, exec, s[10:11]
.LBB94_31:
	s_or_b64 exec, exec, s[0:1]
	s_movk_i32 s0, 0xbf
	v_cmp_lt_u32_e32 vcc, s0, v0
	s_and_saveexec_b64 s[0:1], vcc
	s_cbranch_execz .LBB94_35
; %bb.32:
	s_mov_b64 s[10:11], 0
	v_mov_b32_e32 v29, s13
	v_mov_b32_e32 v30, s7
	s_movk_i32 s3, 0x1000
.LBB94_33:                              ; =>This Inner Loop Header: Depth=1
	v_add_co_u32_e32 v26, vcc, s3, v20
	v_addc_co_u32_e32 v27, vcc, 0, v21, vcc
	global_load_dwordx4 v[0:3], v[20:21], off
	global_load_dwordx4 v[4:7], v[20:21], off offset:16
	global_load_dwordx4 v[12:15], v[20:21], off offset:2048
	;; [unrolled: 1-line block ×3, first 2 shown]
	v_ashrrev_i32_e32 v19, 31, v18
	v_add_co_u32_e32 v20, vcc, 0x2000, v20
	global_load_dwordx4 v[32:35], v[26:27], off
	global_load_dwordx4 v[36:39], v[26:27], off offset:16
	global_load_dwordx4 v[40:43], v[26:27], off offset:2048
	;; [unrolled: 1-line block ×3, first 2 shown]
	v_lshlrev_b64 v[26:27], 2, v[18:19]
	v_addc_co_u32_e32 v21, vcc, 0, v21, vcc
	v_add_co_u32_e32 v26, vcc, s12, v26
	v_addc_co_u32_e32 v27, vcc, v29, v27, vcc
	global_load_dword v19, v[26:27], off
	global_load_dword v31, v[26:27], off offset:256
	global_load_dword v60, v[26:27], off offset:512
	;; [unrolled: 1-line block ×3, first 2 shown]
	v_add_u32_e32 v18, 0x100, v18
	v_cmp_ge_i32_e32 vcc, v18, v28
	s_or_b64 s[10:11], vcc, s[10:11]
	s_waitcnt vmcnt(11)
	v_cvt_f32_f16_sdwa v27, v0 dst_sel:DWORD dst_unused:UNUSED_PAD src0_sel:WORD_1
	v_cvt_f32_f16_e32 v26, v0
	s_waitcnt vmcnt(9)
	v_cvt_f32_f16_sdwa v57, v14 dst_sel:DWORD dst_unused:UNUSED_PAD src0_sel:WORD_1
	v_cvt_f32_f16_e32 v56, v14
	v_cvt_f32_f16_sdwa v51, v1 dst_sel:DWORD dst_unused:UNUSED_PAD src0_sel:WORD_1
	v_cvt_f32_f16_e32 v50, v1
	v_cvt_f32_f16_sdwa v49, v2 dst_sel:DWORD dst_unused:UNUSED_PAD src0_sel:WORD_1
	v_cvt_f32_f16_e32 v48, v2
	v_cvt_f32_f16_sdwa v1, v3 dst_sel:DWORD dst_unused:UNUSED_PAD src0_sel:WORD_1
	v_cvt_f32_f16_e32 v0, v3
	v_cvt_f32_f16_sdwa v3, v4 dst_sel:DWORD dst_unused:UNUSED_PAD src0_sel:WORD_1
	v_cvt_f32_f16_e32 v2, v4
	s_waitcnt vmcnt(3)
	v_subrev_u32_e32 v14, s18, v19
	s_waitcnt vmcnt(2)
	v_subrev_u32_e32 v19, s18, v31
	;; [unrolled: 2-line block ×4, first 2 shown]
	v_lshlrev_b32_e32 v60, 2, v14
	v_lshlrev_b32_e32 v66, 2, v61
	v_ashrrev_i32_e32 v61, 31, v60
	v_lshlrev_b32_e32 v62, 2, v19
	v_lshlrev_b64 v[60:61], 1, v[60:61]
	v_ashrrev_i32_e32 v63, 31, v62
	v_add_co_u32_e32 v60, vcc, s6, v60
	v_lshlrev_b32_e32 v64, 2, v31
	v_lshlrev_b64 v[62:63], 1, v[62:63]
	v_addc_co_u32_e32 v61, vcc, v30, v61, vcc
	v_ashrrev_i32_e32 v65, 31, v64
	v_add_co_u32_e32 v62, vcc, s6, v62
	v_lshlrev_b64 v[64:65], 1, v[64:65]
	v_addc_co_u32_e32 v63, vcc, v30, v63, vcc
	v_ashrrev_i32_e32 v67, 31, v66
	v_add_co_u32_e32 v64, vcc, s6, v64
	v_lshlrev_b64 v[66:67], 1, v[66:67]
	v_addc_co_u32_e32 v65, vcc, v30, v65, vcc
	v_add_co_u32_e32 v66, vcc, s6, v66
	v_addc_co_u32_e32 v67, vcc, v30, v67, vcc
	global_load_dwordx2 v[68:69], v[60:61], off
	global_load_dwordx2 v[70:71], v[62:63], off
	;; [unrolled: 1-line block ×4, first 2 shown]
	v_cvt_f32_f16_sdwa v53, v5 dst_sel:DWORD dst_unused:UNUSED_PAD src0_sel:WORD_1
	v_cvt_f32_f16_e32 v52, v5
	v_cvt_f32_f16_sdwa v5, v6 dst_sel:DWORD dst_unused:UNUSED_PAD src0_sel:WORD_1
	v_cvt_f32_f16_e32 v4, v6
	;; [unrolled: 2-line block ×10, first 2 shown]
	v_cvt_f32_f16_e32 v10, v32
	v_cvt_f32_f16_sdwa v11, v32 dst_sel:DWORD dst_unused:UNUSED_PAD src0_sel:WORD_1
	v_cvt_f32_f16_e32 v32, v33
	v_cvt_f32_f16_sdwa v33, v33 dst_sel:DWORD dst_unused:UNUSED_PAD src0_sel:WORD_1
	;; [unrolled: 2-line block ×16, first 2 shown]
	s_waitcnt vmcnt(3)
	v_cvt_f32_f16_e32 v86, v68
	v_cvt_f32_f16_sdwa v68, v68 dst_sel:DWORD dst_unused:UNUSED_PAD src0_sel:WORD_1
	v_cvt_f32_f16_e32 v88, v69
	v_cvt_f32_f16_sdwa v90, v69 dst_sel:DWORD dst_unused:UNUSED_PAD src0_sel:WORD_1
	s_waitcnt vmcnt(2)
	v_cvt_f32_f16_e32 v92, v70
	v_pk_fma_f32 v[24:25], v[26:27], v[86:87], v[24:25] op_sel_hi:[1,0,1]
	v_pk_fma_f32 v[22:23], v[50:51], v[86:87], v[22:23] op_sel_hi:[1,0,1]
	v_cvt_f32_f16_sdwa v26, v70 dst_sel:DWORD dst_unused:UNUSED_PAD src0_sel:WORD_1
	v_pk_fma_f32 v[24:25], v[48:49], v[68:69], v[24:25] op_sel_hi:[1,0,1]
	v_pk_fma_f32 v[0:1], v[0:1], v[68:69], v[22:23] op_sel_hi:[1,0,1]
	v_cvt_f32_f16_e32 v50, v71
	v_pk_fma_f32 v[2:3], v[2:3], v[88:89], v[24:25] op_sel_hi:[1,0,1]
	v_pk_fma_f32 v[0:1], v[52:53], v[88:89], v[0:1] op_sel_hi:[1,0,1]
	v_cvt_f32_f16_sdwa v70, v71 dst_sel:DWORD dst_unused:UNUSED_PAD src0_sel:WORD_1
	v_pk_fma_f32 v[2:3], v[4:5], v[90:91], v[2:3] op_sel_hi:[1,0,1]
	v_pk_fma_f32 v[0:1], v[54:55], v[90:91], v[0:1] op_sel_hi:[1,0,1]
	s_waitcnt vmcnt(1)
	v_cvt_f32_f16_e32 v86, v72
	v_pk_fma_f32 v[2:3], v[6:7], v[92:93], v[2:3] op_sel_hi:[1,0,1]
	v_pk_fma_f32 v[0:1], v[58:59], v[92:93], v[0:1] op_sel_hi:[1,0,1]
	v_cvt_f32_f16_sdwa v48, v72 dst_sel:DWORD dst_unused:UNUSED_PAD src0_sel:WORD_1
	v_pk_fma_f32 v[2:3], v[56:57], v[26:27], v[2:3] op_sel_hi:[1,0,1]
	v_pk_fma_f32 v[0:1], v[12:13], v[26:27], v[0:1] op_sel_hi:[1,0,1]
	v_cvt_f32_f16_e32 v22, v73
	v_pk_fma_f32 v[2:3], v[14:15], v[50:51], v[2:3] op_sel_hi:[1,0,1]
	v_pk_fma_f32 v[0:1], v[60:61], v[50:51], v[0:1] op_sel_hi:[1,0,1]
	v_cvt_f32_f16_sdwa v68, v73 dst_sel:DWORD dst_unused:UNUSED_PAD src0_sel:WORD_1
	v_pk_fma_f32 v[2:3], v[8:9], v[70:71], v[2:3] op_sel_hi:[1,0,1]
	v_pk_fma_f32 v[0:1], v[62:63], v[70:71], v[0:1] op_sel_hi:[1,0,1]
	s_waitcnt vmcnt(0)
	v_cvt_f32_f16_e32 v72, v74
	v_pk_fma_f32 v[2:3], v[10:11], v[86:87], v[2:3] op_sel_hi:[1,0,1]
	v_pk_fma_f32 v[0:1], v[32:33], v[86:87], v[0:1] op_sel_hi:[1,0,1]
	v_cvt_f32_f16_sdwa v24, v74 dst_sel:DWORD dst_unused:UNUSED_PAD src0_sel:WORD_1
	v_pk_fma_f32 v[2:3], v[64:65], v[48:49], v[2:3] op_sel_hi:[1,0,1]
	v_pk_fma_f32 v[0:1], v[34:35], v[48:49], v[0:1] op_sel_hi:[1,0,1]
	v_cvt_f32_f16_e32 v52, v75
	v_pk_fma_f32 v[2:3], v[66:67], v[22:23], v[2:3] op_sel_hi:[1,0,1]
	v_pk_fma_f32 v[0:1], v[36:37], v[22:23], v[0:1] op_sel_hi:[1,0,1]
	v_cvt_f32_f16_sdwa v74, v75 dst_sel:DWORD dst_unused:UNUSED_PAD src0_sel:WORD_1
	v_pk_fma_f32 v[2:3], v[76:77], v[68:69], v[2:3] op_sel_hi:[1,0,1]
	v_pk_fma_f32 v[0:1], v[38:39], v[68:69], v[0:1] op_sel_hi:[1,0,1]
	v_pk_fma_f32 v[2:3], v[78:79], v[72:73], v[2:3] op_sel_hi:[1,0,1]
	v_pk_fma_f32 v[0:1], v[40:41], v[72:73], v[0:1] op_sel_hi:[1,0,1]
	;; [unrolled: 1-line block ×8, first 2 shown]
	s_andn2_b64 exec, exec, s[10:11]
	s_cbranch_execnz .LBB94_33
; %bb.34:
	s_or_b64 exec, exec, s[10:11]
.LBB94_35:
	s_or_b64 exec, exec, s[0:1]
.LBB94_36:
	s_or_b64 exec, exec, s[8:9]
.LBB94_37:
	v_mov_b32_dpp v0, v24 row_shr:1 row_mask:0xf bank_mask:0xf
	v_mov_b32_dpp v1, v25 row_shr:1 row_mask:0xf bank_mask:0xf
	v_mov_b32_dpp v4, v22 row_shr:1 row_mask:0xf bank_mask:0xf
	v_mov_b32_dpp v5, v23 row_shr:1 row_mask:0xf bank_mask:0xf
	v_pk_add_f32 v[0:1], v[24:25], v[0:1]
	v_pk_add_f32 v[4:5], v[22:23], v[4:5]
	v_cmp_eq_u32_e32 vcc, 63, v17
	v_mov_b32_dpp v2, v0 row_shr:2 row_mask:0xf bank_mask:0xf
	v_mov_b32_dpp v3, v1 row_shr:2 row_mask:0xf bank_mask:0xf
	v_mov_b32_dpp v6, v4 row_shr:2 row_mask:0xf bank_mask:0xf
	v_mov_b32_dpp v7, v5 row_shr:2 row_mask:0xf bank_mask:0xf
	v_pk_add_f32 v[0:1], v[0:1], v[2:3]
	v_pk_add_f32 v[4:5], v[4:5], v[6:7]
	s_nop 0
	v_mov_b32_dpp v2, v0 row_shr:4 row_mask:0xf bank_mask:0xe
	v_mov_b32_dpp v3, v1 row_shr:4 row_mask:0xf bank_mask:0xe
	v_mov_b32_dpp v6, v4 row_shr:4 row_mask:0xf bank_mask:0xe
	v_mov_b32_dpp v7, v5 row_shr:4 row_mask:0xf bank_mask:0xe
	v_pk_add_f32 v[0:1], v[0:1], v[2:3]
	v_pk_add_f32 v[4:5], v[4:5], v[6:7]
	s_nop 0
	v_mov_b32_dpp v2, v0 row_shr:8 row_mask:0xf bank_mask:0xc
	v_mov_b32_dpp v3, v1 row_shr:8 row_mask:0xf bank_mask:0xc
	v_mov_b32_dpp v6, v4 row_shr:8 row_mask:0xf bank_mask:0xc
	v_mov_b32_dpp v7, v5 row_shr:8 row_mask:0xf bank_mask:0xc
	v_pk_add_f32 v[0:1], v[0:1], v[2:3]
	v_pk_add_f32 v[4:5], v[4:5], v[6:7]
	s_nop 0
	v_mov_b32_dpp v2, v0 row_bcast:15 row_mask:0xa bank_mask:0xf
	v_mov_b32_dpp v3, v1 row_bcast:15 row_mask:0xa bank_mask:0xf
	;; [unrolled: 1-line block ×4, first 2 shown]
	v_pk_add_f32 v[0:1], v[0:1], v[2:3]
	v_pk_add_f32 v[4:5], v[4:5], v[6:7]
	s_nop 0
	v_mov_b32_dpp v2, v0 row_bcast:31 row_mask:0xc bank_mask:0xf
	v_mov_b32_dpp v3, v1 row_bcast:31 row_mask:0xc bank_mask:0xf
	;; [unrolled: 1-line block ×4, first 2 shown]
	s_and_b64 exec, exec, vcc
	s_cbranch_execz .LBB94_10
; %bb.38:
	s_load_dwordx2 s[0:1], s[4:5], 0x50
	v_cmp_eq_f32_e64 s[4:5], s16, 0
	v_pk_add_f32 v[2:3], v[0:1], v[2:3]
	v_pk_add_f32 v[0:1], v[4:5], v[6:7]
	s_and_b64 vcc, exec, s[4:5]
	v_lshlrev_b32_e32 v4, 2, v16
	s_cbranch_vccz .LBB94_40
; %bb.39:
	v_ashrrev_i32_e32 v5, 31, v4
	v_lshlrev_b64 v[6:7], 2, v[4:5]
	s_waitcnt lgkmcnt(0)
	v_mov_b32_e32 v5, s1
	v_add_co_u32_e32 v10, vcc, s0, v6
	v_addc_co_u32_e32 v11, vcc, v5, v7, vcc
	v_pk_mul_f32 v[6:7], s[2:3], v[2:3] op_sel_hi:[0,1]
	v_pk_mul_f32 v[8:9], s[2:3], v[0:1] op_sel_hi:[0,1]
	global_store_dwordx4 v[10:11], v[6:9], off
	s_cbranch_execnz .LBB94_10
	s_branch .LBB94_41
.LBB94_40:
.LBB94_41:
	v_ashrrev_i32_e32 v5, 31, v4
	v_lshlrev_b64 v[4:5], 2, v[4:5]
	s_waitcnt lgkmcnt(0)
	v_mov_b32_e32 v6, s1
	v_add_co_u32_e32 v8, vcc, s0, v4
	v_addc_co_u32_e32 v9, vcc, v6, v5, vcc
	global_load_dwordx4 v[4:7], v[8:9], off
	v_pk_mul_f32 v[2:3], s[2:3], v[2:3] op_sel_hi:[0,1]
	v_pk_mul_f32 v[10:11], s[2:3], v[0:1] op_sel_hi:[0,1]
	s_waitcnt vmcnt(0)
	v_pk_fma_f32 v[0:1], s[16:17], v[4:5], v[2:3] op_sel_hi:[0,1,1]
	v_pk_fma_f32 v[2:3], s[16:17], v[6:7], v[10:11] op_sel_hi:[0,1,1]
	global_store_dwordx4 v[8:9], v[0:3], off
	s_endpgm
	.section	.rodata,"a",@progbits
	.p2align	6, 0x0
	.amdhsa_kernel _ZN9rocsparseL18bsrxmvn_4x4_kernelILj128ELj64EfiiDF16_DF16_fEEvT3_20rocsparse_direction_NS_24const_host_device_scalarIT1_EES1_PKS1_PKT2_SA_S7_PKT4_PKT5_S5_PT6_21rocsparse_index_base_b
		.amdhsa_group_segment_fixed_size 0
		.amdhsa_private_segment_fixed_size 0
		.amdhsa_kernarg_size 96
		.amdhsa_user_sgpr_count 6
		.amdhsa_user_sgpr_private_segment_buffer 1
		.amdhsa_user_sgpr_dispatch_ptr 0
		.amdhsa_user_sgpr_queue_ptr 0
		.amdhsa_user_sgpr_kernarg_segment_ptr 1
		.amdhsa_user_sgpr_dispatch_id 0
		.amdhsa_user_sgpr_flat_scratch_init 0
		.amdhsa_user_sgpr_kernarg_preload_length 0
		.amdhsa_user_sgpr_kernarg_preload_offset 0
		.amdhsa_user_sgpr_private_segment_size 0
		.amdhsa_uses_dynamic_stack 0
		.amdhsa_system_sgpr_private_segment_wavefront_offset 0
		.amdhsa_system_sgpr_workgroup_id_x 1
		.amdhsa_system_sgpr_workgroup_id_y 0
		.amdhsa_system_sgpr_workgroup_id_z 0
		.amdhsa_system_sgpr_workgroup_info 0
		.amdhsa_system_vgpr_workitem_id 0
		.amdhsa_next_free_vgpr 100
		.amdhsa_next_free_sgpr 20
		.amdhsa_accum_offset 100
		.amdhsa_reserve_vcc 1
		.amdhsa_reserve_flat_scratch 0
		.amdhsa_float_round_mode_32 0
		.amdhsa_float_round_mode_16_64 0
		.amdhsa_float_denorm_mode_32 3
		.amdhsa_float_denorm_mode_16_64 3
		.amdhsa_dx10_clamp 1
		.amdhsa_ieee_mode 1
		.amdhsa_fp16_overflow 0
		.amdhsa_tg_split 0
		.amdhsa_exception_fp_ieee_invalid_op 0
		.amdhsa_exception_fp_denorm_src 0
		.amdhsa_exception_fp_ieee_div_zero 0
		.amdhsa_exception_fp_ieee_overflow 0
		.amdhsa_exception_fp_ieee_underflow 0
		.amdhsa_exception_fp_ieee_inexact 0
		.amdhsa_exception_int_div_zero 0
	.end_amdhsa_kernel
	.section	.text._ZN9rocsparseL18bsrxmvn_4x4_kernelILj128ELj64EfiiDF16_DF16_fEEvT3_20rocsparse_direction_NS_24const_host_device_scalarIT1_EES1_PKS1_PKT2_SA_S7_PKT4_PKT5_S5_PT6_21rocsparse_index_base_b,"axG",@progbits,_ZN9rocsparseL18bsrxmvn_4x4_kernelILj128ELj64EfiiDF16_DF16_fEEvT3_20rocsparse_direction_NS_24const_host_device_scalarIT1_EES1_PKS1_PKT2_SA_S7_PKT4_PKT5_S5_PT6_21rocsparse_index_base_b,comdat
.Lfunc_end94:
	.size	_ZN9rocsparseL18bsrxmvn_4x4_kernelILj128ELj64EfiiDF16_DF16_fEEvT3_20rocsparse_direction_NS_24const_host_device_scalarIT1_EES1_PKS1_PKT2_SA_S7_PKT4_PKT5_S5_PT6_21rocsparse_index_base_b, .Lfunc_end94-_ZN9rocsparseL18bsrxmvn_4x4_kernelILj128ELj64EfiiDF16_DF16_fEEvT3_20rocsparse_direction_NS_24const_host_device_scalarIT1_EES1_PKS1_PKT2_SA_S7_PKT4_PKT5_S5_PT6_21rocsparse_index_base_b
                                        ; -- End function
	.section	.AMDGPU.csdata,"",@progbits
; Kernel info:
; codeLenInByte = 4120
; NumSgprs: 24
; NumVgprs: 100
; NumAgprs: 0
; TotalNumVgprs: 100
; ScratchSize: 0
; MemoryBound: 0
; FloatMode: 240
; IeeeMode: 1
; LDSByteSize: 0 bytes/workgroup (compile time only)
; SGPRBlocks: 2
; VGPRBlocks: 12
; NumSGPRsForWavesPerEU: 24
; NumVGPRsForWavesPerEU: 100
; AccumOffset: 100
; Occupancy: 4
; WaveLimiterHint : 1
; COMPUTE_PGM_RSRC2:SCRATCH_EN: 0
; COMPUTE_PGM_RSRC2:USER_SGPR: 6
; COMPUTE_PGM_RSRC2:TRAP_HANDLER: 0
; COMPUTE_PGM_RSRC2:TGID_X_EN: 1
; COMPUTE_PGM_RSRC2:TGID_Y_EN: 0
; COMPUTE_PGM_RSRC2:TGID_Z_EN: 0
; COMPUTE_PGM_RSRC2:TIDIG_COMP_CNT: 0
; COMPUTE_PGM_RSRC3_GFX90A:ACCUM_OFFSET: 24
; COMPUTE_PGM_RSRC3_GFX90A:TG_SPLIT: 0
	.section	.text._ZN9rocsparseL18bsrxmvn_4x4_kernelILj128ELj4EfliDF16_DF16_fEEvT3_20rocsparse_direction_NS_24const_host_device_scalarIT1_EES1_PKS1_PKT2_SA_S7_PKT4_PKT5_S5_PT6_21rocsparse_index_base_b,"axG",@progbits,_ZN9rocsparseL18bsrxmvn_4x4_kernelILj128ELj4EfliDF16_DF16_fEEvT3_20rocsparse_direction_NS_24const_host_device_scalarIT1_EES1_PKS1_PKT2_SA_S7_PKT4_PKT5_S5_PT6_21rocsparse_index_base_b,comdat
	.globl	_ZN9rocsparseL18bsrxmvn_4x4_kernelILj128ELj4EfliDF16_DF16_fEEvT3_20rocsparse_direction_NS_24const_host_device_scalarIT1_EES1_PKS1_PKT2_SA_S7_PKT4_PKT5_S5_PT6_21rocsparse_index_base_b ; -- Begin function _ZN9rocsparseL18bsrxmvn_4x4_kernelILj128ELj4EfliDF16_DF16_fEEvT3_20rocsparse_direction_NS_24const_host_device_scalarIT1_EES1_PKS1_PKT2_SA_S7_PKT4_PKT5_S5_PT6_21rocsparse_index_base_b
	.p2align	8
	.type	_ZN9rocsparseL18bsrxmvn_4x4_kernelILj128ELj4EfliDF16_DF16_fEEvT3_20rocsparse_direction_NS_24const_host_device_scalarIT1_EES1_PKS1_PKT2_SA_S7_PKT4_PKT5_S5_PT6_21rocsparse_index_base_b,@function
_ZN9rocsparseL18bsrxmvn_4x4_kernelILj128ELj4EfliDF16_DF16_fEEvT3_20rocsparse_direction_NS_24const_host_device_scalarIT1_EES1_PKS1_PKT2_SA_S7_PKT4_PKT5_S5_PT6_21rocsparse_index_base_b: ; @_ZN9rocsparseL18bsrxmvn_4x4_kernelILj128ELj4EfliDF16_DF16_fEEvT3_20rocsparse_direction_NS_24const_host_device_scalarIT1_EES1_PKS1_PKT2_SA_S7_PKT4_PKT5_S5_PT6_21rocsparse_index_base_b
; %bb.0:
	s_load_dwordx2 s[20:21], s[4:5], 0x58
	s_load_dwordx2 s[16:17], s[4:5], 0x8
	;; [unrolled: 1-line block ×3, first 2 shown]
	s_waitcnt lgkmcnt(0)
	s_bitcmp1_b32 s21, 0
	s_cselect_b64 s[2:3], -1, 0
	s_xor_b64 s[0:1], s[2:3], -1
	s_and_b64 vcc, exec, s[2:3]
	s_cbranch_vccnz .LBB95_2
; %bb.1:
	s_load_dword s16, s[16:17], 0x0
.LBB95_2:
	s_andn2_b64 vcc, exec, s[0:1]
	s_cbranch_vccnz .LBB95_4
; %bb.3:
	s_load_dword s18, s[18:19], 0x0
.LBB95_4:
	s_waitcnt lgkmcnt(0)
	v_cmp_neq_f32_e64 s[0:1], s16, 0
	v_cmp_neq_f32_e64 s[2:3], s18, 1.0
	s_or_b64 s[0:1], s[0:1], s[2:3]
	s_andn2_b64 vcc, exec, s[0:1]
	s_cbranch_vccnz .LBB95_10
; %bb.5:
	s_load_dwordx2 s[8:9], s[4:5], 0x18
	s_load_dwordx2 s[0:1], s[4:5], 0x0
	v_lshrrev_b32_e32 v1, 2, v0
	v_lshl_or_b32 v20, s6, 5, v1
	s_mov_b64 s[2:3], 0
	s_waitcnt lgkmcnt(0)
	s_cmp_lg_u64 s[8:9], 0
	s_cbranch_scc0 .LBB95_11
; %bb.6:
	s_load_dword s6, s[4:5], 0x10
                                        ; implicit-def: $vgpr1
	s_waitcnt lgkmcnt(0)
	v_cmp_gt_i32_e32 vcc, s6, v20
	s_and_saveexec_b64 s[6:7], vcc
	s_xor_b64 s[6:7], exec, s[6:7]
	s_cbranch_execz .LBB95_8
; %bb.7:
	v_ashrrev_i32_e32 v21, 31, v20
	v_lshlrev_b64 v[2:3], 2, v[20:21]
	v_mov_b32_e32 v1, s9
	v_add_co_u32_e32 v2, vcc, s8, v2
	v_addc_co_u32_e32 v3, vcc, v1, v3, vcc
	global_load_dword v1, v[2:3], off
	s_mov_b64 s[2:3], exec
	s_waitcnt vmcnt(0)
	v_subrev_u32_e32 v1, s20, v1
.LBB95_8:
	s_or_b64 exec, exec, s[6:7]
	s_branch .LBB95_12
.LBB95_9:
	v_cmp_gt_i32_e32 vcc, s0, v20
	s_andn2_b64 s[2:3], s[2:3], exec
	s_and_b64 s[6:7], vcc, exec
	s_or_b64 s[2:3], s[2:3], s[6:7]
	s_and_saveexec_b64 s[6:7], s[2:3]
	s_cbranch_execnz .LBB95_13
.LBB95_10:
	s_endpgm
.LBB95_11:
                                        ; implicit-def: $vgpr1
	s_cbranch_execnz .LBB95_9
.LBB95_12:
	v_mov_b32_e32 v20, v1
	s_and_saveexec_b64 s[6:7], s[2:3]
	s_cbranch_execz .LBB95_10
.LBB95_13:
	s_load_dwordx8 s[8:15], s[4:5], 0x20
	v_ashrrev_i32_e32 v21, 31, v20
	v_lshlrev_b64 v[2:3], 3, v[20:21]
	v_and_b32_e32 v22, 3, v0
	s_load_dwordx2 s[6:7], s[4:5], 0x40
	s_waitcnt lgkmcnt(0)
	v_mov_b32_e32 v1, s9
	v_add_co_u32_e32 v4, vcc, s8, v2
	v_addc_co_u32_e32 v5, vcc, v1, v3, vcc
	v_add_co_u32_e32 v1, vcc, 8, v4
	global_load_dwordx2 v[16:17], v[4:5], off
	v_addc_co_u32_e32 v4, vcc, 0, v5, vcc
	v_mov_b32_e32 v5, s11
	v_add_co_u32_e32 v2, vcc, s10, v2
	s_cmp_eq_u64 s[10:11], 0
	v_addc_co_u32_e32 v3, vcc, v5, v3, vcc
	s_cselect_b64 vcc, -1, 0
	v_cndmask_b32_e32 v3, v3, v4, vcc
	v_cndmask_b32_e32 v2, v2, v1, vcc
	global_load_dwordx2 v[2:3], v[2:3], off
	v_mov_b32_e32 v4, s15
	s_mov_b32 s17, 0
	v_mov_b32_e32 v31, 0
	s_cmp_eq_u32 s1, 1
	s_waitcnt vmcnt(1)
	v_subrev_co_u32_e32 v0, vcc, s20, v16
	v_subbrev_co_u32_e32 v1, vcc, 0, v17, vcc
	v_add_co_u32_e32 v24, vcc, v0, v22
	v_addc_co_u32_e32 v25, vcc, 0, v1, vcc
	v_lshlrev_b64 v[0:1], 5, v[24:25]
	s_waitcnt vmcnt(0)
	v_subrev_co_u32_e32 v26, vcc, s20, v2
	v_subbrev_co_u32_e32 v27, vcc, 0, v3, vcc
	v_add_co_u32_e32 v28, vcc, s14, v0
	v_addc_co_u32_e32 v29, vcc, v4, v1, vcc
	v_cmp_lt_i64_e64 s[0:1], v[24:25], v[26:27]
	s_cbranch_scc1 .LBB95_25
; %bb.14:
	v_mov_b32_e32 v30, 0
	v_mov_b32_e32 v33, 0
	;; [unrolled: 1-line block ×3, first 2 shown]
	s_and_saveexec_b64 s[8:9], s[0:1]
	s_cbranch_execz .LBB95_24
; %bb.15:
	v_or_b32_e32 v0, 4, v22
	v_mov_b32_e32 v1, s17
	v_subrev_co_u32_e32 v0, vcc, s20, v0
	v_subb_co_u32_e32 v1, vcc, 0, v1, vcc
	v_add_co_u32_e32 v0, vcc, v0, v16
	v_addc_co_u32_e32 v1, vcc, v1, v17, vcc
	v_cmp_gt_i64_e32 vcc, v[0:1], v[26:27]
	v_cndmask_b32_e32 v1, v27, v1, vcc
	v_cndmask_b32_e32 v0, v26, v0, vcc
	v_mov_b32_e32 v4, s17
	v_sub_co_u32_e32 v5, vcc, s20, v22
	v_not_b32_e32 v3, v16
	v_subbrev_co_u32_e32 v4, vcc, 0, v4, vcc
	v_not_b32_e32 v2, v17
	v_add_co_u32_e32 v3, vcc, v5, v3
	v_addc_co_u32_e32 v2, vcc, v4, v2, vcc
	v_add_co_u32_e32 v0, vcc, v3, v0
	v_addc_co_u32_e32 v1, vcc, v2, v1, vcc
	v_lshrrev_b32_e32 v2, 2, v0
	v_add_u32_e32 v2, 1, v2
	v_and_b32_e32 v2, 3, v2
	v_mov_b32_e32 v32, 0
	v_cmp_ne_u32_e32 vcc, 0, v2
	v_mov_b32_e32 v33, v32
	v_mov_b32_e32 v30, v32
	;; [unrolled: 1-line block ×3, first 2 shown]
	v_pk_mov_b32 v[18:19], v[24:25], v[24:25] op_sel:[0,1]
	v_pk_mov_b32 v[34:35], v[28:29], v[28:29] op_sel:[0,1]
	s_and_saveexec_b64 s[2:3], vcc
	s_cbranch_execz .LBB95_19
; %bb.16:
	v_lshlrev_b64 v[4:5], 2, v[24:25]
	v_mov_b32_e32 v3, 0
	v_mov_b32_e32 v6, s13
	v_add_co_u32_e32 v4, vcc, s12, v4
	v_addc_co_u32_e32 v5, vcc, v6, v5, vcc
	v_lshlrev_b32_e32 v2, 3, v2
	s_mov_b64 s[10:11], 0
	v_mov_b32_e32 v6, s7
	s_movk_i32 s14, 0x80
	v_pk_mov_b32 v[34:35], v[28:29], v[28:29] op_sel:[0,1]
	v_pk_mov_b32 v[18:19], v[24:25], v[24:25] op_sel:[0,1]
	v_mov_b32_e32 v32, v3
	v_mov_b32_e32 v33, v3
	;; [unrolled: 1-line block ×4, first 2 shown]
.LBB95_17:                              ; =>This Inner Loop Header: Depth=1
	global_load_dword v7, v[4:5], off
	global_load_dwordx4 v[8:11], v[34:35], off
	global_load_dwordx4 v[12:15], v[34:35], off offset:16
	s_waitcnt vmcnt(2)
	v_subrev_u32_e32 v7, s20, v7
	v_lshlrev_b32_e32 v36, 2, v7
	v_ashrrev_i32_e32 v37, 31, v36
	v_lshlrev_b64 v[36:37], 1, v[36:37]
	v_add_co_u32_e32 v36, vcc, s6, v36
	v_addc_co_u32_e32 v37, vcc, v6, v37, vcc
	global_load_dwordx2 v[36:37], v[36:37], off
	v_add_co_u32_e32 v34, vcc, s14, v34
	v_addc_co_u32_e32 v35, vcc, 0, v35, vcc
	v_add_co_u32_e32 v18, vcc, 4, v18
	s_waitcnt vmcnt(2)
	v_cvt_f32_f16_e32 v39, v10
	v_cvt_f32_f16_e32 v38, v8
	v_cvt_f32_f16_sdwa v41, v10 dst_sel:DWORD dst_unused:UNUSED_PAD src0_sel:WORD_1
	v_cvt_f32_f16_sdwa v40, v8 dst_sel:DWORD dst_unused:UNUSED_PAD src0_sel:WORD_1
	v_cvt_f32_f16_e32 v42, v9
	v_cvt_f32_f16_sdwa v10, v9 dst_sel:DWORD dst_unused:UNUSED_PAD src0_sel:WORD_1
	s_waitcnt vmcnt(1)
	v_cvt_f32_f16_e32 v9, v14
	v_cvt_f32_f16_e32 v8, v12
	v_cvt_f32_f16_sdwa v44, v12 dst_sel:DWORD dst_unused:UNUSED_PAD src0_sel:WORD_1
	v_addc_co_u32_e32 v19, vcc, 0, v19, vcc
	v_cvt_f32_f16_sdwa v45, v14 dst_sel:DWORD dst_unused:UNUSED_PAD src0_sel:WORD_1
	v_add_co_u32_e32 v4, vcc, 16, v4
	v_cvt_f32_f16_e32 v43, v11
	v_cvt_f32_f16_e32 v47, v15
	;; [unrolled: 1-line block ×3, first 2 shown]
	v_addc_co_u32_e32 v5, vcc, 0, v5, vcc
	v_cvt_f32_f16_sdwa v11, v11 dst_sel:DWORD dst_unused:UNUSED_PAD src0_sel:WORD_1
	v_cvt_f32_f16_sdwa v15, v15 dst_sel:DWORD dst_unused:UNUSED_PAD src0_sel:WORD_1
	;; [unrolled: 1-line block ×3, first 2 shown]
	v_add_co_u32_e32 v2, vcc, -8, v2
	v_addc_co_u32_e32 v3, vcc, -1, v3, vcc
	v_cmp_eq_u64_e32 vcc, 0, v[2:3]
	s_or_b64 s[10:11], vcc, s[10:11]
	s_waitcnt vmcnt(0)
	v_cvt_f32_f16_e32 v12, v36
	v_cvt_f32_f16_sdwa v36, v36 dst_sel:DWORD dst_unused:UNUSED_PAD src0_sel:WORD_1
	v_cvt_f32_f16_e32 v48, v37
	v_cvt_f32_f16_sdwa v50, v37 dst_sel:DWORD dst_unused:UNUSED_PAD src0_sel:WORD_1
	v_pk_fma_f32 v[32:33], v[38:39], v[12:13], v[32:33] op_sel_hi:[1,0,1]
	v_pk_fma_f32 v[8:9], v[8:9], v[12:13], v[30:31] op_sel_hi:[1,0,1]
	;; [unrolled: 1-line block ×8, first 2 shown]
	s_andn2_b64 exec, exec, s[10:11]
	s_cbranch_execnz .LBB95_17
; %bb.18:
	s_or_b64 exec, exec, s[10:11]
.LBB95_19:
	s_or_b64 exec, exec, s[2:3]
	v_cmp_lt_u64_e32 vcc, 11, v[0:1]
	s_and_saveexec_b64 s[10:11], vcc
	s_cbranch_execz .LBB95_23
; %bb.20:
	v_lshlrev_b64 v[0:1], 2, v[18:19]
	v_mov_b32_e32 v2, s13
	v_add_co_u32_e32 v0, vcc, s12, v0
	v_addc_co_u32_e32 v1, vcc, v1, v2, vcc
	v_add_co_u32_e32 v36, vcc, 32, v0
	v_addc_co_u32_e32 v37, vcc, 0, v1, vcc
	s_mov_b64 s[14:15], 0
	v_mov_b32_e32 v21, s7
.LBB95_21:                              ; =>This Inner Loop Header: Depth=1
	global_load_dword v23, v[36:37], off offset:-32
	global_load_dword v54, v[36:37], off offset:-16
	global_load_dword v55, v[36:37], off
	global_load_dwordx4 v[0:3], v[34:35], off offset:256
	global_load_dwordx4 v[12:15], v[34:35], off
	global_load_dwordx4 v[8:11], v[34:35], off offset:128
	global_load_dwordx4 v[4:7], v[34:35], off offset:272
	;; [unrolled: 1-line block ×3, first 2 shown]
	global_load_dword v69, v[36:37], off offset:16
	global_load_dwordx4 v[42:45], v[34:35], off offset:144
	global_load_dwordx4 v[46:49], v[34:35], off offset:384
	;; [unrolled: 1-line block ×3, first 2 shown]
	v_add_co_u32_e32 v18, vcc, 16, v18
	v_addc_co_u32_e32 v19, vcc, 0, v19, vcc
	v_add_co_u32_e32 v36, vcc, 64, v36
	v_addc_co_u32_e32 v37, vcc, 0, v37, vcc
	v_add_co_u32_e32 v34, vcc, 0x200, v34
	v_addc_co_u32_e32 v35, vcc, 0, v35, vcc
	v_cmp_ge_i64_e64 s[2:3], v[18:19], v[26:27]
	s_or_b64 s[14:15], s[2:3], s[14:15]
	s_waitcnt vmcnt(11)
	v_subrev_u32_e32 v23, s20, v23
	s_waitcnt vmcnt(10)
	v_subrev_u32_e32 v73, s20, v54
	v_lshlrev_b32_e32 v72, 2, v23
	v_lshlrev_b32_e32 v74, 2, v73
	v_ashrrev_i32_e32 v73, 31, v72
	s_waitcnt vmcnt(9)
	v_subrev_u32_e32 v75, s20, v55
	v_lshlrev_b64 v[72:73], 1, v[72:73]
	v_lshlrev_b32_e32 v76, 2, v75
	v_ashrrev_i32_e32 v75, 31, v74
	v_add_co_u32_e32 v72, vcc, s6, v72
	v_lshlrev_b64 v[74:75], 1, v[74:75]
	v_addc_co_u32_e32 v73, vcc, v21, v73, vcc
	s_waitcnt vmcnt(7)
	v_cvt_f32_f16_e32 v56, v12
	v_cvt_f32_f16_sdwa v58, v12 dst_sel:DWORD dst_unused:UNUSED_PAD src0_sel:WORD_1
	s_waitcnt vmcnt(6)
	v_cvt_f32_f16_e32 v12, v8
	v_cvt_f32_f16_sdwa v62, v8 dst_sel:DWORD dst_unused:UNUSED_PAD src0_sel:WORD_1
	v_cvt_f32_f16_e32 v8, v0
	v_cvt_f32_f16_sdwa v66, v0 dst_sel:DWORD dst_unused:UNUSED_PAD src0_sel:WORD_1
	s_waitcnt vmcnt(3)
	v_subrev_u32_e32 v0, s20, v69
	v_ashrrev_i32_e32 v77, 31, v76
	v_add_co_u32_e32 v74, vcc, s6, v74
	v_lshlrev_b32_e32 v78, 2, v0
	v_lshlrev_b64 v[76:77], 1, v[76:77]
	v_addc_co_u32_e32 v75, vcc, v21, v75, vcc
	v_ashrrev_i32_e32 v79, 31, v78
	v_add_co_u32_e32 v76, vcc, s6, v76
	v_lshlrev_b64 v[78:79], 1, v[78:79]
	v_addc_co_u32_e32 v77, vcc, v21, v77, vcc
	v_add_co_u32_e32 v78, vcc, s6, v78
	v_addc_co_u32_e32 v79, vcc, v21, v79, vcc
	global_load_dwordx2 v[80:81], v[72:73], off
	global_load_dwordx2 v[82:83], v[74:75], off
	;; [unrolled: 1-line block ×4, first 2 shown]
	v_cvt_f32_f16_e32 v57, v14
	v_cvt_f32_f16_e32 v71, v40
	;; [unrolled: 1-line block ×3, first 2 shown]
	v_cvt_f32_f16_sdwa v72, v38 dst_sel:DWORD dst_unused:UNUSED_PAD src0_sel:WORD_1
	s_waitcnt vmcnt(6)
	v_cvt_f32_f16_e32 v38, v42
	v_cvt_f32_f16_sdwa v76, v42 dst_sel:DWORD dst_unused:UNUSED_PAD src0_sel:WORD_1
	v_cvt_f32_f16_e32 v42, v4
	v_cvt_f32_f16_sdwa v88, v4 dst_sel:DWORD dst_unused:UNUSED_PAD src0_sel:WORD_1
	s_waitcnt vmcnt(5)
	v_cvt_f32_f16_e32 v0, v46
	v_cvt_f32_f16_sdwa v90, v46 dst_sel:DWORD dst_unused:UNUSED_PAD src0_sel:WORD_1
	s_waitcnt vmcnt(4)
	v_cvt_f32_f16_e32 v4, v50
	v_cvt_f32_f16_sdwa v46, v50 dst_sel:DWORD dst_unused:UNUSED_PAD src0_sel:WORD_1
	v_cvt_f32_f16_sdwa v59, v14 dst_sel:DWORD dst_unused:UNUSED_PAD src0_sel:WORD_1
	;; [unrolled: 1-line block ×3, first 2 shown]
	v_cvt_f32_f16_e32 v61, v15
	v_cvt_f32_f16_e32 v60, v13
	;; [unrolled: 1-line block ×4, first 2 shown]
	v_cvt_f32_f16_sdwa v15, v15 dst_sel:DWORD dst_unused:UNUSED_PAD src0_sel:WORD_1
	v_cvt_f32_f16_sdwa v14, v13 dst_sel:DWORD dst_unused:UNUSED_PAD src0_sel:WORD_1
	;; [unrolled: 1-line block ×4, first 2 shown]
	v_cvt_f32_f16_e32 v13, v10
	v_cvt_f32_f16_e32 v39, v44
	v_cvt_f32_f16_sdwa v63, v10 dst_sel:DWORD dst_unused:UNUSED_PAD src0_sel:WORD_1
	v_cvt_f32_f16_sdwa v77, v44 dst_sel:DWORD dst_unused:UNUSED_PAD src0_sel:WORD_1
	v_cvt_f32_f16_e32 v65, v11
	v_cvt_f32_f16_e32 v64, v9
	;; [unrolled: 1-line block ×4, first 2 shown]
	v_cvt_f32_f16_sdwa v11, v11 dst_sel:DWORD dst_unused:UNUSED_PAD src0_sel:WORD_1
	v_cvt_f32_f16_sdwa v10, v9 dst_sel:DWORD dst_unused:UNUSED_PAD src0_sel:WORD_1
	;; [unrolled: 1-line block ×4, first 2 shown]
	v_cvt_f32_f16_e32 v9, v2
	v_cvt_f32_f16_e32 v43, v6
	v_cvt_f32_f16_sdwa v67, v2 dst_sel:DWORD dst_unused:UNUSED_PAD src0_sel:WORD_1
	v_cvt_f32_f16_sdwa v89, v6 dst_sel:DWORD dst_unused:UNUSED_PAD src0_sel:WORD_1
	v_cvt_f32_f16_e32 v54, v1
	v_cvt_f32_f16_e32 v55, v3
	;; [unrolled: 1-line block ×4, first 2 shown]
	v_cvt_f32_f16_sdwa v3, v3 dst_sel:DWORD dst_unused:UNUSED_PAD src0_sel:WORD_1
	v_cvt_f32_f16_sdwa v2, v1 dst_sel:DWORD dst_unused:UNUSED_PAD src0_sel:WORD_1
	;; [unrolled: 1-line block ×4, first 2 shown]
	v_cvt_f32_f16_e32 v1, v48
	v_cvt_f32_f16_e32 v5, v52
	v_cvt_f32_f16_sdwa v91, v48 dst_sel:DWORD dst_unused:UNUSED_PAD src0_sel:WORD_1
	v_cvt_f32_f16_e32 v92, v47
	v_cvt_f32_f16_sdwa v48, v47 dst_sel:DWORD dst_unused:UNUSED_PAD src0_sel:WORD_1
	v_cvt_f32_f16_sdwa v47, v52 dst_sel:DWORD dst_unused:UNUSED_PAD src0_sel:WORD_1
	v_cvt_f32_f16_e32 v93, v49
	v_cvt_f32_f16_e32 v95, v53
	;; [unrolled: 1-line block ×3, first 2 shown]
	v_cvt_f32_f16_sdwa v49, v49 dst_sel:DWORD dst_unused:UNUSED_PAD src0_sel:WORD_1
	v_cvt_f32_f16_sdwa v53, v53 dst_sel:DWORD dst_unused:UNUSED_PAD src0_sel:WORD_1
	v_cvt_f32_f16_sdwa v52, v51 dst_sel:DWORD dst_unused:UNUSED_PAD src0_sel:WORD_1
	s_waitcnt vmcnt(3)
	v_cvt_f32_f16_e32 v50, v80
	v_cvt_f32_f16_sdwa v80, v80 dst_sel:DWORD dst_unused:UNUSED_PAD src0_sel:WORD_1
	v_cvt_f32_f16_e32 v96, v81
	v_cvt_f32_f16_sdwa v98, v81 dst_sel:DWORD dst_unused:UNUSED_PAD src0_sel:WORD_1
	v_pk_fma_f32 v[32:33], v[56:57], v[50:51], v[32:33] op_sel_hi:[1,0,1]
	s_waitcnt vmcnt(2)
	v_cvt_f32_f16_e32 v56, v82
	v_pk_fma_f32 v[30:31], v[70:71], v[50:51], v[30:31] op_sel_hi:[1,0,1]
	v_cvt_f32_f16_sdwa v50, v82 dst_sel:DWORD dst_unused:UNUSED_PAD src0_sel:WORD_1
	v_pk_fma_f32 v[32:33], v[58:59], v[80:81], v[32:33] op_sel_hi:[1,0,1]
	v_pk_fma_f32 v[30:31], v[72:73], v[80:81], v[30:31] op_sel_hi:[1,0,1]
	v_cvt_f32_f16_e32 v70, v83
	v_pk_fma_f32 v[32:33], v[60:61], v[96:97], v[32:33] op_sel_hi:[1,0,1]
	v_pk_fma_f32 v[30:31], v[74:75], v[96:97], v[30:31] op_sel_hi:[1,0,1]
	v_cvt_f32_f16_sdwa v82, v83 dst_sel:DWORD dst_unused:UNUSED_PAD src0_sel:WORD_1
	v_pk_fma_f32 v[14:15], v[14:15], v[98:99], v[32:33] op_sel_hi:[1,0,1]
	v_pk_fma_f32 v[30:31], v[40:41], v[98:99], v[30:31] op_sel_hi:[1,0,1]
	s_waitcnt vmcnt(1)
	v_cvt_f32_f16_e32 v58, v84
	v_pk_fma_f32 v[12:13], v[12:13], v[56:57], v[14:15] op_sel_hi:[1,0,1]
	v_pk_fma_f32 v[14:15], v[38:39], v[56:57], v[30:31] op_sel_hi:[1,0,1]
	v_cvt_f32_f16_sdwa v72, v84 dst_sel:DWORD dst_unused:UNUSED_PAD src0_sel:WORD_1
	v_pk_fma_f32 v[12:13], v[62:63], v[50:51], v[12:13] op_sel_hi:[1,0,1]
	v_pk_fma_f32 v[14:15], v[76:77], v[50:51], v[14:15] op_sel_hi:[1,0,1]
	v_cvt_f32_f16_e32 v80, v85
	v_pk_fma_f32 v[12:13], v[64:65], v[70:71], v[12:13] op_sel_hi:[1,0,1]
	v_pk_fma_f32 v[14:15], v[78:79], v[70:71], v[14:15] op_sel_hi:[1,0,1]
	v_cvt_f32_f16_sdwa v84, v85 dst_sel:DWORD dst_unused:UNUSED_PAD src0_sel:WORD_1
	v_pk_fma_f32 v[10:11], v[10:11], v[82:83], v[12:13] op_sel_hi:[1,0,1]
	v_pk_fma_f32 v[12:13], v[44:45], v[82:83], v[14:15] op_sel_hi:[1,0,1]
	s_waitcnt vmcnt(0)
	v_cvt_f32_f16_e32 v60, v86
	v_pk_fma_f32 v[8:9], v[8:9], v[58:59], v[10:11] op_sel_hi:[1,0,1]
	v_pk_fma_f32 v[10:11], v[42:43], v[58:59], v[12:13] op_sel_hi:[1,0,1]
	v_cvt_f32_f16_sdwa v74, v86 dst_sel:DWORD dst_unused:UNUSED_PAD src0_sel:WORD_1
	v_pk_fma_f32 v[8:9], v[66:67], v[72:73], v[8:9] op_sel_hi:[1,0,1]
	v_pk_fma_f32 v[10:11], v[88:89], v[72:73], v[10:11] op_sel_hi:[1,0,1]
	v_cvt_f32_f16_e32 v86, v87
	v_pk_fma_f32 v[8:9], v[54:55], v[80:81], v[8:9] op_sel_hi:[1,0,1]
	v_pk_fma_f32 v[10:11], v[68:69], v[80:81], v[10:11] op_sel_hi:[1,0,1]
	v_cvt_f32_f16_sdwa v96, v87 dst_sel:DWORD dst_unused:UNUSED_PAD src0_sel:WORD_1
	v_pk_fma_f32 v[2:3], v[2:3], v[84:85], v[8:9] op_sel_hi:[1,0,1]
	v_pk_fma_f32 v[6:7], v[6:7], v[84:85], v[10:11] op_sel_hi:[1,0,1]
	v_pk_fma_f32 v[0:1], v[0:1], v[60:61], v[2:3] op_sel_hi:[1,0,1]
	v_pk_fma_f32 v[2:3], v[4:5], v[60:61], v[6:7] op_sel_hi:[1,0,1]
	v_pk_fma_f32 v[0:1], v[90:91], v[74:75], v[0:1] op_sel_hi:[1,0,1]
	v_pk_fma_f32 v[2:3], v[46:47], v[74:75], v[2:3] op_sel_hi:[1,0,1]
	v_pk_fma_f32 v[0:1], v[92:93], v[86:87], v[0:1] op_sel_hi:[1,0,1]
	v_pk_fma_f32 v[2:3], v[94:95], v[86:87], v[2:3] op_sel_hi:[1,0,1]
	v_pk_fma_f32 v[32:33], v[48:49], v[96:97], v[0:1] op_sel_hi:[1,0,1]
	v_pk_fma_f32 v[30:31], v[52:53], v[96:97], v[2:3] op_sel_hi:[1,0,1]
	s_andn2_b64 exec, exec, s[14:15]
	s_cbranch_execnz .LBB95_21
; %bb.22:
	s_or_b64 exec, exec, s[14:15]
.LBB95_23:
	s_or_b64 exec, exec, s[10:11]
.LBB95_24:
	s_or_b64 exec, exec, s[8:9]
	s_cbranch_execz .LBB95_26
	s_branch .LBB95_37
.LBB95_25:
                                        ; implicit-def: $vgpr31
                                        ; implicit-def: $vgpr33
.LBB95_26:
	v_mov_b32_e32 v31, 0
	v_mov_b32_e32 v30, 0
	;; [unrolled: 1-line block ×4, first 2 shown]
	s_and_saveexec_b64 s[2:3], s[0:1]
	s_cbranch_execz .LBB95_36
; %bb.27:
	v_or_b32_e32 v0, 4, v22
	v_mov_b32_e32 v1, s17
	v_subrev_co_u32_e32 v0, vcc, s20, v0
	v_subb_co_u32_e32 v1, vcc, 0, v1, vcc
	v_add_co_u32_e32 v0, vcc, v0, v16
	v_addc_co_u32_e32 v1, vcc, v1, v17, vcc
	v_cmp_gt_i64_e32 vcc, v[0:1], v[26:27]
	v_cndmask_b32_e32 v1, v27, v1, vcc
	v_cndmask_b32_e32 v0, v26, v0, vcc
	v_mov_b32_e32 v4, s17
	v_sub_co_u32_e32 v5, vcc, s20, v22
	v_not_b32_e32 v3, v16
	v_subbrev_co_u32_e32 v4, vcc, 0, v4, vcc
	v_not_b32_e32 v2, v17
	v_add_co_u32_e32 v3, vcc, v5, v3
	v_addc_co_u32_e32 v2, vcc, v4, v2, vcc
	v_add_co_u32_e32 v0, vcc, v3, v0
	v_addc_co_u32_e32 v1, vcc, v2, v1, vcc
	v_lshrrev_b32_e32 v2, 2, v0
	v_add_u32_e32 v2, 1, v2
	v_and_b32_e32 v2, 3, v2
	v_mov_b32_e32 v32, 0
	v_cmp_ne_u32_e32 vcc, 0, v2
	v_mov_b32_e32 v33, v32
	v_mov_b32_e32 v30, v32
	;; [unrolled: 1-line block ×3, first 2 shown]
	s_and_saveexec_b64 s[0:1], vcc
	s_cbranch_execz .LBB95_31
; %bb.28:
	v_lshlrev_b64 v[4:5], 2, v[24:25]
	v_mov_b32_e32 v3, 0
	v_mov_b32_e32 v6, s13
	v_add_co_u32_e32 v4, vcc, s12, v4
	v_addc_co_u32_e32 v5, vcc, v6, v5, vcc
	v_lshlrev_b32_e32 v2, 3, v2
	s_mov_b64 s[8:9], 0
	v_mov_b32_e32 v6, s7
	s_movk_i32 s10, 0x80
	v_mov_b32_e32 v32, v3
	v_mov_b32_e32 v33, v3
	;; [unrolled: 1-line block ×4, first 2 shown]
.LBB95_29:                              ; =>This Inner Loop Header: Depth=1
	global_load_dword v7, v[4:5], off
	global_load_dwordx4 v[8:11], v[28:29], off
	s_waitcnt vmcnt(1)
	v_subrev_u32_e32 v7, s20, v7
	v_lshlrev_b32_e32 v12, 2, v7
	v_ashrrev_i32_e32 v13, 31, v12
	v_lshlrev_b64 v[12:13], 1, v[12:13]
	v_add_co_u32_e32 v16, vcc, s6, v12
	v_addc_co_u32_e32 v17, vcc, v6, v13, vcc
	global_load_dwordx2 v[18:19], v[16:17], off
	global_load_dwordx4 v[12:15], v[28:29], off offset:16
	v_add_co_u32_e32 v28, vcc, s10, v28
	v_addc_co_u32_e32 v29, vcc, 0, v29, vcc
	v_add_co_u32_e32 v24, vcc, 4, v24
	s_waitcnt vmcnt(2)
	v_cvt_f32_f16_sdwa v17, v8 dst_sel:DWORD dst_unused:UNUSED_PAD src0_sel:WORD_1
	v_cvt_f32_f16_e32 v16, v8
	v_cvt_f32_f16_sdwa v41, v9 dst_sel:DWORD dst_unused:UNUSED_PAD src0_sel:WORD_1
	v_cvt_f32_f16_e32 v40, v9
	v_addc_co_u32_e32 v25, vcc, 0, v25, vcc
	v_cvt_f32_f16_sdwa v35, v10 dst_sel:DWORD dst_unused:UNUSED_PAD src0_sel:WORD_1
	v_cvt_f32_f16_e32 v34, v10
	v_cvt_f32_f16_sdwa v9, v11 dst_sel:DWORD dst_unused:UNUSED_PAD src0_sel:WORD_1
	v_cvt_f32_f16_e32 v8, v11
	v_add_co_u32_e32 v4, vcc, 16, v4
	v_addc_co_u32_e32 v5, vcc, 0, v5, vcc
	v_add_co_u32_e32 v2, vcc, -8, v2
	v_addc_co_u32_e32 v3, vcc, -1, v3, vcc
	v_cmp_eq_u64_e32 vcc, 0, v[2:3]
	s_or_b64 s[8:9], vcc, s[8:9]
	s_waitcnt vmcnt(1)
	v_cvt_f32_f16_e32 v42, v19
	s_waitcnt vmcnt(0)
	v_cvt_f32_f16_sdwa v39, v14 dst_sel:DWORD dst_unused:UNUSED_PAD src0_sel:WORD_1
	v_cvt_f32_f16_e32 v38, v14
	v_cvt_f32_f16_e32 v14, v18
	v_cvt_f32_f16_sdwa v18, v18 dst_sel:DWORD dst_unused:UNUSED_PAD src0_sel:WORD_1
	v_cvt_f32_f16_sdwa v37, v12 dst_sel:DWORD dst_unused:UNUSED_PAD src0_sel:WORD_1
	v_cvt_f32_f16_e32 v36, v12
	v_cvt_f32_f16_sdwa v11, v13 dst_sel:DWORD dst_unused:UNUSED_PAD src0_sel:WORD_1
	v_cvt_f32_f16_e32 v10, v13
	;; [unrolled: 2-line block ×3, first 2 shown]
	v_cvt_f32_f16_sdwa v44, v19 dst_sel:DWORD dst_unused:UNUSED_PAD src0_sel:WORD_1
	v_pk_fma_f32 v[16:17], v[16:17], v[14:15], v[32:33] op_sel_hi:[1,0,1]
	v_pk_fma_f32 v[14:15], v[40:41], v[14:15], v[30:31] op_sel_hi:[1,0,1]
	;; [unrolled: 1-line block ×8, first 2 shown]
	s_andn2_b64 exec, exec, s[8:9]
	s_cbranch_execnz .LBB95_29
; %bb.30:
	s_or_b64 exec, exec, s[8:9]
.LBB95_31:
	s_or_b64 exec, exec, s[0:1]
	v_cmp_lt_u64_e32 vcc, 11, v[0:1]
	s_and_saveexec_b64 s[8:9], vcc
	s_cbranch_execz .LBB95_35
; %bb.32:
	v_lshlrev_b64 v[0:1], 2, v[24:25]
	v_mov_b32_e32 v2, s13
	v_add_co_u32_e32 v0, vcc, s12, v0
	v_addc_co_u32_e32 v1, vcc, v1, v2, vcc
	v_add_co_u32_e32 v34, vcc, 32, v0
	v_addc_co_u32_e32 v35, vcc, 0, v1, vcc
	s_mov_b64 s[10:11], 0
	v_mov_b32_e32 v21, s7
.LBB95_33:                              ; =>This Inner Loop Header: Depth=1
	global_load_dwordx4 v[0:3], v[28:29], off
	global_load_dwordx4 v[4:7], v[28:29], off offset:16
	global_load_dwordx4 v[8:11], v[28:29], off offset:128
	;; [unrolled: 1-line block ×4, first 2 shown]
	global_load_dword v23, v[34:35], off offset:-32
	global_load_dword v68, v[34:35], off offset:-16
	global_load_dword v69, v[34:35], off
	global_load_dword v70, v[34:35], off offset:16
	global_load_dwordx4 v[36:39], v[28:29], off offset:272
	global_load_dwordx4 v[40:43], v[28:29], off offset:384
	;; [unrolled: 1-line block ×3, first 2 shown]
	v_add_co_u32_e32 v24, vcc, 16, v24
	v_addc_co_u32_e32 v25, vcc, 0, v25, vcc
	v_add_co_u32_e32 v34, vcc, 64, v34
	v_addc_co_u32_e32 v35, vcc, 0, v35, vcc
	v_add_co_u32_e32 v28, vcc, 0x200, v28
	v_addc_co_u32_e32 v29, vcc, 0, v29, vcc
	v_cmp_ge_i64_e64 s[0:1], v[24:25], v[26:27]
	s_or_b64 s[10:11], s[0:1], s[10:11]
	s_waitcnt vmcnt(11)
	v_cvt_f32_f16_sdwa v49, v0 dst_sel:DWORD dst_unused:UNUSED_PAD src0_sel:WORD_1
	s_waitcnt vmcnt(10)
	v_cvt_f32_f16_sdwa v53, v4 dst_sel:DWORD dst_unused:UNUSED_PAD src0_sel:WORD_1
	v_cvt_f32_f16_e32 v52, v4
	v_cvt_f32_f16_sdwa v55, v6 dst_sel:DWORD dst_unused:UNUSED_PAD src0_sel:WORD_1
	v_cvt_f32_f16_e32 v54, v6
	s_waitcnt vmcnt(6)
	v_subrev_u32_e32 v4, s20, v23
	s_waitcnt vmcnt(5)
	v_subrev_u32_e32 v6, s20, v68
	v_lshlrev_b32_e32 v68, 2, v4
	v_cvt_f32_f16_sdwa v57, v8 dst_sel:DWORD dst_unused:UNUSED_PAD src0_sel:WORD_1
	v_cvt_f32_f16_e32 v56, v8
	s_waitcnt vmcnt(4)
	v_subrev_u32_e32 v8, s20, v69
	v_ashrrev_i32_e32 v69, 31, v68
	v_cvt_f32_f16_sdwa v59, v10 dst_sel:DWORD dst_unused:UNUSED_PAD src0_sel:WORD_1
	v_cvt_f32_f16_e32 v58, v10
	s_waitcnt vmcnt(3)
	v_subrev_u32_e32 v10, s20, v70
	v_lshlrev_b32_e32 v70, 2, v6
	v_lshlrev_b64 v[68:69], 1, v[68:69]
	v_ashrrev_i32_e32 v71, 31, v70
	v_add_co_u32_e32 v68, vcc, s6, v68
	v_lshlrev_b32_e32 v72, 2, v8
	v_lshlrev_b64 v[70:71], 1, v[70:71]
	v_addc_co_u32_e32 v69, vcc, v21, v69, vcc
	v_ashrrev_i32_e32 v73, 31, v72
	v_add_co_u32_e32 v70, vcc, s6, v70
	v_lshlrev_b32_e32 v74, 2, v10
	v_lshlrev_b64 v[72:73], 1, v[72:73]
	v_addc_co_u32_e32 v71, vcc, v21, v71, vcc
	v_ashrrev_i32_e32 v75, 31, v74
	v_add_co_u32_e32 v72, vcc, s6, v72
	v_lshlrev_b64 v[74:75], 1, v[74:75]
	v_addc_co_u32_e32 v73, vcc, v21, v73, vcc
	v_add_co_u32_e32 v74, vcc, s6, v74
	v_addc_co_u32_e32 v75, vcc, v21, v75, vcc
	global_load_dwordx2 v[76:77], v[68:69], off
	global_load_dwordx2 v[78:79], v[70:71], off
	;; [unrolled: 1-line block ×4, first 2 shown]
	v_cvt_f32_f16_e32 v48, v0
	v_cvt_f32_f16_sdwa v67, v1 dst_sel:DWORD dst_unused:UNUSED_PAD src0_sel:WORD_1
	v_cvt_f32_f16_e32 v66, v1
	s_waitcnt vmcnt(4)
	v_cvt_f32_f16_sdwa v87, v46 dst_sel:DWORD dst_unused:UNUSED_PAD src0_sel:WORD_1
	v_cvt_f32_f16_e32 v86, v46
	v_cvt_f32_f16_sdwa v51, v2 dst_sel:DWORD dst_unused:UNUSED_PAD src0_sel:WORD_1
	v_cvt_f32_f16_e32 v50, v2
	;; [unrolled: 2-line block ×26, first 2 shown]
	s_waitcnt vmcnt(3)
	v_cvt_f32_f16_e32 v46, v76
	v_cvt_f32_f16_sdwa v76, v76 dst_sel:DWORD dst_unused:UNUSED_PAD src0_sel:WORD_1
	v_cvt_f32_f16_e32 v90, v77
	v_cvt_f32_f16_sdwa v92, v77 dst_sel:DWORD dst_unused:UNUSED_PAD src0_sel:WORD_1
	v_pk_fma_f32 v[32:33], v[48:49], v[46:47], v[32:33] op_sel_hi:[1,0,1]
	s_waitcnt vmcnt(2)
	v_cvt_f32_f16_e32 v48, v78
	v_pk_fma_f32 v[30:31], v[66:67], v[46:47], v[30:31] op_sel_hi:[1,0,1]
	v_cvt_f32_f16_sdwa v46, v78 dst_sel:DWORD dst_unused:UNUSED_PAD src0_sel:WORD_1
	v_pk_fma_f32 v[32:33], v[50:51], v[76:77], v[32:33] op_sel_hi:[1,0,1]
	v_pk_fma_f32 v[0:1], v[0:1], v[76:77], v[30:31] op_sel_hi:[1,0,1]
	v_cvt_f32_f16_e32 v66, v79
	v_pk_fma_f32 v[32:33], v[52:53], v[90:91], v[32:33] op_sel_hi:[1,0,1]
	v_pk_fma_f32 v[0:1], v[2:3], v[90:91], v[0:1] op_sel_hi:[1,0,1]
	v_cvt_f32_f16_sdwa v78, v79 dst_sel:DWORD dst_unused:UNUSED_PAD src0_sel:WORD_1
	v_pk_fma_f32 v[32:33], v[54:55], v[92:93], v[32:33] op_sel_hi:[1,0,1]
	v_pk_fma_f32 v[0:1], v[4:5], v[92:93], v[0:1] op_sel_hi:[1,0,1]
	s_waitcnt vmcnt(1)
	v_cvt_f32_f16_e32 v50, v80
	v_pk_fma_f32 v[4:5], v[56:57], v[48:49], v[32:33] op_sel_hi:[1,0,1]
	v_pk_fma_f32 v[0:1], v[6:7], v[48:49], v[0:1] op_sel_hi:[1,0,1]
	v_cvt_f32_f16_sdwa v30, v80 dst_sel:DWORD dst_unused:UNUSED_PAD src0_sel:WORD_1
	v_pk_fma_f32 v[4:5], v[58:59], v[46:47], v[4:5] op_sel_hi:[1,0,1]
	v_pk_fma_f32 v[0:1], v[8:9], v[46:47], v[0:1] op_sel_hi:[1,0,1]
	v_cvt_f32_f16_e32 v76, v81
	v_pk_fma_f32 v[4:5], v[60:61], v[66:67], v[4:5] op_sel_hi:[1,0,1]
	v_pk_fma_f32 v[0:1], v[10:11], v[66:67], v[0:1] op_sel_hi:[1,0,1]
	v_cvt_f32_f16_sdwa v80, v81 dst_sel:DWORD dst_unused:UNUSED_PAD src0_sel:WORD_1
	v_pk_fma_f32 v[4:5], v[62:63], v[78:79], v[4:5] op_sel_hi:[1,0,1]
	v_pk_fma_f32 v[0:1], v[12:13], v[78:79], v[0:1] op_sel_hi:[1,0,1]
	s_waitcnt vmcnt(0)
	v_cvt_f32_f16_e32 v52, v82
	v_pk_fma_f32 v[4:5], v[64:65], v[50:51], v[4:5] op_sel_hi:[1,0,1]
	v_pk_fma_f32 v[0:1], v[68:69], v[50:51], v[0:1] op_sel_hi:[1,0,1]
	v_cvt_f32_f16_sdwa v2, v82 dst_sel:DWORD dst_unused:UNUSED_PAD src0_sel:WORD_1
	v_pk_fma_f32 v[4:5], v[14:15], v[30:31], v[4:5] op_sel_hi:[1,0,1]
	v_pk_fma_f32 v[0:1], v[16:17], v[30:31], v[0:1] op_sel_hi:[1,0,1]
	v_cvt_f32_f16_e32 v82, v83
	v_pk_fma_f32 v[4:5], v[18:19], v[76:77], v[4:5] op_sel_hi:[1,0,1]
	v_pk_fma_f32 v[0:1], v[70:71], v[76:77], v[0:1] op_sel_hi:[1,0,1]
	v_cvt_f32_f16_sdwa v90, v83 dst_sel:DWORD dst_unused:UNUSED_PAD src0_sel:WORD_1
	v_pk_fma_f32 v[4:5], v[36:37], v[80:81], v[4:5] op_sel_hi:[1,0,1]
	v_pk_fma_f32 v[0:1], v[72:73], v[80:81], v[0:1] op_sel_hi:[1,0,1]
	;; [unrolled: 1-line block ×10, first 2 shown]
	s_andn2_b64 exec, exec, s[10:11]
	s_cbranch_execnz .LBB95_33
; %bb.34:
	s_or_b64 exec, exec, s[10:11]
.LBB95_35:
	s_or_b64 exec, exec, s[8:9]
.LBB95_36:
	s_or_b64 exec, exec, s[2:3]
.LBB95_37:
	v_mov_b32_dpp v0, v32 row_shr:1 row_mask:0xf bank_mask:0xf
	v_mov_b32_dpp v1, v33 row_shr:1 row_mask:0xf bank_mask:0xf
	;; [unrolled: 1-line block ×4, first 2 shown]
	v_pk_add_f32 v[0:1], v[32:33], v[0:1]
	v_pk_add_f32 v[4:5], v[30:31], v[4:5]
	v_cmp_eq_u32_e32 vcc, 3, v22
	v_mov_b32_dpp v2, v0 row_shr:2 row_mask:0xf bank_mask:0xf
	v_mov_b32_dpp v3, v1 row_shr:2 row_mask:0xf bank_mask:0xf
	;; [unrolled: 1-line block ×4, first 2 shown]
	s_and_b64 exec, exec, vcc
	s_cbranch_execz .LBB95_10
; %bb.38:
	s_load_dwordx2 s[0:1], s[4:5], 0x50
	v_cmp_eq_f32_e64 s[2:3], s18, 0
	v_pk_add_f32 v[2:3], v[0:1], v[2:3]
	v_pk_add_f32 v[0:1], v[4:5], v[6:7]
	s_and_b64 vcc, exec, s[2:3]
	v_lshlrev_b32_e32 v4, 2, v20
	s_cbranch_vccz .LBB95_40
; %bb.39:
	v_ashrrev_i32_e32 v5, 31, v4
	v_lshlrev_b64 v[6:7], 2, v[4:5]
	s_waitcnt lgkmcnt(0)
	v_mov_b32_e32 v5, s1
	v_add_co_u32_e32 v10, vcc, s0, v6
	v_addc_co_u32_e32 v11, vcc, v5, v7, vcc
	v_pk_mul_f32 v[6:7], s[16:17], v[2:3] op_sel_hi:[0,1]
	v_pk_mul_f32 v[8:9], s[16:17], v[0:1] op_sel_hi:[0,1]
	global_store_dwordx4 v[10:11], v[6:9], off
	s_cbranch_execnz .LBB95_10
	s_branch .LBB95_41
.LBB95_40:
.LBB95_41:
	v_ashrrev_i32_e32 v5, 31, v4
	v_lshlrev_b64 v[4:5], 2, v[4:5]
	s_waitcnt lgkmcnt(0)
	v_mov_b32_e32 v6, s1
	v_add_co_u32_e32 v8, vcc, s0, v4
	v_addc_co_u32_e32 v9, vcc, v6, v5, vcc
	global_load_dwordx4 v[4:7], v[8:9], off
	v_pk_mul_f32 v[2:3], s[16:17], v[2:3] op_sel_hi:[0,1]
	v_pk_mul_f32 v[10:11], s[16:17], v[0:1] op_sel_hi:[0,1]
	s_waitcnt vmcnt(0)
	v_pk_fma_f32 v[0:1], s[18:19], v[4:5], v[2:3] op_sel_hi:[0,1,1]
	v_pk_fma_f32 v[2:3], s[18:19], v[6:7], v[10:11] op_sel_hi:[0,1,1]
	global_store_dwordx4 v[8:9], v[0:3], off
	s_endpgm
	.section	.rodata,"a",@progbits
	.p2align	6, 0x0
	.amdhsa_kernel _ZN9rocsparseL18bsrxmvn_4x4_kernelILj128ELj4EfliDF16_DF16_fEEvT3_20rocsparse_direction_NS_24const_host_device_scalarIT1_EES1_PKS1_PKT2_SA_S7_PKT4_PKT5_S5_PT6_21rocsparse_index_base_b
		.amdhsa_group_segment_fixed_size 0
		.amdhsa_private_segment_fixed_size 0
		.amdhsa_kernarg_size 96
		.amdhsa_user_sgpr_count 6
		.amdhsa_user_sgpr_private_segment_buffer 1
		.amdhsa_user_sgpr_dispatch_ptr 0
		.amdhsa_user_sgpr_queue_ptr 0
		.amdhsa_user_sgpr_kernarg_segment_ptr 1
		.amdhsa_user_sgpr_dispatch_id 0
		.amdhsa_user_sgpr_flat_scratch_init 0
		.amdhsa_user_sgpr_kernarg_preload_length 0
		.amdhsa_user_sgpr_kernarg_preload_offset 0
		.amdhsa_user_sgpr_private_segment_size 0
		.amdhsa_uses_dynamic_stack 0
		.amdhsa_system_sgpr_private_segment_wavefront_offset 0
		.amdhsa_system_sgpr_workgroup_id_x 1
		.amdhsa_system_sgpr_workgroup_id_y 0
		.amdhsa_system_sgpr_workgroup_id_z 0
		.amdhsa_system_sgpr_workgroup_info 0
		.amdhsa_system_vgpr_workitem_id 0
		.amdhsa_next_free_vgpr 100
		.amdhsa_next_free_sgpr 22
		.amdhsa_accum_offset 100
		.amdhsa_reserve_vcc 1
		.amdhsa_reserve_flat_scratch 0
		.amdhsa_float_round_mode_32 0
		.amdhsa_float_round_mode_16_64 0
		.amdhsa_float_denorm_mode_32 3
		.amdhsa_float_denorm_mode_16_64 3
		.amdhsa_dx10_clamp 1
		.amdhsa_ieee_mode 1
		.amdhsa_fp16_overflow 0
		.amdhsa_tg_split 0
		.amdhsa_exception_fp_ieee_invalid_op 0
		.amdhsa_exception_fp_denorm_src 0
		.amdhsa_exception_fp_ieee_div_zero 0
		.amdhsa_exception_fp_ieee_overflow 0
		.amdhsa_exception_fp_ieee_underflow 0
		.amdhsa_exception_fp_ieee_inexact 0
		.amdhsa_exception_int_div_zero 0
	.end_amdhsa_kernel
	.section	.text._ZN9rocsparseL18bsrxmvn_4x4_kernelILj128ELj4EfliDF16_DF16_fEEvT3_20rocsparse_direction_NS_24const_host_device_scalarIT1_EES1_PKS1_PKT2_SA_S7_PKT4_PKT5_S5_PT6_21rocsparse_index_base_b,"axG",@progbits,_ZN9rocsparseL18bsrxmvn_4x4_kernelILj128ELj4EfliDF16_DF16_fEEvT3_20rocsparse_direction_NS_24const_host_device_scalarIT1_EES1_PKS1_PKT2_SA_S7_PKT4_PKT5_S5_PT6_21rocsparse_index_base_b,comdat
.Lfunc_end95:
	.size	_ZN9rocsparseL18bsrxmvn_4x4_kernelILj128ELj4EfliDF16_DF16_fEEvT3_20rocsparse_direction_NS_24const_host_device_scalarIT1_EES1_PKS1_PKT2_SA_S7_PKT4_PKT5_S5_PT6_21rocsparse_index_base_b, .Lfunc_end95-_ZN9rocsparseL18bsrxmvn_4x4_kernelILj128ELj4EfliDF16_DF16_fEEvT3_20rocsparse_direction_NS_24const_host_device_scalarIT1_EES1_PKS1_PKT2_SA_S7_PKT4_PKT5_S5_PT6_21rocsparse_index_base_b
                                        ; -- End function
	.section	.AMDGPU.csdata,"",@progbits
; Kernel info:
; codeLenInByte = 4044
; NumSgprs: 26
; NumVgprs: 100
; NumAgprs: 0
; TotalNumVgprs: 100
; ScratchSize: 0
; MemoryBound: 0
; FloatMode: 240
; IeeeMode: 1
; LDSByteSize: 0 bytes/workgroup (compile time only)
; SGPRBlocks: 3
; VGPRBlocks: 12
; NumSGPRsForWavesPerEU: 26
; NumVGPRsForWavesPerEU: 100
; AccumOffset: 100
; Occupancy: 4
; WaveLimiterHint : 1
; COMPUTE_PGM_RSRC2:SCRATCH_EN: 0
; COMPUTE_PGM_RSRC2:USER_SGPR: 6
; COMPUTE_PGM_RSRC2:TRAP_HANDLER: 0
; COMPUTE_PGM_RSRC2:TGID_X_EN: 1
; COMPUTE_PGM_RSRC2:TGID_Y_EN: 0
; COMPUTE_PGM_RSRC2:TGID_Z_EN: 0
; COMPUTE_PGM_RSRC2:TIDIG_COMP_CNT: 0
; COMPUTE_PGM_RSRC3_GFX90A:ACCUM_OFFSET: 24
; COMPUTE_PGM_RSRC3_GFX90A:TG_SPLIT: 0
	.section	.text._ZN9rocsparseL18bsrxmvn_4x4_kernelILj128ELj8EfliDF16_DF16_fEEvT3_20rocsparse_direction_NS_24const_host_device_scalarIT1_EES1_PKS1_PKT2_SA_S7_PKT4_PKT5_S5_PT6_21rocsparse_index_base_b,"axG",@progbits,_ZN9rocsparseL18bsrxmvn_4x4_kernelILj128ELj8EfliDF16_DF16_fEEvT3_20rocsparse_direction_NS_24const_host_device_scalarIT1_EES1_PKS1_PKT2_SA_S7_PKT4_PKT5_S5_PT6_21rocsparse_index_base_b,comdat
	.globl	_ZN9rocsparseL18bsrxmvn_4x4_kernelILj128ELj8EfliDF16_DF16_fEEvT3_20rocsparse_direction_NS_24const_host_device_scalarIT1_EES1_PKS1_PKT2_SA_S7_PKT4_PKT5_S5_PT6_21rocsparse_index_base_b ; -- Begin function _ZN9rocsparseL18bsrxmvn_4x4_kernelILj128ELj8EfliDF16_DF16_fEEvT3_20rocsparse_direction_NS_24const_host_device_scalarIT1_EES1_PKS1_PKT2_SA_S7_PKT4_PKT5_S5_PT6_21rocsparse_index_base_b
	.p2align	8
	.type	_ZN9rocsparseL18bsrxmvn_4x4_kernelILj128ELj8EfliDF16_DF16_fEEvT3_20rocsparse_direction_NS_24const_host_device_scalarIT1_EES1_PKS1_PKT2_SA_S7_PKT4_PKT5_S5_PT6_21rocsparse_index_base_b,@function
_ZN9rocsparseL18bsrxmvn_4x4_kernelILj128ELj8EfliDF16_DF16_fEEvT3_20rocsparse_direction_NS_24const_host_device_scalarIT1_EES1_PKS1_PKT2_SA_S7_PKT4_PKT5_S5_PT6_21rocsparse_index_base_b: ; @_ZN9rocsparseL18bsrxmvn_4x4_kernelILj128ELj8EfliDF16_DF16_fEEvT3_20rocsparse_direction_NS_24const_host_device_scalarIT1_EES1_PKS1_PKT2_SA_S7_PKT4_PKT5_S5_PT6_21rocsparse_index_base_b
; %bb.0:
	s_load_dwordx2 s[20:21], s[4:5], 0x58
	s_load_dwordx2 s[16:17], s[4:5], 0x8
	;; [unrolled: 1-line block ×3, first 2 shown]
	s_waitcnt lgkmcnt(0)
	s_bitcmp1_b32 s21, 0
	s_cselect_b64 s[2:3], -1, 0
	s_xor_b64 s[0:1], s[2:3], -1
	s_and_b64 vcc, exec, s[2:3]
	s_cbranch_vccnz .LBB96_2
; %bb.1:
	s_load_dword s16, s[16:17], 0x0
.LBB96_2:
	s_andn2_b64 vcc, exec, s[0:1]
	s_cbranch_vccnz .LBB96_4
; %bb.3:
	s_load_dword s18, s[18:19], 0x0
.LBB96_4:
	s_waitcnt lgkmcnt(0)
	v_cmp_neq_f32_e64 s[0:1], s16, 0
	v_cmp_neq_f32_e64 s[2:3], s18, 1.0
	s_or_b64 s[0:1], s[0:1], s[2:3]
	s_andn2_b64 vcc, exec, s[0:1]
	s_cbranch_vccnz .LBB96_10
; %bb.5:
	s_load_dwordx2 s[8:9], s[4:5], 0x18
	s_load_dwordx2 s[0:1], s[4:5], 0x0
	v_lshrrev_b32_e32 v1, 3, v0
	v_lshl_or_b32 v20, s6, 4, v1
	s_mov_b64 s[2:3], 0
	s_waitcnt lgkmcnt(0)
	s_cmp_lg_u64 s[8:9], 0
	s_cbranch_scc0 .LBB96_11
; %bb.6:
	s_load_dword s6, s[4:5], 0x10
                                        ; implicit-def: $vgpr1
	s_waitcnt lgkmcnt(0)
	v_cmp_gt_i32_e32 vcc, s6, v20
	s_and_saveexec_b64 s[6:7], vcc
	s_xor_b64 s[6:7], exec, s[6:7]
	s_cbranch_execz .LBB96_8
; %bb.7:
	v_ashrrev_i32_e32 v21, 31, v20
	v_lshlrev_b64 v[2:3], 2, v[20:21]
	v_mov_b32_e32 v1, s9
	v_add_co_u32_e32 v2, vcc, s8, v2
	v_addc_co_u32_e32 v3, vcc, v1, v3, vcc
	global_load_dword v1, v[2:3], off
	s_mov_b64 s[2:3], exec
	s_waitcnt vmcnt(0)
	v_subrev_u32_e32 v1, s20, v1
.LBB96_8:
	s_or_b64 exec, exec, s[6:7]
	s_branch .LBB96_12
.LBB96_9:
	v_cmp_gt_i32_e32 vcc, s0, v20
	s_andn2_b64 s[2:3], s[2:3], exec
	s_and_b64 s[6:7], vcc, exec
	s_or_b64 s[2:3], s[2:3], s[6:7]
	s_and_saveexec_b64 s[6:7], s[2:3]
	s_cbranch_execnz .LBB96_13
.LBB96_10:
	s_endpgm
.LBB96_11:
                                        ; implicit-def: $vgpr1
	s_cbranch_execnz .LBB96_9
.LBB96_12:
	v_mov_b32_e32 v20, v1
	s_and_saveexec_b64 s[6:7], s[2:3]
	s_cbranch_execz .LBB96_10
.LBB96_13:
	s_load_dwordx8 s[8:15], s[4:5], 0x20
	v_ashrrev_i32_e32 v21, 31, v20
	v_lshlrev_b64 v[2:3], 3, v[20:21]
	v_and_b32_e32 v22, 7, v0
	s_load_dwordx2 s[6:7], s[4:5], 0x40
	s_waitcnt lgkmcnt(0)
	v_mov_b32_e32 v1, s9
	v_add_co_u32_e32 v4, vcc, s8, v2
	v_addc_co_u32_e32 v5, vcc, v1, v3, vcc
	v_add_co_u32_e32 v1, vcc, 8, v4
	global_load_dwordx2 v[34:35], v[4:5], off
	v_addc_co_u32_e32 v4, vcc, 0, v5, vcc
	v_mov_b32_e32 v5, s11
	v_add_co_u32_e32 v2, vcc, s10, v2
	s_cmp_eq_u64 s[10:11], 0
	v_addc_co_u32_e32 v3, vcc, v5, v3, vcc
	s_cselect_b64 vcc, -1, 0
	v_cndmask_b32_e32 v3, v3, v4, vcc
	v_cndmask_b32_e32 v2, v2, v1, vcc
	global_load_dwordx2 v[2:3], v[2:3], off
	v_mov_b32_e32 v4, s15
	s_mov_b32 s17, 0
	v_mov_b32_e32 v31, 0
	s_cmp_eq_u32 s1, 1
	s_waitcnt vmcnt(1)
	v_subrev_co_u32_e32 v0, vcc, s20, v34
	v_subbrev_co_u32_e32 v1, vcc, 0, v35, vcc
	v_add_co_u32_e32 v24, vcc, v0, v22
	v_addc_co_u32_e32 v25, vcc, 0, v1, vcc
	v_lshlrev_b64 v[0:1], 5, v[24:25]
	s_waitcnt vmcnt(0)
	v_subrev_co_u32_e32 v26, vcc, s20, v2
	v_subbrev_co_u32_e32 v27, vcc, 0, v3, vcc
	v_add_co_u32_e32 v28, vcc, s14, v0
	v_addc_co_u32_e32 v29, vcc, v4, v1, vcc
	v_cmp_lt_i64_e64 s[0:1], v[24:25], v[26:27]
	s_cbranch_scc1 .LBB96_25
; %bb.14:
	v_mov_b32_e32 v30, 0
	v_mov_b32_e32 v33, 0
	;; [unrolled: 1-line block ×3, first 2 shown]
	s_and_saveexec_b64 s[8:9], s[0:1]
	s_cbranch_execz .LBB96_24
; %bb.15:
	v_or_b32_e32 v0, 8, v22
	v_mov_b32_e32 v1, s17
	v_subrev_co_u32_e32 v0, vcc, s20, v0
	v_subb_co_u32_e32 v1, vcc, 0, v1, vcc
	v_add_co_u32_e32 v0, vcc, v0, v34
	v_addc_co_u32_e32 v1, vcc, v1, v35, vcc
	v_cmp_gt_i64_e32 vcc, v[0:1], v[26:27]
	v_cndmask_b32_e32 v1, v27, v1, vcc
	v_cndmask_b32_e32 v0, v26, v0, vcc
	v_mov_b32_e32 v4, s17
	v_sub_co_u32_e32 v5, vcc, s20, v22
	v_not_b32_e32 v3, v34
	v_subbrev_co_u32_e32 v4, vcc, 0, v4, vcc
	v_not_b32_e32 v2, v35
	v_add_co_u32_e32 v3, vcc, v5, v3
	v_addc_co_u32_e32 v2, vcc, v4, v2, vcc
	v_add_co_u32_e32 v0, vcc, v3, v0
	v_addc_co_u32_e32 v1, vcc, v2, v1, vcc
	v_lshrrev_b32_e32 v2, 3, v0
	v_add_u32_e32 v2, 1, v2
	v_and_b32_e32 v2, 3, v2
	v_mov_b32_e32 v32, 0
	v_cmp_ne_u32_e32 vcc, 0, v2
	v_mov_b32_e32 v33, v32
	v_mov_b32_e32 v30, v32
	;; [unrolled: 1-line block ×3, first 2 shown]
	v_pk_mov_b32 v[36:37], v[24:25], v[24:25] op_sel:[0,1]
	v_pk_mov_b32 v[38:39], v[28:29], v[28:29] op_sel:[0,1]
	s_and_saveexec_b64 s[2:3], vcc
	s_cbranch_execz .LBB96_19
; %bb.16:
	v_lshlrev_b64 v[4:5], 2, v[24:25]
	v_mov_b32_e32 v3, 0
	v_mov_b32_e32 v6, s13
	v_add_co_u32_e32 v4, vcc, s12, v4
	v_addc_co_u32_e32 v5, vcc, v6, v5, vcc
	v_lshlrev_b32_e32 v2, 3, v2
	s_mov_b64 s[10:11], 0
	v_mov_b32_e32 v6, s7
	s_movk_i32 s14, 0x100
	v_pk_mov_b32 v[38:39], v[28:29], v[28:29] op_sel:[0,1]
	v_pk_mov_b32 v[36:37], v[24:25], v[24:25] op_sel:[0,1]
	v_mov_b32_e32 v31, v3
	v_mov_b32_e32 v30, v3
	;; [unrolled: 1-line block ×4, first 2 shown]
.LBB96_17:                              ; =>This Inner Loop Header: Depth=1
	global_load_dword v7, v[4:5], off
	global_load_dwordx4 v[8:11], v[38:39], off
	global_load_dwordx4 v[12:15], v[38:39], off offset:16
	s_waitcnt vmcnt(2)
	v_subrev_u32_e32 v7, s20, v7
	v_lshlrev_b32_e32 v16, 2, v7
	v_ashrrev_i32_e32 v17, 31, v16
	v_lshlrev_b64 v[16:17], 1, v[16:17]
	v_add_co_u32_e32 v16, vcc, s6, v16
	v_addc_co_u32_e32 v17, vcc, v6, v17, vcc
	global_load_dwordx2 v[16:17], v[16:17], off
	v_add_co_u32_e32 v38, vcc, s14, v38
	v_addc_co_u32_e32 v39, vcc, 0, v39, vcc
	v_add_co_u32_e32 v36, vcc, 8, v36
	s_waitcnt vmcnt(2)
	v_cvt_f32_f16_e32 v18, v8
	v_cvt_f32_f16_e32 v19, v10
	v_cvt_f32_f16_sdwa v41, v10 dst_sel:DWORD dst_unused:UNUSED_PAD src0_sel:WORD_1
	v_cvt_f32_f16_sdwa v40, v8 dst_sel:DWORD dst_unused:UNUSED_PAD src0_sel:WORD_1
	v_cvt_f32_f16_e32 v42, v9
	v_cvt_f32_f16_sdwa v10, v9 dst_sel:DWORD dst_unused:UNUSED_PAD src0_sel:WORD_1
	s_waitcnt vmcnt(1)
	v_cvt_f32_f16_e32 v8, v12
	v_cvt_f32_f16_e32 v9, v14
	v_cvt_f32_f16_sdwa v44, v12 dst_sel:DWORD dst_unused:UNUSED_PAD src0_sel:WORD_1
	v_addc_co_u32_e32 v37, vcc, 0, v37, vcc
	v_cvt_f32_f16_sdwa v45, v14 dst_sel:DWORD dst_unused:UNUSED_PAD src0_sel:WORD_1
	v_add_co_u32_e32 v4, vcc, 32, v4
	v_cvt_f32_f16_e32 v43, v11
	v_cvt_f32_f16_e32 v47, v15
	;; [unrolled: 1-line block ×3, first 2 shown]
	v_addc_co_u32_e32 v5, vcc, 0, v5, vcc
	v_cvt_f32_f16_sdwa v11, v11 dst_sel:DWORD dst_unused:UNUSED_PAD src0_sel:WORD_1
	v_cvt_f32_f16_sdwa v15, v15 dst_sel:DWORD dst_unused:UNUSED_PAD src0_sel:WORD_1
	;; [unrolled: 1-line block ×3, first 2 shown]
	v_add_co_u32_e32 v2, vcc, -8, v2
	v_addc_co_u32_e32 v3, vcc, -1, v3, vcc
	v_cmp_eq_u64_e32 vcc, 0, v[2:3]
	s_or_b64 s[10:11], vcc, s[10:11]
	s_waitcnt vmcnt(0)
	v_cvt_f32_f16_e32 v12, v16
	v_cvt_f32_f16_sdwa v16, v16 dst_sel:DWORD dst_unused:UNUSED_PAD src0_sel:WORD_1
	v_cvt_f32_f16_e32 v48, v17
	v_cvt_f32_f16_sdwa v50, v17 dst_sel:DWORD dst_unused:UNUSED_PAD src0_sel:WORD_1
	v_pk_fma_f32 v[18:19], v[18:19], v[12:13], v[32:33] op_sel_hi:[1,0,1]
	v_pk_fma_f32 v[8:9], v[8:9], v[12:13], v[30:31] op_sel_hi:[1,0,1]
	;; [unrolled: 1-line block ×8, first 2 shown]
	s_andn2_b64 exec, exec, s[10:11]
	s_cbranch_execnz .LBB96_17
; %bb.18:
	s_or_b64 exec, exec, s[10:11]
.LBB96_19:
	s_or_b64 exec, exec, s[2:3]
	v_cmp_lt_u64_e32 vcc, 23, v[0:1]
	s_and_saveexec_b64 s[10:11], vcc
	s_cbranch_execz .LBB96_23
; %bb.20:
	v_lshlrev_b64 v[0:1], 2, v[36:37]
	v_mov_b32_e32 v2, s13
	v_add_co_u32_e32 v0, vcc, s12, v0
	v_addc_co_u32_e32 v1, vcc, v1, v2, vcc
	v_add_co_u32_e32 v40, vcc, 64, v0
	v_addc_co_u32_e32 v41, vcc, 0, v1, vcc
	s_mov_b64 s[14:15], 0
	v_mov_b32_e32 v21, s7
.LBB96_21:                              ; =>This Inner Loop Header: Depth=1
	global_load_dword v23, v[40:41], off offset:-64
	global_load_dwordx4 v[12:15], v[38:39], off
	global_load_dwordx4 v[0:3], v[38:39], off offset:16
	global_load_dword v58, v[40:41], off offset:-32
	global_load_dword v59, v[40:41], off
	global_load_dwordx4 v[8:11], v[38:39], off offset:512
	global_load_dwordx4 v[16:19], v[38:39], off offset:256
	global_load_dword v72, v[40:41], off offset:32
	global_load_dwordx4 v[4:7], v[38:39], off offset:272
	global_load_dwordx4 v[42:45], v[38:39], off offset:528
	;; [unrolled: 1-line block ×4, first 2 shown]
	v_add_co_u32_e32 v36, vcc, 32, v36
	v_addc_co_u32_e32 v37, vcc, 0, v37, vcc
	v_add_co_u32_e32 v40, vcc, 0x80, v40
	v_addc_co_u32_e32 v41, vcc, 0, v41, vcc
	v_add_co_u32_e32 v38, vcc, 0x400, v38
	v_addc_co_u32_e32 v39, vcc, 0, v39, vcc
	v_cmp_ge_i64_e64 s[2:3], v[36:37], v[26:27]
	s_or_b64 s[14:15], s[2:3], s[14:15]
	s_waitcnt vmcnt(11)
	v_subrev_u32_e32 v23, s20, v23
	s_waitcnt vmcnt(10)
	v_cvt_f32_f16_e32 v54, v12
	v_cvt_f32_f16_sdwa v60, v12 dst_sel:DWORD dst_unused:UNUSED_PAD src0_sel:WORD_1
	s_waitcnt vmcnt(8)
	v_subrev_u32_e32 v73, s20, v58
	s_waitcnt vmcnt(7)
	v_subrev_u32_e32 v59, s20, v59
	s_waitcnt vmcnt(6)
	v_cvt_f32_f16_sdwa v58, v9 dst_sel:DWORD dst_unused:UNUSED_PAD src0_sel:WORD_1
	s_waitcnt vmcnt(5)
	v_cvt_f32_f16_e32 v12, v16
	v_cvt_f32_f16_sdwa v64, v16 dst_sel:DWORD dst_unused:UNUSED_PAD src0_sel:WORD_1
	v_cvt_f32_f16_e32 v16, v8
	v_cvt_f32_f16_sdwa v68, v8 dst_sel:DWORD dst_unused:UNUSED_PAD src0_sel:WORD_1
	v_cvt_f32_f16_e32 v70, v9
	s_waitcnt vmcnt(4)
	v_subrev_u32_e32 v9, s20, v72
	v_lshlrev_b32_e32 v8, 2, v23
	v_lshlrev_b32_e32 v76, 2, v9
	v_ashrrev_i32_e32 v9, 31, v8
	v_lshlrev_b32_e32 v72, 2, v73
	v_lshlrev_b64 v[8:9], 1, v[8:9]
	v_ashrrev_i32_e32 v73, 31, v72
	v_add_co_u32_e32 v8, vcc, s6, v8
	v_lshlrev_b32_e32 v74, 2, v59
	v_lshlrev_b64 v[72:73], 1, v[72:73]
	v_addc_co_u32_e32 v9, vcc, v21, v9, vcc
	v_ashrrev_i32_e32 v75, 31, v74
	v_add_co_u32_e32 v72, vcc, s6, v72
	v_lshlrev_b64 v[74:75], 1, v[74:75]
	v_addc_co_u32_e32 v73, vcc, v21, v73, vcc
	v_ashrrev_i32_e32 v77, 31, v76
	v_add_co_u32_e32 v74, vcc, s6, v74
	v_lshlrev_b64 v[76:77], 1, v[76:77]
	v_addc_co_u32_e32 v75, vcc, v21, v75, vcc
	v_add_co_u32_e32 v76, vcc, s6, v76
	v_addc_co_u32_e32 v77, vcc, v21, v77, vcc
	global_load_dwordx2 v[78:79], v[8:9], off
	global_load_dwordx2 v[80:81], v[72:73], off
	;; [unrolled: 1-line block ×4, first 2 shown]
	v_cvt_f32_f16_e32 v55, v14
	v_cvt_f32_f16_e32 v56, v0
	;; [unrolled: 1-line block ×3, first 2 shown]
	v_cvt_f32_f16_sdwa v61, v14 dst_sel:DWORD dst_unused:UNUSED_PAD src0_sel:WORD_1
	v_cvt_f32_f16_e32 v62, v13
	v_cvt_f32_f16_sdwa v14, v13 dst_sel:DWORD dst_unused:UNUSED_PAD src0_sel:WORD_1
	v_cvt_f32_f16_e32 v13, v18
	;; [unrolled: 2-line block ×5, first 2 shown]
	v_cvt_f32_f16_sdwa v59, v11 dst_sel:DWORD dst_unused:UNUSED_PAD src0_sel:WORD_1
	v_cvt_f32_f16_sdwa v11, v2 dst_sel:DWORD dst_unused:UNUSED_PAD src0_sel:WORD_1
	;; [unrolled: 1-line block ×3, first 2 shown]
	v_cvt_f32_f16_e32 v72, v1
	v_cvt_f32_f16_sdwa v2, v1 dst_sel:DWORD dst_unused:UNUSED_PAD src0_sel:WORD_1
	s_waitcnt vmcnt(7)
	v_cvt_f32_f16_e32 v1, v6
	v_cvt_f32_f16_e32 v0, v4
	v_cvt_f32_f16_sdwa v75, v6 dst_sel:DWORD dst_unused:UNUSED_PAD src0_sel:WORD_1
	v_cvt_f32_f16_sdwa v74, v4 dst_sel:DWORD dst_unused:UNUSED_PAD src0_sel:WORD_1
	v_cvt_f32_f16_e32 v76, v5
	v_cvt_f32_f16_sdwa v6, v5 dst_sel:DWORD dst_unused:UNUSED_PAD src0_sel:WORD_1
	s_waitcnt vmcnt(6)
	v_cvt_f32_f16_e32 v5, v44
	v_cvt_f32_f16_e32 v4, v42
	v_cvt_f32_f16_sdwa v87, v44 dst_sel:DWORD dst_unused:UNUSED_PAD src0_sel:WORD_1
	v_cvt_f32_f16_sdwa v86, v42 dst_sel:DWORD dst_unused:UNUSED_PAD src0_sel:WORD_1
	s_waitcnt vmcnt(5)
	v_cvt_f32_f16_e32 v42, v46
	v_cvt_f32_f16_sdwa v44, v46 dst_sel:DWORD dst_unused:UNUSED_PAD src0_sel:WORD_1
	s_waitcnt vmcnt(4)
	v_cvt_f32_f16_e32 v46, v50
	v_cvt_f32_f16_sdwa v92, v50 dst_sel:DWORD dst_unused:UNUSED_PAD src0_sel:WORD_1
	v_cvt_f32_f16_e32 v63, v15
	v_cvt_f32_f16_e32 v73, v3
	v_cvt_f32_f16_sdwa v15, v15 dst_sel:DWORD dst_unused:UNUSED_PAD src0_sel:WORD_1
	v_cvt_f32_f16_sdwa v3, v3 dst_sel:DWORD dst_unused:UNUSED_PAD src0_sel:WORD_1
	v_cvt_f32_f16_e32 v67, v19
	v_cvt_f32_f16_e32 v77, v7
	v_cvt_f32_f16_sdwa v19, v19 dst_sel:DWORD dst_unused:UNUSED_PAD src0_sel:WORD_1
	;; [unrolled: 4-line block ×3, first 2 shown]
	v_cvt_f32_f16_sdwa v9, v45 dst_sel:DWORD dst_unused:UNUSED_PAD src0_sel:WORD_1
	v_cvt_f32_f16_e32 v43, v48
	v_cvt_f32_f16_sdwa v45, v48 dst_sel:DWORD dst_unused:UNUSED_PAD src0_sel:WORD_1
	v_cvt_f32_f16_e32 v90, v47
	;; [unrolled: 2-line block ×4, first 2 shown]
	v_cvt_f32_f16_e32 v95, v53
	v_cvt_f32_f16_e32 v94, v51
	v_cvt_f32_f16_sdwa v49, v49 dst_sel:DWORD dst_unused:UNUSED_PAD src0_sel:WORD_1
	v_cvt_f32_f16_sdwa v53, v53 dst_sel:DWORD dst_unused:UNUSED_PAD src0_sel:WORD_1
	;; [unrolled: 1-line block ×3, first 2 shown]
	s_waitcnt vmcnt(3)
	v_cvt_f32_f16_e32 v50, v78
	v_cvt_f32_f16_sdwa v78, v78 dst_sel:DWORD dst_unused:UNUSED_PAD src0_sel:WORD_1
	v_cvt_f32_f16_e32 v96, v79
	v_cvt_f32_f16_sdwa v98, v79 dst_sel:DWORD dst_unused:UNUSED_PAD src0_sel:WORD_1
	v_pk_fma_f32 v[32:33], v[54:55], v[50:51], v[32:33] op_sel_hi:[1,0,1]
	s_waitcnt vmcnt(2)
	v_cvt_f32_f16_e32 v54, v80
	v_pk_fma_f32 v[30:31], v[56:57], v[50:51], v[30:31] op_sel_hi:[1,0,1]
	v_cvt_f32_f16_sdwa v50, v80 dst_sel:DWORD dst_unused:UNUSED_PAD src0_sel:WORD_1
	v_pk_fma_f32 v[32:33], v[60:61], v[78:79], v[32:33] op_sel_hi:[1,0,1]
	v_pk_fma_f32 v[10:11], v[10:11], v[78:79], v[30:31] op_sel_hi:[1,0,1]
	v_cvt_f32_f16_e32 v56, v81
	v_pk_fma_f32 v[32:33], v[62:63], v[96:97], v[32:33] op_sel_hi:[1,0,1]
	v_pk_fma_f32 v[10:11], v[72:73], v[96:97], v[10:11] op_sel_hi:[1,0,1]
	v_cvt_f32_f16_sdwa v80, v81 dst_sel:DWORD dst_unused:UNUSED_PAD src0_sel:WORD_1
	v_pk_fma_f32 v[14:15], v[14:15], v[98:99], v[32:33] op_sel_hi:[1,0,1]
	v_pk_fma_f32 v[2:3], v[2:3], v[98:99], v[10:11] op_sel_hi:[1,0,1]
	s_waitcnt vmcnt(1)
	v_cvt_f32_f16_e32 v60, v82
	v_pk_fma_f32 v[10:11], v[12:13], v[54:55], v[14:15] op_sel_hi:[1,0,1]
	v_pk_fma_f32 v[0:1], v[0:1], v[54:55], v[2:3] op_sel_hi:[1,0,1]
	v_cvt_f32_f16_sdwa v30, v82 dst_sel:DWORD dst_unused:UNUSED_PAD src0_sel:WORD_1
	v_pk_fma_f32 v[2:3], v[64:65], v[50:51], v[10:11] op_sel_hi:[1,0,1]
	v_pk_fma_f32 v[0:1], v[74:75], v[50:51], v[0:1] op_sel_hi:[1,0,1]
	v_cvt_f32_f16_e32 v78, v83
	v_pk_fma_f32 v[2:3], v[66:67], v[56:57], v[2:3] op_sel_hi:[1,0,1]
	v_pk_fma_f32 v[0:1], v[76:77], v[56:57], v[0:1] op_sel_hi:[1,0,1]
	v_cvt_f32_f16_sdwa v82, v83 dst_sel:DWORD dst_unused:UNUSED_PAD src0_sel:WORD_1
	v_pk_fma_f32 v[2:3], v[18:19], v[80:81], v[2:3] op_sel_hi:[1,0,1]
	v_pk_fma_f32 v[0:1], v[6:7], v[80:81], v[0:1] op_sel_hi:[1,0,1]
	s_waitcnt vmcnt(0)
	v_cvt_f32_f16_e32 v62, v84
	v_pk_fma_f32 v[2:3], v[16:17], v[60:61], v[2:3] op_sel_hi:[1,0,1]
	v_pk_fma_f32 v[0:1], v[4:5], v[60:61], v[0:1] op_sel_hi:[1,0,1]
	v_cvt_f32_f16_sdwa v72, v84 dst_sel:DWORD dst_unused:UNUSED_PAD src0_sel:WORD_1
	v_pk_fma_f32 v[2:3], v[68:69], v[30:31], v[2:3] op_sel_hi:[1,0,1]
	v_pk_fma_f32 v[0:1], v[86:87], v[30:31], v[0:1] op_sel_hi:[1,0,1]
	v_cvt_f32_f16_e32 v84, v85
	v_pk_fma_f32 v[2:3], v[70:71], v[78:79], v[2:3] op_sel_hi:[1,0,1]
	v_pk_fma_f32 v[0:1], v[88:89], v[78:79], v[0:1] op_sel_hi:[1,0,1]
	v_cvt_f32_f16_sdwa v96, v85 dst_sel:DWORD dst_unused:UNUSED_PAD src0_sel:WORD_1
	v_pk_fma_f32 v[2:3], v[58:59], v[82:83], v[2:3] op_sel_hi:[1,0,1]
	v_pk_fma_f32 v[0:1], v[8:9], v[82:83], v[0:1] op_sel_hi:[1,0,1]
	;; [unrolled: 1-line block ×10, first 2 shown]
	s_andn2_b64 exec, exec, s[14:15]
	s_cbranch_execnz .LBB96_21
; %bb.22:
	s_or_b64 exec, exec, s[14:15]
.LBB96_23:
	s_or_b64 exec, exec, s[10:11]
.LBB96_24:
	s_or_b64 exec, exec, s[8:9]
	s_cbranch_execz .LBB96_26
	s_branch .LBB96_37
.LBB96_25:
                                        ; implicit-def: $vgpr31
                                        ; implicit-def: $vgpr33
.LBB96_26:
	v_mov_b32_e32 v31, 0
	v_mov_b32_e32 v30, 0
	;; [unrolled: 1-line block ×4, first 2 shown]
	s_and_saveexec_b64 s[2:3], s[0:1]
	s_cbranch_execz .LBB96_36
; %bb.27:
	v_or_b32_e32 v0, 8, v22
	v_mov_b32_e32 v1, s17
	v_subrev_co_u32_e32 v0, vcc, s20, v0
	v_subb_co_u32_e32 v1, vcc, 0, v1, vcc
	v_add_co_u32_e32 v0, vcc, v0, v34
	v_addc_co_u32_e32 v1, vcc, v1, v35, vcc
	v_cmp_gt_i64_e32 vcc, v[0:1], v[26:27]
	v_cndmask_b32_e32 v1, v27, v1, vcc
	v_cndmask_b32_e32 v0, v26, v0, vcc
	v_mov_b32_e32 v4, s17
	v_sub_co_u32_e32 v5, vcc, s20, v22
	v_not_b32_e32 v3, v34
	v_subbrev_co_u32_e32 v4, vcc, 0, v4, vcc
	v_not_b32_e32 v2, v35
	v_add_co_u32_e32 v3, vcc, v5, v3
	v_addc_co_u32_e32 v2, vcc, v4, v2, vcc
	v_add_co_u32_e32 v0, vcc, v3, v0
	v_addc_co_u32_e32 v1, vcc, v2, v1, vcc
	v_lshrrev_b32_e32 v2, 3, v0
	v_add_u32_e32 v2, 1, v2
	v_and_b32_e32 v2, 3, v2
	v_mov_b32_e32 v32, 0
	v_cmp_ne_u32_e32 vcc, 0, v2
	v_mov_b32_e32 v33, v32
	v_mov_b32_e32 v30, v32
	;; [unrolled: 1-line block ×3, first 2 shown]
	s_and_saveexec_b64 s[0:1], vcc
	s_cbranch_execz .LBB96_31
; %bb.28:
	v_lshlrev_b64 v[4:5], 2, v[24:25]
	v_mov_b32_e32 v3, 0
	v_mov_b32_e32 v6, s13
	v_add_co_u32_e32 v4, vcc, s12, v4
	v_addc_co_u32_e32 v5, vcc, v6, v5, vcc
	v_lshlrev_b32_e32 v2, 3, v2
	s_mov_b64 s[8:9], 0
	v_mov_b32_e32 v6, s7
	s_movk_i32 s10, 0x100
	v_mov_b32_e32 v31, v3
	v_mov_b32_e32 v30, v3
	;; [unrolled: 1-line block ×4, first 2 shown]
.LBB96_29:                              ; =>This Inner Loop Header: Depth=1
	global_load_dword v7, v[4:5], off
	global_load_dwordx4 v[8:11], v[28:29], off
	s_waitcnt vmcnt(1)
	v_subrev_u32_e32 v7, s20, v7
	v_lshlrev_b32_e32 v12, 2, v7
	v_ashrrev_i32_e32 v13, 31, v12
	v_lshlrev_b64 v[12:13], 1, v[12:13]
	v_add_co_u32_e32 v16, vcc, s6, v12
	v_addc_co_u32_e32 v17, vcc, v6, v13, vcc
	global_load_dwordx2 v[18:19], v[16:17], off
	global_load_dwordx4 v[12:15], v[28:29], off offset:16
	v_add_co_u32_e32 v28, vcc, s10, v28
	v_addc_co_u32_e32 v29, vcc, 0, v29, vcc
	v_add_co_u32_e32 v24, vcc, 8, v24
	s_waitcnt vmcnt(2)
	v_cvt_f32_f16_sdwa v17, v8 dst_sel:DWORD dst_unused:UNUSED_PAD src0_sel:WORD_1
	v_cvt_f32_f16_e32 v16, v8
	v_cvt_f32_f16_sdwa v35, v9 dst_sel:DWORD dst_unused:UNUSED_PAD src0_sel:WORD_1
	v_cvt_f32_f16_e32 v34, v9
	v_addc_co_u32_e32 v25, vcc, 0, v25, vcc
	v_cvt_f32_f16_sdwa v9, v10 dst_sel:DWORD dst_unused:UNUSED_PAD src0_sel:WORD_1
	v_cvt_f32_f16_e32 v8, v10
	v_cvt_f32_f16_sdwa v41, v11 dst_sel:DWORD dst_unused:UNUSED_PAD src0_sel:WORD_1
	v_cvt_f32_f16_e32 v40, v11
	v_add_co_u32_e32 v4, vcc, 32, v4
	v_addc_co_u32_e32 v5, vcc, 0, v5, vcc
	v_add_co_u32_e32 v2, vcc, -8, v2
	v_addc_co_u32_e32 v3, vcc, -1, v3, vcc
	v_cmp_eq_u64_e32 vcc, 0, v[2:3]
	s_or_b64 s[8:9], vcc, s[8:9]
	s_waitcnt vmcnt(1)
	v_cvt_f32_f16_e32 v42, v19
	s_waitcnt vmcnt(0)
	v_cvt_f32_f16_sdwa v39, v14 dst_sel:DWORD dst_unused:UNUSED_PAD src0_sel:WORD_1
	v_cvt_f32_f16_e32 v38, v14
	v_cvt_f32_f16_e32 v14, v18
	v_cvt_f32_f16_sdwa v18, v18 dst_sel:DWORD dst_unused:UNUSED_PAD src0_sel:WORD_1
	v_cvt_f32_f16_sdwa v37, v12 dst_sel:DWORD dst_unused:UNUSED_PAD src0_sel:WORD_1
	v_cvt_f32_f16_e32 v36, v12
	v_cvt_f32_f16_sdwa v11, v13 dst_sel:DWORD dst_unused:UNUSED_PAD src0_sel:WORD_1
	v_cvt_f32_f16_e32 v10, v13
	;; [unrolled: 2-line block ×3, first 2 shown]
	v_cvt_f32_f16_sdwa v44, v19 dst_sel:DWORD dst_unused:UNUSED_PAD src0_sel:WORD_1
	v_pk_fma_f32 v[16:17], v[16:17], v[14:15], v[32:33] op_sel_hi:[1,0,1]
	v_pk_fma_f32 v[14:15], v[34:35], v[14:15], v[30:31] op_sel_hi:[1,0,1]
	;; [unrolled: 1-line block ×8, first 2 shown]
	s_andn2_b64 exec, exec, s[8:9]
	s_cbranch_execnz .LBB96_29
; %bb.30:
	s_or_b64 exec, exec, s[8:9]
.LBB96_31:
	s_or_b64 exec, exec, s[0:1]
	v_cmp_lt_u64_e32 vcc, 23, v[0:1]
	s_and_saveexec_b64 s[8:9], vcc
	s_cbranch_execz .LBB96_35
; %bb.32:
	v_lshlrev_b64 v[0:1], 2, v[24:25]
	v_mov_b32_e32 v2, s13
	v_add_co_u32_e32 v0, vcc, s12, v0
	v_addc_co_u32_e32 v1, vcc, v1, v2, vcc
	v_add_co_u32_e32 v34, vcc, 64, v0
	v_addc_co_u32_e32 v35, vcc, 0, v1, vcc
	s_mov_b64 s[10:11], 0
	v_mov_b32_e32 v21, s7
.LBB96_33:                              ; =>This Inner Loop Header: Depth=1
	global_load_dwordx4 v[0:3], v[28:29], off
	global_load_dwordx4 v[4:7], v[28:29], off offset:16
	global_load_dwordx4 v[8:11], v[28:29], off offset:256
	global_load_dwordx4 v[12:15], v[28:29], off offset:272
	global_load_dwordx4 v[16:19], v[28:29], off offset:512
	global_load_dword v23, v[34:35], off offset:-64
	global_load_dword v68, v[34:35], off offset:-32
	global_load_dword v69, v[34:35], off
	global_load_dword v70, v[34:35], off offset:32
	global_load_dwordx4 v[36:39], v[28:29], off offset:528
	global_load_dwordx4 v[40:43], v[28:29], off offset:768
	global_load_dwordx4 v[44:47], v[28:29], off offset:784
	v_add_co_u32_e32 v24, vcc, 32, v24
	v_addc_co_u32_e32 v25, vcc, 0, v25, vcc
	v_add_co_u32_e32 v34, vcc, 0x80, v34
	v_addc_co_u32_e32 v35, vcc, 0, v35, vcc
	;; [unrolled: 2-line block ×3, first 2 shown]
	v_cmp_ge_i64_e64 s[0:1], v[24:25], v[26:27]
	s_or_b64 s[10:11], s[0:1], s[10:11]
	s_waitcnt vmcnt(11)
	v_cvt_f32_f16_sdwa v49, v0 dst_sel:DWORD dst_unused:UNUSED_PAD src0_sel:WORD_1
	s_waitcnt vmcnt(10)
	v_cvt_f32_f16_sdwa v53, v4 dst_sel:DWORD dst_unused:UNUSED_PAD src0_sel:WORD_1
	v_cvt_f32_f16_e32 v52, v4
	v_cvt_f32_f16_sdwa v55, v6 dst_sel:DWORD dst_unused:UNUSED_PAD src0_sel:WORD_1
	v_cvt_f32_f16_e32 v54, v6
	s_waitcnt vmcnt(6)
	v_subrev_u32_e32 v4, s20, v23
	s_waitcnt vmcnt(5)
	v_subrev_u32_e32 v6, s20, v68
	v_lshlrev_b32_e32 v68, 2, v4
	v_cvt_f32_f16_sdwa v57, v8 dst_sel:DWORD dst_unused:UNUSED_PAD src0_sel:WORD_1
	v_cvt_f32_f16_e32 v56, v8
	s_waitcnt vmcnt(4)
	v_subrev_u32_e32 v8, s20, v69
	v_ashrrev_i32_e32 v69, 31, v68
	v_cvt_f32_f16_sdwa v59, v10 dst_sel:DWORD dst_unused:UNUSED_PAD src0_sel:WORD_1
	v_cvt_f32_f16_e32 v58, v10
	s_waitcnt vmcnt(3)
	v_subrev_u32_e32 v10, s20, v70
	v_lshlrev_b32_e32 v70, 2, v6
	v_lshlrev_b64 v[68:69], 1, v[68:69]
	v_ashrrev_i32_e32 v71, 31, v70
	v_add_co_u32_e32 v68, vcc, s6, v68
	v_lshlrev_b32_e32 v72, 2, v8
	v_lshlrev_b64 v[70:71], 1, v[70:71]
	v_addc_co_u32_e32 v69, vcc, v21, v69, vcc
	v_ashrrev_i32_e32 v73, 31, v72
	v_add_co_u32_e32 v70, vcc, s6, v70
	v_lshlrev_b32_e32 v74, 2, v10
	v_lshlrev_b64 v[72:73], 1, v[72:73]
	v_addc_co_u32_e32 v71, vcc, v21, v71, vcc
	v_ashrrev_i32_e32 v75, 31, v74
	v_add_co_u32_e32 v72, vcc, s6, v72
	v_lshlrev_b64 v[74:75], 1, v[74:75]
	v_addc_co_u32_e32 v73, vcc, v21, v73, vcc
	v_add_co_u32_e32 v74, vcc, s6, v74
	v_addc_co_u32_e32 v75, vcc, v21, v75, vcc
	global_load_dwordx2 v[76:77], v[68:69], off
	global_load_dwordx2 v[78:79], v[70:71], off
	;; [unrolled: 1-line block ×4, first 2 shown]
	v_cvt_f32_f16_e32 v48, v0
	v_cvt_f32_f16_sdwa v51, v1 dst_sel:DWORD dst_unused:UNUSED_PAD src0_sel:WORD_1
	v_cvt_f32_f16_e32 v50, v1
	s_waitcnt vmcnt(4)
	v_cvt_f32_f16_sdwa v87, v46 dst_sel:DWORD dst_unused:UNUSED_PAD src0_sel:WORD_1
	v_cvt_f32_f16_e32 v86, v46
	v_cvt_f32_f16_sdwa v1, v2 dst_sel:DWORD dst_unused:UNUSED_PAD src0_sel:WORD_1
	v_cvt_f32_f16_e32 v0, v2
	;; [unrolled: 2-line block ×26, first 2 shown]
	s_waitcnt vmcnt(3)
	v_cvt_f32_f16_e32 v46, v76
	v_cvt_f32_f16_sdwa v76, v76 dst_sel:DWORD dst_unused:UNUSED_PAD src0_sel:WORD_1
	v_cvt_f32_f16_e32 v90, v77
	v_cvt_f32_f16_sdwa v92, v77 dst_sel:DWORD dst_unused:UNUSED_PAD src0_sel:WORD_1
	v_pk_fma_f32 v[32:33], v[48:49], v[46:47], v[32:33] op_sel_hi:[1,0,1]
	s_waitcnt vmcnt(2)
	v_cvt_f32_f16_e32 v48, v78
	v_pk_fma_f32 v[30:31], v[50:51], v[46:47], v[30:31] op_sel_hi:[1,0,1]
	v_cvt_f32_f16_sdwa v46, v78 dst_sel:DWORD dst_unused:UNUSED_PAD src0_sel:WORD_1
	v_pk_fma_f32 v[0:1], v[0:1], v[76:77], v[32:33] op_sel_hi:[1,0,1]
	v_pk_fma_f32 v[30:31], v[66:67], v[76:77], v[30:31] op_sel_hi:[1,0,1]
	v_cvt_f32_f16_e32 v50, v79
	v_pk_fma_f32 v[0:1], v[52:53], v[90:91], v[0:1] op_sel_hi:[1,0,1]
	v_pk_fma_f32 v[2:3], v[2:3], v[90:91], v[30:31] op_sel_hi:[1,0,1]
	v_cvt_f32_f16_sdwa v78, v79 dst_sel:DWORD dst_unused:UNUSED_PAD src0_sel:WORD_1
	v_pk_fma_f32 v[0:1], v[54:55], v[92:93], v[0:1] op_sel_hi:[1,0,1]
	v_pk_fma_f32 v[2:3], v[4:5], v[92:93], v[2:3] op_sel_hi:[1,0,1]
	s_waitcnt vmcnt(1)
	v_cvt_f32_f16_e32 v32, v80
	v_pk_fma_f32 v[0:1], v[56:57], v[48:49], v[0:1] op_sel_hi:[1,0,1]
	v_pk_fma_f32 v[2:3], v[6:7], v[48:49], v[2:3] op_sel_hi:[1,0,1]
	v_cvt_f32_f16_sdwa v66, v80 dst_sel:DWORD dst_unused:UNUSED_PAD src0_sel:WORD_1
	v_pk_fma_f32 v[0:1], v[58:59], v[46:47], v[0:1] op_sel_hi:[1,0,1]
	v_pk_fma_f32 v[2:3], v[8:9], v[46:47], v[2:3] op_sel_hi:[1,0,1]
	v_cvt_f32_f16_e32 v76, v81
	v_pk_fma_f32 v[0:1], v[60:61], v[50:51], v[0:1] op_sel_hi:[1,0,1]
	v_pk_fma_f32 v[2:3], v[10:11], v[50:51], v[2:3] op_sel_hi:[1,0,1]
	v_cvt_f32_f16_sdwa v80, v81 dst_sel:DWORD dst_unused:UNUSED_PAD src0_sel:WORD_1
	v_pk_fma_f32 v[0:1], v[62:63], v[78:79], v[0:1] op_sel_hi:[1,0,1]
	v_pk_fma_f32 v[2:3], v[12:13], v[78:79], v[2:3] op_sel_hi:[1,0,1]
	s_waitcnt vmcnt(0)
	v_cvt_f32_f16_e32 v52, v82
	v_pk_fma_f32 v[0:1], v[64:65], v[32:33], v[0:1] op_sel_hi:[1,0,1]
	v_pk_fma_f32 v[2:3], v[68:69], v[32:33], v[2:3] op_sel_hi:[1,0,1]
	v_cvt_f32_f16_sdwa v30, v82 dst_sel:DWORD dst_unused:UNUSED_PAD src0_sel:WORD_1
	v_pk_fma_f32 v[0:1], v[14:15], v[66:67], v[0:1] op_sel_hi:[1,0,1]
	v_pk_fma_f32 v[2:3], v[16:17], v[66:67], v[2:3] op_sel_hi:[1,0,1]
	v_cvt_f32_f16_e32 v82, v83
	v_pk_fma_f32 v[0:1], v[18:19], v[76:77], v[0:1] op_sel_hi:[1,0,1]
	v_pk_fma_f32 v[2:3], v[70:71], v[76:77], v[2:3] op_sel_hi:[1,0,1]
	v_cvt_f32_f16_sdwa v90, v83 dst_sel:DWORD dst_unused:UNUSED_PAD src0_sel:WORD_1
	v_pk_fma_f32 v[0:1], v[36:37], v[80:81], v[0:1] op_sel_hi:[1,0,1]
	v_pk_fma_f32 v[2:3], v[72:73], v[80:81], v[2:3] op_sel_hi:[1,0,1]
	;; [unrolled: 1-line block ×10, first 2 shown]
	s_andn2_b64 exec, exec, s[10:11]
	s_cbranch_execnz .LBB96_33
; %bb.34:
	s_or_b64 exec, exec, s[10:11]
.LBB96_35:
	s_or_b64 exec, exec, s[8:9]
.LBB96_36:
	s_or_b64 exec, exec, s[2:3]
.LBB96_37:
	v_mov_b32_dpp v0, v32 row_shr:1 row_mask:0xf bank_mask:0xf
	v_mov_b32_dpp v1, v33 row_shr:1 row_mask:0xf bank_mask:0xf
	;; [unrolled: 1-line block ×4, first 2 shown]
	v_pk_add_f32 v[0:1], v[32:33], v[0:1]
	v_pk_add_f32 v[4:5], v[30:31], v[4:5]
	v_cmp_eq_u32_e32 vcc, 7, v22
	v_mov_b32_dpp v2, v0 row_shr:2 row_mask:0xf bank_mask:0xf
	v_mov_b32_dpp v3, v1 row_shr:2 row_mask:0xf bank_mask:0xf
	;; [unrolled: 1-line block ×4, first 2 shown]
	v_pk_add_f32 v[0:1], v[0:1], v[2:3]
	v_pk_add_f32 v[4:5], v[4:5], v[6:7]
	s_nop 0
	v_mov_b32_dpp v2, v0 row_shr:4 row_mask:0xf bank_mask:0xe
	v_mov_b32_dpp v3, v1 row_shr:4 row_mask:0xf bank_mask:0xe
	;; [unrolled: 1-line block ×4, first 2 shown]
	s_and_b64 exec, exec, vcc
	s_cbranch_execz .LBB96_10
; %bb.38:
	s_load_dwordx2 s[0:1], s[4:5], 0x50
	v_cmp_eq_f32_e64 s[2:3], s18, 0
	v_pk_add_f32 v[2:3], v[0:1], v[2:3]
	v_pk_add_f32 v[0:1], v[4:5], v[6:7]
	s_and_b64 vcc, exec, s[2:3]
	v_lshlrev_b32_e32 v4, 2, v20
	s_cbranch_vccz .LBB96_40
; %bb.39:
	v_ashrrev_i32_e32 v5, 31, v4
	v_lshlrev_b64 v[6:7], 2, v[4:5]
	s_waitcnt lgkmcnt(0)
	v_mov_b32_e32 v5, s1
	v_add_co_u32_e32 v10, vcc, s0, v6
	v_addc_co_u32_e32 v11, vcc, v5, v7, vcc
	v_pk_mul_f32 v[6:7], s[16:17], v[2:3] op_sel_hi:[0,1]
	v_pk_mul_f32 v[8:9], s[16:17], v[0:1] op_sel_hi:[0,1]
	global_store_dwordx4 v[10:11], v[6:9], off
	s_cbranch_execnz .LBB96_10
	s_branch .LBB96_41
.LBB96_40:
.LBB96_41:
	v_ashrrev_i32_e32 v5, 31, v4
	v_lshlrev_b64 v[4:5], 2, v[4:5]
	s_waitcnt lgkmcnt(0)
	v_mov_b32_e32 v6, s1
	v_add_co_u32_e32 v8, vcc, s0, v4
	v_addc_co_u32_e32 v9, vcc, v6, v5, vcc
	global_load_dwordx4 v[4:7], v[8:9], off
	v_pk_mul_f32 v[2:3], s[16:17], v[2:3] op_sel_hi:[0,1]
	v_pk_mul_f32 v[10:11], s[16:17], v[0:1] op_sel_hi:[0,1]
	s_waitcnt vmcnt(0)
	v_pk_fma_f32 v[0:1], s[18:19], v[4:5], v[2:3] op_sel_hi:[0,1,1]
	v_pk_fma_f32 v[2:3], s[18:19], v[6:7], v[10:11] op_sel_hi:[0,1,1]
	global_store_dwordx4 v[8:9], v[0:3], off
	s_endpgm
	.section	.rodata,"a",@progbits
	.p2align	6, 0x0
	.amdhsa_kernel _ZN9rocsparseL18bsrxmvn_4x4_kernelILj128ELj8EfliDF16_DF16_fEEvT3_20rocsparse_direction_NS_24const_host_device_scalarIT1_EES1_PKS1_PKT2_SA_S7_PKT4_PKT5_S5_PT6_21rocsparse_index_base_b
		.amdhsa_group_segment_fixed_size 0
		.amdhsa_private_segment_fixed_size 0
		.amdhsa_kernarg_size 96
		.amdhsa_user_sgpr_count 6
		.amdhsa_user_sgpr_private_segment_buffer 1
		.amdhsa_user_sgpr_dispatch_ptr 0
		.amdhsa_user_sgpr_queue_ptr 0
		.amdhsa_user_sgpr_kernarg_segment_ptr 1
		.amdhsa_user_sgpr_dispatch_id 0
		.amdhsa_user_sgpr_flat_scratch_init 0
		.amdhsa_user_sgpr_kernarg_preload_length 0
		.amdhsa_user_sgpr_kernarg_preload_offset 0
		.amdhsa_user_sgpr_private_segment_size 0
		.amdhsa_uses_dynamic_stack 0
		.amdhsa_system_sgpr_private_segment_wavefront_offset 0
		.amdhsa_system_sgpr_workgroup_id_x 1
		.amdhsa_system_sgpr_workgroup_id_y 0
		.amdhsa_system_sgpr_workgroup_id_z 0
		.amdhsa_system_sgpr_workgroup_info 0
		.amdhsa_system_vgpr_workitem_id 0
		.amdhsa_next_free_vgpr 100
		.amdhsa_next_free_sgpr 22
		.amdhsa_accum_offset 100
		.amdhsa_reserve_vcc 1
		.amdhsa_reserve_flat_scratch 0
		.amdhsa_float_round_mode_32 0
		.amdhsa_float_round_mode_16_64 0
		.amdhsa_float_denorm_mode_32 3
		.amdhsa_float_denorm_mode_16_64 3
		.amdhsa_dx10_clamp 1
		.amdhsa_ieee_mode 1
		.amdhsa_fp16_overflow 0
		.amdhsa_tg_split 0
		.amdhsa_exception_fp_ieee_invalid_op 0
		.amdhsa_exception_fp_denorm_src 0
		.amdhsa_exception_fp_ieee_div_zero 0
		.amdhsa_exception_fp_ieee_overflow 0
		.amdhsa_exception_fp_ieee_underflow 0
		.amdhsa_exception_fp_ieee_inexact 0
		.amdhsa_exception_int_div_zero 0
	.end_amdhsa_kernel
	.section	.text._ZN9rocsparseL18bsrxmvn_4x4_kernelILj128ELj8EfliDF16_DF16_fEEvT3_20rocsparse_direction_NS_24const_host_device_scalarIT1_EES1_PKS1_PKT2_SA_S7_PKT4_PKT5_S5_PT6_21rocsparse_index_base_b,"axG",@progbits,_ZN9rocsparseL18bsrxmvn_4x4_kernelILj128ELj8EfliDF16_DF16_fEEvT3_20rocsparse_direction_NS_24const_host_device_scalarIT1_EES1_PKS1_PKT2_SA_S7_PKT4_PKT5_S5_PT6_21rocsparse_index_base_b,comdat
.Lfunc_end96:
	.size	_ZN9rocsparseL18bsrxmvn_4x4_kernelILj128ELj8EfliDF16_DF16_fEEvT3_20rocsparse_direction_NS_24const_host_device_scalarIT1_EES1_PKS1_PKT2_SA_S7_PKT4_PKT5_S5_PT6_21rocsparse_index_base_b, .Lfunc_end96-_ZN9rocsparseL18bsrxmvn_4x4_kernelILj128ELj8EfliDF16_DF16_fEEvT3_20rocsparse_direction_NS_24const_host_device_scalarIT1_EES1_PKS1_PKT2_SA_S7_PKT4_PKT5_S5_PT6_21rocsparse_index_base_b
                                        ; -- End function
	.section	.AMDGPU.csdata,"",@progbits
; Kernel info:
; codeLenInByte = 4112
; NumSgprs: 26
; NumVgprs: 100
; NumAgprs: 0
; TotalNumVgprs: 100
; ScratchSize: 0
; MemoryBound: 0
; FloatMode: 240
; IeeeMode: 1
; LDSByteSize: 0 bytes/workgroup (compile time only)
; SGPRBlocks: 3
; VGPRBlocks: 12
; NumSGPRsForWavesPerEU: 26
; NumVGPRsForWavesPerEU: 100
; AccumOffset: 100
; Occupancy: 4
; WaveLimiterHint : 1
; COMPUTE_PGM_RSRC2:SCRATCH_EN: 0
; COMPUTE_PGM_RSRC2:USER_SGPR: 6
; COMPUTE_PGM_RSRC2:TRAP_HANDLER: 0
; COMPUTE_PGM_RSRC2:TGID_X_EN: 1
; COMPUTE_PGM_RSRC2:TGID_Y_EN: 0
; COMPUTE_PGM_RSRC2:TGID_Z_EN: 0
; COMPUTE_PGM_RSRC2:TIDIG_COMP_CNT: 0
; COMPUTE_PGM_RSRC3_GFX90A:ACCUM_OFFSET: 24
; COMPUTE_PGM_RSRC3_GFX90A:TG_SPLIT: 0
	.section	.text._ZN9rocsparseL18bsrxmvn_4x4_kernelILj128ELj16EfliDF16_DF16_fEEvT3_20rocsparse_direction_NS_24const_host_device_scalarIT1_EES1_PKS1_PKT2_SA_S7_PKT4_PKT5_S5_PT6_21rocsparse_index_base_b,"axG",@progbits,_ZN9rocsparseL18bsrxmvn_4x4_kernelILj128ELj16EfliDF16_DF16_fEEvT3_20rocsparse_direction_NS_24const_host_device_scalarIT1_EES1_PKS1_PKT2_SA_S7_PKT4_PKT5_S5_PT6_21rocsparse_index_base_b,comdat
	.globl	_ZN9rocsparseL18bsrxmvn_4x4_kernelILj128ELj16EfliDF16_DF16_fEEvT3_20rocsparse_direction_NS_24const_host_device_scalarIT1_EES1_PKS1_PKT2_SA_S7_PKT4_PKT5_S5_PT6_21rocsparse_index_base_b ; -- Begin function _ZN9rocsparseL18bsrxmvn_4x4_kernelILj128ELj16EfliDF16_DF16_fEEvT3_20rocsparse_direction_NS_24const_host_device_scalarIT1_EES1_PKS1_PKT2_SA_S7_PKT4_PKT5_S5_PT6_21rocsparse_index_base_b
	.p2align	8
	.type	_ZN9rocsparseL18bsrxmvn_4x4_kernelILj128ELj16EfliDF16_DF16_fEEvT3_20rocsparse_direction_NS_24const_host_device_scalarIT1_EES1_PKS1_PKT2_SA_S7_PKT4_PKT5_S5_PT6_21rocsparse_index_base_b,@function
_ZN9rocsparseL18bsrxmvn_4x4_kernelILj128ELj16EfliDF16_DF16_fEEvT3_20rocsparse_direction_NS_24const_host_device_scalarIT1_EES1_PKS1_PKT2_SA_S7_PKT4_PKT5_S5_PT6_21rocsparse_index_base_b: ; @_ZN9rocsparseL18bsrxmvn_4x4_kernelILj128ELj16EfliDF16_DF16_fEEvT3_20rocsparse_direction_NS_24const_host_device_scalarIT1_EES1_PKS1_PKT2_SA_S7_PKT4_PKT5_S5_PT6_21rocsparse_index_base_b
; %bb.0:
	s_load_dwordx2 s[20:21], s[4:5], 0x58
	s_load_dwordx2 s[16:17], s[4:5], 0x8
	s_load_dwordx2 s[18:19], s[4:5], 0x48
	s_waitcnt lgkmcnt(0)
	s_bitcmp1_b32 s21, 0
	s_cselect_b64 s[2:3], -1, 0
	s_xor_b64 s[0:1], s[2:3], -1
	s_and_b64 vcc, exec, s[2:3]
	s_cbranch_vccnz .LBB97_2
; %bb.1:
	s_load_dword s16, s[16:17], 0x0
.LBB97_2:
	s_andn2_b64 vcc, exec, s[0:1]
	s_cbranch_vccnz .LBB97_4
; %bb.3:
	s_load_dword s18, s[18:19], 0x0
.LBB97_4:
	s_waitcnt lgkmcnt(0)
	v_cmp_neq_f32_e64 s[0:1], s16, 0
	v_cmp_neq_f32_e64 s[2:3], s18, 1.0
	s_or_b64 s[0:1], s[0:1], s[2:3]
	s_andn2_b64 vcc, exec, s[0:1]
	s_cbranch_vccnz .LBB97_10
; %bb.5:
	s_load_dwordx2 s[8:9], s[4:5], 0x18
	s_load_dwordx2 s[0:1], s[4:5], 0x0
	v_lshrrev_b32_e32 v1, 4, v0
	v_lshl_or_b32 v20, s6, 3, v1
	s_mov_b64 s[2:3], 0
	s_waitcnt lgkmcnt(0)
	s_cmp_lg_u64 s[8:9], 0
	s_cbranch_scc0 .LBB97_11
; %bb.6:
	s_load_dword s6, s[4:5], 0x10
                                        ; implicit-def: $vgpr1
	s_waitcnt lgkmcnt(0)
	v_cmp_gt_i32_e32 vcc, s6, v20
	s_and_saveexec_b64 s[6:7], vcc
	s_xor_b64 s[6:7], exec, s[6:7]
	s_cbranch_execz .LBB97_8
; %bb.7:
	v_ashrrev_i32_e32 v21, 31, v20
	v_lshlrev_b64 v[2:3], 2, v[20:21]
	v_mov_b32_e32 v1, s9
	v_add_co_u32_e32 v2, vcc, s8, v2
	v_addc_co_u32_e32 v3, vcc, v1, v3, vcc
	global_load_dword v1, v[2:3], off
	s_mov_b64 s[2:3], exec
	s_waitcnt vmcnt(0)
	v_subrev_u32_e32 v1, s20, v1
.LBB97_8:
	s_or_b64 exec, exec, s[6:7]
	s_branch .LBB97_12
.LBB97_9:
	v_cmp_gt_i32_e32 vcc, s0, v20
	s_andn2_b64 s[2:3], s[2:3], exec
	s_and_b64 s[6:7], vcc, exec
	s_or_b64 s[2:3], s[2:3], s[6:7]
	s_and_saveexec_b64 s[6:7], s[2:3]
	s_cbranch_execnz .LBB97_13
.LBB97_10:
	s_endpgm
.LBB97_11:
                                        ; implicit-def: $vgpr1
	s_cbranch_execnz .LBB97_9
.LBB97_12:
	v_mov_b32_e32 v20, v1
	s_and_saveexec_b64 s[6:7], s[2:3]
	s_cbranch_execz .LBB97_10
.LBB97_13:
	s_load_dwordx8 s[8:15], s[4:5], 0x20
	v_ashrrev_i32_e32 v21, 31, v20
	v_lshlrev_b64 v[2:3], 3, v[20:21]
	v_and_b32_e32 v22, 15, v0
	s_load_dwordx2 s[6:7], s[4:5], 0x40
	s_waitcnt lgkmcnt(0)
	v_mov_b32_e32 v1, s9
	v_add_co_u32_e32 v4, vcc, s8, v2
	v_addc_co_u32_e32 v5, vcc, v1, v3, vcc
	v_add_co_u32_e32 v1, vcc, 8, v4
	global_load_dwordx2 v[16:17], v[4:5], off
	v_addc_co_u32_e32 v4, vcc, 0, v5, vcc
	v_mov_b32_e32 v5, s11
	v_add_co_u32_e32 v2, vcc, s10, v2
	s_cmp_eq_u64 s[10:11], 0
	v_addc_co_u32_e32 v3, vcc, v5, v3, vcc
	s_cselect_b64 vcc, -1, 0
	v_cndmask_b32_e32 v3, v3, v4, vcc
	v_cndmask_b32_e32 v2, v2, v1, vcc
	global_load_dwordx2 v[2:3], v[2:3], off
	v_mov_b32_e32 v4, s15
	s_mov_b32 s17, 0
	v_mov_b32_e32 v31, 0
	s_cmp_eq_u32 s1, 1
	s_waitcnt vmcnt(1)
	v_subrev_co_u32_e32 v0, vcc, s20, v16
	v_subbrev_co_u32_e32 v1, vcc, 0, v17, vcc
	v_add_co_u32_e32 v24, vcc, v0, v22
	v_addc_co_u32_e32 v25, vcc, 0, v1, vcc
	v_lshlrev_b64 v[0:1], 5, v[24:25]
	s_waitcnt vmcnt(0)
	v_subrev_co_u32_e32 v26, vcc, s20, v2
	v_subbrev_co_u32_e32 v27, vcc, 0, v3, vcc
	v_add_co_u32_e32 v28, vcc, s14, v0
	v_addc_co_u32_e32 v29, vcc, v4, v1, vcc
	v_cmp_lt_i64_e64 s[0:1], v[24:25], v[26:27]
	s_cbranch_scc1 .LBB97_25
; %bb.14:
	v_mov_b32_e32 v30, 0
	v_mov_b32_e32 v33, 0
	;; [unrolled: 1-line block ×3, first 2 shown]
	s_and_saveexec_b64 s[8:9], s[0:1]
	s_cbranch_execz .LBB97_24
; %bb.15:
	v_or_b32_e32 v0, 16, v22
	v_mov_b32_e32 v1, s17
	v_subrev_co_u32_e32 v0, vcc, s20, v0
	v_subb_co_u32_e32 v1, vcc, 0, v1, vcc
	v_add_co_u32_e32 v0, vcc, v0, v16
	v_addc_co_u32_e32 v1, vcc, v1, v17, vcc
	v_cmp_gt_i64_e32 vcc, v[0:1], v[26:27]
	v_cndmask_b32_e32 v1, v27, v1, vcc
	v_cndmask_b32_e32 v0, v26, v0, vcc
	v_mov_b32_e32 v4, s17
	v_sub_co_u32_e32 v5, vcc, s20, v22
	v_not_b32_e32 v3, v16
	v_subbrev_co_u32_e32 v4, vcc, 0, v4, vcc
	v_not_b32_e32 v2, v17
	v_add_co_u32_e32 v3, vcc, v5, v3
	v_addc_co_u32_e32 v2, vcc, v4, v2, vcc
	v_add_co_u32_e32 v0, vcc, v3, v0
	v_addc_co_u32_e32 v1, vcc, v2, v1, vcc
	v_lshrrev_b32_e32 v2, 4, v0
	v_add_u32_e32 v2, 1, v2
	v_and_b32_e32 v2, 3, v2
	s_mov_b32 s2, s17
	s_mov_b32 s3, s17
	v_cmp_ne_u32_e32 vcc, 0, v2
	v_pk_mov_b32 v[32:33], s[2:3], s[2:3] op_sel:[0,1]
	v_pk_mov_b32 v[30:31], s[2:3], s[2:3] op_sel:[0,1]
	;; [unrolled: 1-line block ×4, first 2 shown]
	s_and_saveexec_b64 s[2:3], vcc
	s_cbranch_execz .LBB97_19
; %bb.16:
	v_lshlrev_b64 v[4:5], 2, v[24:25]
	v_mov_b32_e32 v3, 0
	v_mov_b32_e32 v6, s13
	v_add_co_u32_e32 v4, vcc, s12, v4
	v_addc_co_u32_e32 v5, vcc, v6, v5, vcc
	v_lshlrev_b32_e32 v2, 3, v2
	s_mov_b64 s[10:11], 0
	v_mov_b32_e32 v6, s7
	s_movk_i32 s14, 0x200
	v_pk_mov_b32 v[34:35], v[28:29], v[28:29] op_sel:[0,1]
	v_pk_mov_b32 v[18:19], v[24:25], v[24:25] op_sel:[0,1]
	v_mov_b32_e32 v30, v3
	v_mov_b32_e32 v31, v3
	;; [unrolled: 1-line block ×4, first 2 shown]
.LBB97_17:                              ; =>This Inner Loop Header: Depth=1
	global_load_dword v7, v[4:5], off
	global_load_dwordx4 v[8:11], v[34:35], off
	global_load_dwordx4 v[12:15], v[34:35], off offset:16
	s_waitcnt vmcnt(2)
	v_subrev_u32_e32 v7, s20, v7
	v_lshlrev_b32_e32 v36, 2, v7
	v_ashrrev_i32_e32 v37, 31, v36
	v_lshlrev_b64 v[36:37], 1, v[36:37]
	v_add_co_u32_e32 v36, vcc, s6, v36
	v_addc_co_u32_e32 v37, vcc, v6, v37, vcc
	global_load_dwordx2 v[36:37], v[36:37], off
	v_add_co_u32_e32 v34, vcc, s14, v34
	v_addc_co_u32_e32 v35, vcc, 0, v35, vcc
	v_add_co_u32_e32 v18, vcc, 16, v18
	s_waitcnt vmcnt(2)
	v_cvt_f32_f16_sdwa v38, v8 dst_sel:DWORD dst_unused:UNUSED_PAD src0_sel:WORD_1
	v_cvt_f32_f16_e32 v41, v10
	v_cvt_f32_f16_e32 v40, v8
	s_waitcnt vmcnt(1)
	v_cvt_f32_f16_sdwa v8, v12 dst_sel:DWORD dst_unused:UNUSED_PAD src0_sel:WORD_1
	v_cvt_f32_f16_e32 v45, v14
	v_cvt_f32_f16_e32 v44, v12
	v_addc_co_u32_e32 v19, vcc, 0, v19, vcc
	v_cvt_f32_f16_sdwa v39, v10 dst_sel:DWORD dst_unused:UNUSED_PAD src0_sel:WORD_1
	v_cvt_f32_f16_e32 v42, v9
	v_cvt_f32_f16_sdwa v10, v9 dst_sel:DWORD dst_unused:UNUSED_PAD src0_sel:WORD_1
	v_cvt_f32_f16_sdwa v9, v14 dst_sel:DWORD dst_unused:UNUSED_PAD src0_sel:WORD_1
	v_add_co_u32_e32 v4, vcc, 64, v4
	v_cvt_f32_f16_e32 v43, v11
	v_cvt_f32_f16_e32 v47, v15
	;; [unrolled: 1-line block ×3, first 2 shown]
	v_addc_co_u32_e32 v5, vcc, 0, v5, vcc
	v_cvt_f32_f16_sdwa v11, v11 dst_sel:DWORD dst_unused:UNUSED_PAD src0_sel:WORD_1
	v_cvt_f32_f16_sdwa v15, v15 dst_sel:DWORD dst_unused:UNUSED_PAD src0_sel:WORD_1
	;; [unrolled: 1-line block ×3, first 2 shown]
	v_add_co_u32_e32 v2, vcc, -8, v2
	v_addc_co_u32_e32 v3, vcc, -1, v3, vcc
	v_cmp_eq_u64_e32 vcc, 0, v[2:3]
	s_or_b64 s[10:11], vcc, s[10:11]
	s_waitcnt vmcnt(0)
	v_cvt_f32_f16_e32 v12, v36
	v_cvt_f32_f16_sdwa v36, v36 dst_sel:DWORD dst_unused:UNUSED_PAD src0_sel:WORD_1
	v_cvt_f32_f16_e32 v48, v37
	v_cvt_f32_f16_sdwa v50, v37 dst_sel:DWORD dst_unused:UNUSED_PAD src0_sel:WORD_1
	v_pk_fma_f32 v[32:33], v[40:41], v[12:13], v[32:33] op_sel_hi:[1,0,1]
	v_pk_fma_f32 v[12:13], v[44:45], v[12:13], v[30:31] op_sel_hi:[1,0,1]
	;; [unrolled: 1-line block ×8, first 2 shown]
	s_andn2_b64 exec, exec, s[10:11]
	s_cbranch_execnz .LBB97_17
; %bb.18:
	s_or_b64 exec, exec, s[10:11]
.LBB97_19:
	s_or_b64 exec, exec, s[2:3]
	v_cmp_lt_u64_e32 vcc, 47, v[0:1]
	s_and_saveexec_b64 s[10:11], vcc
	s_cbranch_execz .LBB97_23
; %bb.20:
	v_lshlrev_b64 v[0:1], 2, v[18:19]
	v_mov_b32_e32 v2, s13
	v_add_co_u32_e32 v0, vcc, s12, v0
	v_addc_co_u32_e32 v1, vcc, v1, v2, vcc
	v_add_co_u32_e32 v36, vcc, 0x80, v0
	v_addc_co_u32_e32 v37, vcc, 0, v1, vcc
	s_mov_b64 s[14:15], 0
	v_mov_b32_e32 v21, s7
	s_movk_i32 s19, 0x800
.LBB97_21:                              ; =>This Inner Loop Header: Depth=1
	global_load_dword v23, v[36:37], off offset:-128
	global_load_dwordx4 v[8:11], v[34:35], off
	global_load_dwordx4 v[0:3], v[34:35], off offset:16
	global_load_dword v62, v[36:37], off offset:-64
	global_load_dword v63, v[36:37], off
	global_load_dwordx4 v[12:15], v[34:35], off offset:512
	global_load_dwordx4 v[4:7], v[34:35], off offset:1024
	global_load_dword v70, v[36:37], off offset:64
	global_load_dwordx4 v[38:41], v[34:35], off offset:528
	global_load_dwordx4 v[42:45], v[34:35], off offset:1040
	;; [unrolled: 1-line block ×4, first 2 shown]
	v_add_co_u32_e32 v34, vcc, s19, v34
	v_addc_co_u32_e32 v35, vcc, 0, v35, vcc
	v_add_co_u32_e32 v36, vcc, 0x100, v36
	v_addc_co_u32_e32 v37, vcc, 0, v37, vcc
	v_add_co_u32_e64 v18, s[2:3], 64, v18
	v_addc_co_u32_e64 v19, s[2:3], 0, v19, s[2:3]
	v_cmp_ge_i64_e64 s[2:3], v[18:19], v[26:27]
	s_or_b64 s[14:15], s[2:3], s[14:15]
	s_waitcnt vmcnt(11)
	v_subrev_u32_e32 v23, s20, v23
	v_lshlrev_b32_e32 v72, 2, v23
	s_waitcnt vmcnt(9)
	v_cvt_f32_f16_sdwa v58, v0 dst_sel:DWORD dst_unused:UNUSED_PAD src0_sel:WORD_1
	v_cvt_f32_f16_e32 v60, v0
	s_waitcnt vmcnt(8)
	v_subrev_u32_e32 v0, s20, v62
	v_ashrrev_i32_e32 v73, 31, v72
	v_lshlrev_b32_e32 v74, 2, v0
	v_lshlrev_b64 v[72:73], 1, v[72:73]
	v_cvt_f32_f16_e32 v61, v2
	v_cvt_f32_f16_sdwa v59, v2 dst_sel:DWORD dst_unused:UNUSED_PAD src0_sel:WORD_1
	s_waitcnt vmcnt(7)
	v_subrev_u32_e32 v2, s20, v63
	v_ashrrev_i32_e32 v75, 31, v74
	v_add_co_u32_e32 v72, vcc, s6, v72
	v_lshlrev_b32_e32 v76, 2, v2
	v_lshlrev_b64 v[74:75], 1, v[74:75]
	v_addc_co_u32_e32 v73, vcc, v21, v73, vcc
	v_cvt_f32_f16_sdwa v54, v8 dst_sel:DWORD dst_unused:UNUSED_PAD src0_sel:WORD_1
	v_cvt_f32_f16_e32 v56, v8
	s_waitcnt vmcnt(6)
	v_cvt_f32_f16_e32 v8, v12
	v_cvt_f32_f16_sdwa v64, v12 dst_sel:DWORD dst_unused:UNUSED_PAD src0_sel:WORD_1
	s_waitcnt vmcnt(5)
	v_cvt_f32_f16_e32 v12, v4
	v_cvt_f32_f16_sdwa v68, v4 dst_sel:DWORD dst_unused:UNUSED_PAD src0_sel:WORD_1
	s_waitcnt vmcnt(4)
	v_subrev_u32_e32 v4, s20, v70
	v_ashrrev_i32_e32 v77, 31, v76
	v_add_co_u32_e32 v74, vcc, s6, v74
	v_lshlrev_b32_e32 v78, 2, v4
	v_lshlrev_b64 v[76:77], 1, v[76:77]
	v_addc_co_u32_e32 v75, vcc, v21, v75, vcc
	v_ashrrev_i32_e32 v79, 31, v78
	v_add_co_u32_e32 v76, vcc, s6, v76
	v_lshlrev_b64 v[78:79], 1, v[78:79]
	v_addc_co_u32_e32 v77, vcc, v21, v77, vcc
	v_add_co_u32_e32 v78, vcc, s6, v78
	v_addc_co_u32_e32 v79, vcc, v21, v79, vcc
	global_load_dwordx2 v[80:81], v[72:73], off
	global_load_dwordx2 v[82:83], v[74:75], off
	;; [unrolled: 1-line block ×4, first 2 shown]
	v_cvt_f32_f16_e32 v57, v10
	s_waitcnt vmcnt(7)
	v_cvt_f32_f16_e32 v0, v38
	v_cvt_f32_f16_sdwa v72, v38 dst_sel:DWORD dst_unused:UNUSED_PAD src0_sel:WORD_1
	s_waitcnt vmcnt(6)
	v_cvt_f32_f16_e32 v38, v42
	v_cvt_f32_f16_sdwa v76, v42 dst_sel:DWORD dst_unused:UNUSED_PAD src0_sel:WORD_1
	;; [unrolled: 3-line block ×4, first 2 shown]
	v_cvt_f32_f16_sdwa v55, v10 dst_sel:DWORD dst_unused:UNUSED_PAD src0_sel:WORD_1
	v_cvt_f32_f16_e32 v63, v11
	v_cvt_f32_f16_e32 v62, v9
	v_cvt_f32_f16_sdwa v10, v9 dst_sel:DWORD dst_unused:UNUSED_PAD src0_sel:WORD_1
	v_cvt_f32_f16_e32 v9, v14
	v_cvt_f32_f16_sdwa v65, v14 dst_sel:DWORD dst_unused:UNUSED_PAD src0_sel:WORD_1
	;; [unrolled: 2-line block ×5, first 2 shown]
	v_cvt_f32_f16_e32 v5, v3
	v_cvt_f32_f16_e32 v4, v1
	v_cvt_f32_f16_sdwa v11, v11 dst_sel:DWORD dst_unused:UNUSED_PAD src0_sel:WORD_1
	v_cvt_f32_f16_sdwa v3, v3 dst_sel:DWORD dst_unused:UNUSED_PAD src0_sel:WORD_1
	v_cvt_f32_f16_sdwa v2, v1 dst_sel:DWORD dst_unused:UNUSED_PAD src0_sel:WORD_1
	v_cvt_f32_f16_e32 v1, v40
	v_cvt_f32_f16_sdwa v73, v40 dst_sel:DWORD dst_unused:UNUSED_PAD src0_sel:WORD_1
	v_cvt_f32_f16_e32 v67, v15
	v_cvt_f32_f16_e32 v75, v41
	v_cvt_f32_f16_e32 v74, v39
	v_cvt_f32_f16_sdwa v15, v15 dst_sel:DWORD dst_unused:UNUSED_PAD src0_sel:WORD_1
	v_cvt_f32_f16_sdwa v41, v41 dst_sel:DWORD dst_unused:UNUSED_PAD src0_sel:WORD_1
	v_cvt_f32_f16_sdwa v40, v39 dst_sel:DWORD dst_unused:UNUSED_PAD src0_sel:WORD_1
	v_cvt_f32_f16_e32 v39, v44
	v_cvt_f32_f16_sdwa v77, v44 dst_sel:DWORD dst_unused:UNUSED_PAD src0_sel:WORD_1
	v_cvt_f32_f16_e32 v71, v7
	;; [unrolled: 8-line block ×3, first 2 shown]
	v_cvt_f32_f16_sdwa v48, v47 dst_sel:DWORD dst_unused:UNUSED_PAD src0_sel:WORD_1
	v_cvt_f32_f16_e32 v47, v52
	v_cvt_f32_f16_sdwa v93, v52 dst_sel:DWORD dst_unused:UNUSED_PAD src0_sel:WORD_1
	v_cvt_f32_f16_e32 v91, v49
	v_cvt_f32_f16_e32 v95, v53
	;; [unrolled: 1-line block ×3, first 2 shown]
	v_cvt_f32_f16_sdwa v49, v49 dst_sel:DWORD dst_unused:UNUSED_PAD src0_sel:WORD_1
	v_cvt_f32_f16_sdwa v53, v53 dst_sel:DWORD dst_unused:UNUSED_PAD src0_sel:WORD_1
	;; [unrolled: 1-line block ×3, first 2 shown]
	s_waitcnt vmcnt(3)
	v_cvt_f32_f16_e32 v50, v80
	v_cvt_f32_f16_sdwa v80, v80 dst_sel:DWORD dst_unused:UNUSED_PAD src0_sel:WORD_1
	v_cvt_f32_f16_e32 v96, v81
	v_cvt_f32_f16_sdwa v98, v81 dst_sel:DWORD dst_unused:UNUSED_PAD src0_sel:WORD_1
	v_pk_fma_f32 v[32:33], v[56:57], v[50:51], v[32:33] op_sel_hi:[1,0,1]
	s_waitcnt vmcnt(2)
	v_cvt_f32_f16_e32 v56, v82
	v_pk_fma_f32 v[30:31], v[60:61], v[50:51], v[30:31] op_sel_hi:[1,0,1]
	v_cvt_f32_f16_sdwa v50, v82 dst_sel:DWORD dst_unused:UNUSED_PAD src0_sel:WORD_1
	v_pk_fma_f32 v[32:33], v[54:55], v[80:81], v[32:33] op_sel_hi:[1,0,1]
	v_pk_fma_f32 v[30:31], v[58:59], v[80:81], v[30:31] op_sel_hi:[1,0,1]
	v_cvt_f32_f16_e32 v60, v83
	v_pk_fma_f32 v[32:33], v[62:63], v[96:97], v[32:33] op_sel_hi:[1,0,1]
	v_pk_fma_f32 v[4:5], v[4:5], v[96:97], v[30:31] op_sel_hi:[1,0,1]
	v_cvt_f32_f16_sdwa v82, v83 dst_sel:DWORD dst_unused:UNUSED_PAD src0_sel:WORD_1
	v_pk_fma_f32 v[10:11], v[10:11], v[98:99], v[32:33] op_sel_hi:[1,0,1]
	v_pk_fma_f32 v[2:3], v[2:3], v[98:99], v[4:5] op_sel_hi:[1,0,1]
	s_waitcnt vmcnt(1)
	v_cvt_f32_f16_e32 v54, v84
	v_pk_fma_f32 v[4:5], v[8:9], v[56:57], v[10:11] op_sel_hi:[1,0,1]
	v_pk_fma_f32 v[0:1], v[0:1], v[56:57], v[2:3] op_sel_hi:[1,0,1]
	v_cvt_f32_f16_sdwa v58, v84 dst_sel:DWORD dst_unused:UNUSED_PAD src0_sel:WORD_1
	v_pk_fma_f32 v[2:3], v[64:65], v[50:51], v[4:5] op_sel_hi:[1,0,1]
	v_pk_fma_f32 v[0:1], v[72:73], v[50:51], v[0:1] op_sel_hi:[1,0,1]
	v_cvt_f32_f16_e32 v80, v85
	v_pk_fma_f32 v[2:3], v[66:67], v[60:61], v[2:3] op_sel_hi:[1,0,1]
	v_pk_fma_f32 v[0:1], v[74:75], v[60:61], v[0:1] op_sel_hi:[1,0,1]
	v_cvt_f32_f16_sdwa v84, v85 dst_sel:DWORD dst_unused:UNUSED_PAD src0_sel:WORD_1
	v_pk_fma_f32 v[2:3], v[14:15], v[82:83], v[2:3] op_sel_hi:[1,0,1]
	v_pk_fma_f32 v[0:1], v[40:41], v[82:83], v[0:1] op_sel_hi:[1,0,1]
	s_waitcnt vmcnt(0)
	v_cvt_f32_f16_e32 v62, v86
	v_pk_fma_f32 v[2:3], v[12:13], v[54:55], v[2:3] op_sel_hi:[1,0,1]
	v_pk_fma_f32 v[0:1], v[38:39], v[54:55], v[0:1] op_sel_hi:[1,0,1]
	v_cvt_f32_f16_sdwa v30, v86 dst_sel:DWORD dst_unused:UNUSED_PAD src0_sel:WORD_1
	v_pk_fma_f32 v[2:3], v[68:69], v[58:59], v[2:3] op_sel_hi:[1,0,1]
	v_pk_fma_f32 v[0:1], v[76:77], v[58:59], v[0:1] op_sel_hi:[1,0,1]
	v_cvt_f32_f16_e32 v86, v87
	v_pk_fma_f32 v[2:3], v[70:71], v[80:81], v[2:3] op_sel_hi:[1,0,1]
	v_pk_fma_f32 v[0:1], v[78:79], v[80:81], v[0:1] op_sel_hi:[1,0,1]
	v_cvt_f32_f16_sdwa v96, v87 dst_sel:DWORD dst_unused:UNUSED_PAD src0_sel:WORD_1
	v_pk_fma_f32 v[2:3], v[6:7], v[84:85], v[2:3] op_sel_hi:[1,0,1]
	v_pk_fma_f32 v[0:1], v[44:45], v[84:85], v[0:1] op_sel_hi:[1,0,1]
	;; [unrolled: 1-line block ×10, first 2 shown]
	s_andn2_b64 exec, exec, s[14:15]
	s_cbranch_execnz .LBB97_21
; %bb.22:
	s_or_b64 exec, exec, s[14:15]
.LBB97_23:
	s_or_b64 exec, exec, s[10:11]
.LBB97_24:
	s_or_b64 exec, exec, s[8:9]
	s_cbranch_execz .LBB97_26
	s_branch .LBB97_37
.LBB97_25:
                                        ; implicit-def: $vgpr31
                                        ; implicit-def: $vgpr33
.LBB97_26:
	s_mov_b32 s8, 0
	v_mov_b32_e32 v31, 0
	v_mov_b32_e32 v30, 0
	;; [unrolled: 1-line block ×4, first 2 shown]
	s_and_saveexec_b64 s[2:3], s[0:1]
	s_cbranch_execz .LBB97_36
; %bb.27:
	v_or_b32_e32 v0, 16, v22
	v_mov_b32_e32 v1, s17
	v_subrev_co_u32_e32 v0, vcc, s20, v0
	v_subb_co_u32_e32 v1, vcc, 0, v1, vcc
	v_add_co_u32_e32 v0, vcc, v0, v16
	v_addc_co_u32_e32 v1, vcc, v1, v17, vcc
	v_cmp_gt_i64_e32 vcc, v[0:1], v[26:27]
	v_cndmask_b32_e32 v1, v27, v1, vcc
	v_cndmask_b32_e32 v0, v26, v0, vcc
	v_mov_b32_e32 v4, s17
	v_sub_co_u32_e32 v5, vcc, s20, v22
	v_not_b32_e32 v3, v16
	v_subbrev_co_u32_e32 v4, vcc, 0, v4, vcc
	v_not_b32_e32 v2, v17
	v_add_co_u32_e32 v3, vcc, v5, v3
	v_addc_co_u32_e32 v2, vcc, v4, v2, vcc
	v_add_co_u32_e32 v0, vcc, v3, v0
	v_addc_co_u32_e32 v1, vcc, v2, v1, vcc
	v_lshrrev_b32_e32 v2, 4, v0
	v_add_u32_e32 v2, 1, v2
	v_and_b32_e32 v2, 3, v2
	s_mov_b32 s9, s8
	v_cmp_ne_u32_e32 vcc, 0, v2
	v_pk_mov_b32 v[32:33], s[8:9], s[8:9] op_sel:[0,1]
	v_pk_mov_b32 v[30:31], s[8:9], s[8:9] op_sel:[0,1]
	s_and_saveexec_b64 s[0:1], vcc
	s_cbranch_execz .LBB97_31
; %bb.28:
	v_lshlrev_b64 v[4:5], 2, v[24:25]
	v_mov_b32_e32 v3, 0
	v_mov_b32_e32 v6, s13
	v_add_co_u32_e32 v4, vcc, s12, v4
	v_addc_co_u32_e32 v5, vcc, v6, v5, vcc
	v_lshlrev_b32_e32 v2, 3, v2
	s_mov_b64 s[8:9], 0
	v_mov_b32_e32 v6, s7
	s_movk_i32 s10, 0x200
	v_mov_b32_e32 v30, v3
	v_mov_b32_e32 v31, v3
	v_mov_b32_e32 v32, v3
	v_mov_b32_e32 v33, v3
.LBB97_29:                              ; =>This Inner Loop Header: Depth=1
	global_load_dword v7, v[4:5], off
	global_load_dwordx4 v[8:11], v[28:29], off
	s_waitcnt vmcnt(1)
	v_subrev_u32_e32 v7, s20, v7
	v_lshlrev_b32_e32 v12, 2, v7
	v_ashrrev_i32_e32 v13, 31, v12
	v_lshlrev_b64 v[12:13], 1, v[12:13]
	v_add_co_u32_e32 v16, vcc, s6, v12
	v_addc_co_u32_e32 v17, vcc, v6, v13, vcc
	global_load_dwordx2 v[18:19], v[16:17], off
	global_load_dwordx4 v[12:15], v[28:29], off offset:16
	v_add_co_u32_e32 v28, vcc, s10, v28
	v_addc_co_u32_e32 v29, vcc, 0, v29, vcc
	v_add_co_u32_e32 v24, vcc, 16, v24
	s_waitcnt vmcnt(2)
	v_cvt_f32_f16_sdwa v17, v8 dst_sel:DWORD dst_unused:UNUSED_PAD src0_sel:WORD_1
	v_cvt_f32_f16_e32 v16, v8
	v_cvt_f32_f16_sdwa v35, v9 dst_sel:DWORD dst_unused:UNUSED_PAD src0_sel:WORD_1
	v_cvt_f32_f16_e32 v34, v9
	v_addc_co_u32_e32 v25, vcc, 0, v25, vcc
	v_cvt_f32_f16_sdwa v9, v10 dst_sel:DWORD dst_unused:UNUSED_PAD src0_sel:WORD_1
	v_cvt_f32_f16_e32 v8, v10
	v_cvt_f32_f16_sdwa v37, v11 dst_sel:DWORD dst_unused:UNUSED_PAD src0_sel:WORD_1
	v_cvt_f32_f16_e32 v36, v11
	v_add_co_u32_e32 v4, vcc, 64, v4
	v_addc_co_u32_e32 v5, vcc, 0, v5, vcc
	v_add_co_u32_e32 v2, vcc, -8, v2
	v_addc_co_u32_e32 v3, vcc, -1, v3, vcc
	v_cmp_eq_u64_e32 vcc, 0, v[2:3]
	s_or_b64 s[8:9], vcc, s[8:9]
	s_waitcnt vmcnt(1)
	v_cvt_f32_f16_e32 v42, v19
	s_waitcnt vmcnt(0)
	v_cvt_f32_f16_sdwa v39, v14 dst_sel:DWORD dst_unused:UNUSED_PAD src0_sel:WORD_1
	v_cvt_f32_f16_e32 v38, v14
	v_cvt_f32_f16_e32 v14, v18
	v_cvt_f32_f16_sdwa v18, v18 dst_sel:DWORD dst_unused:UNUSED_PAD src0_sel:WORD_1
	v_cvt_f32_f16_sdwa v11, v12 dst_sel:DWORD dst_unused:UNUSED_PAD src0_sel:WORD_1
	v_cvt_f32_f16_e32 v10, v12
	v_cvt_f32_f16_sdwa v41, v13 dst_sel:DWORD dst_unused:UNUSED_PAD src0_sel:WORD_1
	v_cvt_f32_f16_e32 v40, v13
	;; [unrolled: 2-line block ×3, first 2 shown]
	v_cvt_f32_f16_sdwa v44, v19 dst_sel:DWORD dst_unused:UNUSED_PAD src0_sel:WORD_1
	v_pk_fma_f32 v[16:17], v[16:17], v[14:15], v[32:33] op_sel_hi:[1,0,1]
	v_pk_fma_f32 v[14:15], v[34:35], v[14:15], v[30:31] op_sel_hi:[1,0,1]
	;; [unrolled: 1-line block ×8, first 2 shown]
	s_andn2_b64 exec, exec, s[8:9]
	s_cbranch_execnz .LBB97_29
; %bb.30:
	s_or_b64 exec, exec, s[8:9]
.LBB97_31:
	s_or_b64 exec, exec, s[0:1]
	v_cmp_lt_u64_e32 vcc, 47, v[0:1]
	s_and_saveexec_b64 s[8:9], vcc
	s_cbranch_execz .LBB97_35
; %bb.32:
	v_lshlrev_b64 v[0:1], 2, v[24:25]
	v_mov_b32_e32 v2, s13
	v_add_co_u32_e32 v0, vcc, s12, v0
	v_addc_co_u32_e32 v1, vcc, v1, v2, vcc
	v_add_co_u32_e32 v34, vcc, 0x80, v0
	v_addc_co_u32_e32 v35, vcc, 0, v1, vcc
	s_mov_b64 s[10:11], 0
	v_mov_b32_e32 v21, s7
	s_movk_i32 s7, 0x800
.LBB97_33:                              ; =>This Inner Loop Header: Depth=1
	global_load_dwordx4 v[4:7], v[28:29], off
	global_load_dwordx4 v[0:3], v[28:29], off offset:16
	global_load_dwordx4 v[8:11], v[28:29], off offset:512
	;; [unrolled: 1-line block ×4, first 2 shown]
	global_load_dword v23, v[34:35], off offset:-128
	global_load_dword v68, v[34:35], off offset:-64
	global_load_dword v69, v[34:35], off
	global_load_dword v70, v[34:35], off offset:64
	global_load_dwordx4 v[36:39], v[28:29], off offset:1040
	global_load_dwordx4 v[40:43], v[28:29], off offset:1536
	;; [unrolled: 1-line block ×3, first 2 shown]
	v_add_co_u32_e32 v28, vcc, s7, v28
	v_addc_co_u32_e32 v29, vcc, 0, v29, vcc
	v_add_co_u32_e32 v34, vcc, 0x100, v34
	v_addc_co_u32_e32 v35, vcc, 0, v35, vcc
	v_add_co_u32_e64 v24, s[0:1], 64, v24
	v_addc_co_u32_e64 v25, s[0:1], 0, v25, s[0:1]
	v_cmp_ge_i64_e64 s[0:1], v[24:25], v[26:27]
	s_or_b64 s[10:11], s[0:1], s[10:11]
	s_waitcnt vmcnt(11)
	v_cvt_f32_f16_sdwa v49, v4 dst_sel:DWORD dst_unused:UNUSED_PAD src0_sel:WORD_1
	v_cvt_f32_f16_e32 v48, v4
	v_cvt_f32_f16_sdwa v51, v5 dst_sel:DWORD dst_unused:UNUSED_PAD src0_sel:WORD_1
	v_cvt_f32_f16_e32 v50, v5
	;; [unrolled: 2-line block ×4, first 2 shown]
	s_waitcnt vmcnt(10)
	v_cvt_f32_f16_sdwa v7, v0 dst_sel:DWORD dst_unused:UNUSED_PAD src0_sel:WORD_1
	v_cvt_f32_f16_e32 v6, v0
	s_waitcnt vmcnt(6)
	v_subrev_u32_e32 v0, s20, v23
	v_cvt_f32_f16_sdwa v55, v2 dst_sel:DWORD dst_unused:UNUSED_PAD src0_sel:WORD_1
	v_cvt_f32_f16_e32 v54, v2
	s_waitcnt vmcnt(5)
	v_subrev_u32_e32 v2, s20, v68
	v_lshlrev_b32_e32 v68, 2, v0
	v_cvt_f32_f16_sdwa v57, v8 dst_sel:DWORD dst_unused:UNUSED_PAD src0_sel:WORD_1
	v_cvt_f32_f16_e32 v56, v8
	s_waitcnt vmcnt(4)
	v_subrev_u32_e32 v8, s20, v69
	v_ashrrev_i32_e32 v69, 31, v68
	v_cvt_f32_f16_sdwa v59, v10 dst_sel:DWORD dst_unused:UNUSED_PAD src0_sel:WORD_1
	v_cvt_f32_f16_e32 v58, v10
	s_waitcnt vmcnt(3)
	v_subrev_u32_e32 v10, s20, v70
	v_lshlrev_b32_e32 v70, 2, v2
	v_lshlrev_b64 v[68:69], 1, v[68:69]
	v_ashrrev_i32_e32 v71, 31, v70
	v_add_co_u32_e32 v68, vcc, s6, v68
	v_lshlrev_b32_e32 v72, 2, v8
	v_lshlrev_b64 v[70:71], 1, v[70:71]
	v_addc_co_u32_e32 v69, vcc, v21, v69, vcc
	v_ashrrev_i32_e32 v73, 31, v72
	v_add_co_u32_e32 v70, vcc, s6, v70
	v_lshlrev_b32_e32 v74, 2, v10
	v_lshlrev_b64 v[72:73], 1, v[72:73]
	v_addc_co_u32_e32 v71, vcc, v21, v71, vcc
	v_ashrrev_i32_e32 v75, 31, v74
	v_add_co_u32_e32 v72, vcc, s6, v72
	v_lshlrev_b64 v[74:75], 1, v[74:75]
	v_addc_co_u32_e32 v73, vcc, v21, v73, vcc
	v_add_co_u32_e32 v74, vcc, s6, v74
	v_addc_co_u32_e32 v75, vcc, v21, v75, vcc
	global_load_dwordx2 v[76:77], v[68:69], off
	global_load_dwordx2 v[78:79], v[70:71], off
	;; [unrolled: 1-line block ×4, first 2 shown]
	s_waitcnt vmcnt(4)
	v_cvt_f32_f16_sdwa v87, v46 dst_sel:DWORD dst_unused:UNUSED_PAD src0_sel:WORD_1
	v_cvt_f32_f16_e32 v86, v46
	v_cvt_f32_f16_sdwa v67, v1 dst_sel:DWORD dst_unused:UNUSED_PAD src0_sel:WORD_1
	v_cvt_f32_f16_e32 v66, v1
	;; [unrolled: 2-line block ×24, first 2 shown]
	s_waitcnt vmcnt(3)
	v_cvt_f32_f16_e32 v46, v76
	v_cvt_f32_f16_sdwa v76, v76 dst_sel:DWORD dst_unused:UNUSED_PAD src0_sel:WORD_1
	v_cvt_f32_f16_e32 v90, v77
	v_cvt_f32_f16_sdwa v92, v77 dst_sel:DWORD dst_unused:UNUSED_PAD src0_sel:WORD_1
	v_pk_fma_f32 v[32:33], v[48:49], v[46:47], v[32:33] op_sel_hi:[1,0,1]
	s_waitcnt vmcnt(2)
	v_cvt_f32_f16_e32 v48, v78
	v_pk_fma_f32 v[30:31], v[50:51], v[46:47], v[30:31] op_sel_hi:[1,0,1]
	v_cvt_f32_f16_sdwa v46, v78 dst_sel:DWORD dst_unused:UNUSED_PAD src0_sel:WORD_1
	v_pk_fma_f32 v[4:5], v[4:5], v[76:77], v[32:33] op_sel_hi:[1,0,1]
	v_pk_fma_f32 v[30:31], v[52:53], v[76:77], v[30:31] op_sel_hi:[1,0,1]
	v_cvt_f32_f16_e32 v50, v79
	v_pk_fma_f32 v[4:5], v[6:7], v[90:91], v[4:5] op_sel_hi:[1,0,1]
	v_pk_fma_f32 v[30:31], v[66:67], v[90:91], v[30:31] op_sel_hi:[1,0,1]
	v_cvt_f32_f16_sdwa v78, v79 dst_sel:DWORD dst_unused:UNUSED_PAD src0_sel:WORD_1
	v_pk_fma_f32 v[4:5], v[54:55], v[92:93], v[4:5] op_sel_hi:[1,0,1]
	v_pk_fma_f32 v[0:1], v[0:1], v[92:93], v[30:31] op_sel_hi:[1,0,1]
	s_waitcnt vmcnt(1)
	v_cvt_f32_f16_e32 v32, v80
	v_pk_fma_f32 v[4:5], v[56:57], v[48:49], v[4:5] op_sel_hi:[1,0,1]
	v_pk_fma_f32 v[0:1], v[2:3], v[48:49], v[0:1] op_sel_hi:[1,0,1]
	v_cvt_f32_f16_sdwa v52, v80 dst_sel:DWORD dst_unused:UNUSED_PAD src0_sel:WORD_1
	v_pk_fma_f32 v[2:3], v[58:59], v[46:47], v[4:5] op_sel_hi:[1,0,1]
	v_pk_fma_f32 v[0:1], v[8:9], v[46:47], v[0:1] op_sel_hi:[1,0,1]
	v_cvt_f32_f16_e32 v76, v81
	v_pk_fma_f32 v[2:3], v[60:61], v[50:51], v[2:3] op_sel_hi:[1,0,1]
	v_pk_fma_f32 v[0:1], v[10:11], v[50:51], v[0:1] op_sel_hi:[1,0,1]
	v_cvt_f32_f16_sdwa v80, v81 dst_sel:DWORD dst_unused:UNUSED_PAD src0_sel:WORD_1
	v_pk_fma_f32 v[2:3], v[62:63], v[78:79], v[2:3] op_sel_hi:[1,0,1]
	v_pk_fma_f32 v[0:1], v[12:13], v[78:79], v[0:1] op_sel_hi:[1,0,1]
	s_waitcnt vmcnt(0)
	v_cvt_f32_f16_e32 v6, v82
	v_pk_fma_f32 v[2:3], v[64:65], v[32:33], v[2:3] op_sel_hi:[1,0,1]
	v_pk_fma_f32 v[0:1], v[68:69], v[32:33], v[0:1] op_sel_hi:[1,0,1]
	v_cvt_f32_f16_sdwa v66, v82 dst_sel:DWORD dst_unused:UNUSED_PAD src0_sel:WORD_1
	v_pk_fma_f32 v[2:3], v[14:15], v[52:53], v[2:3] op_sel_hi:[1,0,1]
	v_pk_fma_f32 v[0:1], v[16:17], v[52:53], v[0:1] op_sel_hi:[1,0,1]
	v_cvt_f32_f16_e32 v82, v83
	v_pk_fma_f32 v[2:3], v[18:19], v[76:77], v[2:3] op_sel_hi:[1,0,1]
	v_pk_fma_f32 v[0:1], v[72:73], v[76:77], v[0:1] op_sel_hi:[1,0,1]
	v_cvt_f32_f16_sdwa v90, v83 dst_sel:DWORD dst_unused:UNUSED_PAD src0_sel:WORD_1
	v_pk_fma_f32 v[2:3], v[70:71], v[80:81], v[2:3] op_sel_hi:[1,0,1]
	v_pk_fma_f32 v[0:1], v[36:37], v[80:81], v[0:1] op_sel_hi:[1,0,1]
	;; [unrolled: 1-line block ×10, first 2 shown]
	s_andn2_b64 exec, exec, s[10:11]
	s_cbranch_execnz .LBB97_33
; %bb.34:
	s_or_b64 exec, exec, s[10:11]
.LBB97_35:
	s_or_b64 exec, exec, s[8:9]
.LBB97_36:
	s_or_b64 exec, exec, s[2:3]
.LBB97_37:
	v_mov_b32_dpp v0, v32 row_shr:1 row_mask:0xf bank_mask:0xf
	v_mov_b32_dpp v1, v33 row_shr:1 row_mask:0xf bank_mask:0xf
	;; [unrolled: 1-line block ×4, first 2 shown]
	v_pk_add_f32 v[0:1], v[32:33], v[0:1]
	v_pk_add_f32 v[4:5], v[30:31], v[4:5]
	v_cmp_eq_u32_e32 vcc, 15, v22
	v_mov_b32_dpp v2, v0 row_shr:2 row_mask:0xf bank_mask:0xf
	v_mov_b32_dpp v3, v1 row_shr:2 row_mask:0xf bank_mask:0xf
	;; [unrolled: 1-line block ×4, first 2 shown]
	v_pk_add_f32 v[0:1], v[0:1], v[2:3]
	v_pk_add_f32 v[4:5], v[4:5], v[6:7]
	s_nop 0
	v_mov_b32_dpp v2, v0 row_shr:4 row_mask:0xf bank_mask:0xe
	v_mov_b32_dpp v3, v1 row_shr:4 row_mask:0xf bank_mask:0xe
	;; [unrolled: 1-line block ×4, first 2 shown]
	v_pk_add_f32 v[0:1], v[0:1], v[2:3]
	v_pk_add_f32 v[4:5], v[4:5], v[6:7]
	s_nop 0
	v_mov_b32_dpp v2, v0 row_shr:8 row_mask:0xf bank_mask:0xc
	v_mov_b32_dpp v3, v1 row_shr:8 row_mask:0xf bank_mask:0xc
	;; [unrolled: 1-line block ×4, first 2 shown]
	s_and_b64 exec, exec, vcc
	s_cbranch_execz .LBB97_10
; %bb.38:
	s_load_dwordx2 s[0:1], s[4:5], 0x50
	v_cmp_eq_f32_e64 s[2:3], s18, 0
	v_pk_add_f32 v[2:3], v[0:1], v[2:3]
	v_pk_add_f32 v[0:1], v[4:5], v[6:7]
	s_and_b64 vcc, exec, s[2:3]
	v_lshlrev_b32_e32 v4, 2, v20
	s_cbranch_vccz .LBB97_40
; %bb.39:
	v_ashrrev_i32_e32 v5, 31, v4
	v_lshlrev_b64 v[6:7], 2, v[4:5]
	s_waitcnt lgkmcnt(0)
	v_mov_b32_e32 v5, s1
	v_add_co_u32_e32 v10, vcc, s0, v6
	v_addc_co_u32_e32 v11, vcc, v5, v7, vcc
	v_pk_mul_f32 v[6:7], s[16:17], v[2:3] op_sel_hi:[0,1]
	v_pk_mul_f32 v[8:9], s[16:17], v[0:1] op_sel_hi:[0,1]
	global_store_dwordx4 v[10:11], v[6:9], off
	s_cbranch_execnz .LBB97_10
	s_branch .LBB97_41
.LBB97_40:
.LBB97_41:
	v_ashrrev_i32_e32 v5, 31, v4
	v_lshlrev_b64 v[4:5], 2, v[4:5]
	s_waitcnt lgkmcnt(0)
	v_mov_b32_e32 v6, s1
	v_add_co_u32_e32 v8, vcc, s0, v4
	v_addc_co_u32_e32 v9, vcc, v6, v5, vcc
	global_load_dwordx4 v[4:7], v[8:9], off
	v_pk_mul_f32 v[2:3], s[16:17], v[2:3] op_sel_hi:[0,1]
	v_pk_mul_f32 v[10:11], s[16:17], v[0:1] op_sel_hi:[0,1]
	s_waitcnt vmcnt(0)
	v_pk_fma_f32 v[0:1], s[18:19], v[4:5], v[2:3] op_sel_hi:[0,1,1]
	v_pk_fma_f32 v[2:3], s[18:19], v[6:7], v[10:11] op_sel_hi:[0,1,1]
	global_store_dwordx4 v[8:9], v[0:3], off
	s_endpgm
	.section	.rodata,"a",@progbits
	.p2align	6, 0x0
	.amdhsa_kernel _ZN9rocsparseL18bsrxmvn_4x4_kernelILj128ELj16EfliDF16_DF16_fEEvT3_20rocsparse_direction_NS_24const_host_device_scalarIT1_EES1_PKS1_PKT2_SA_S7_PKT4_PKT5_S5_PT6_21rocsparse_index_base_b
		.amdhsa_group_segment_fixed_size 0
		.amdhsa_private_segment_fixed_size 0
		.amdhsa_kernarg_size 96
		.amdhsa_user_sgpr_count 6
		.amdhsa_user_sgpr_private_segment_buffer 1
		.amdhsa_user_sgpr_dispatch_ptr 0
		.amdhsa_user_sgpr_queue_ptr 0
		.amdhsa_user_sgpr_kernarg_segment_ptr 1
		.amdhsa_user_sgpr_dispatch_id 0
		.amdhsa_user_sgpr_flat_scratch_init 0
		.amdhsa_user_sgpr_kernarg_preload_length 0
		.amdhsa_user_sgpr_kernarg_preload_offset 0
		.amdhsa_user_sgpr_private_segment_size 0
		.amdhsa_uses_dynamic_stack 0
		.amdhsa_system_sgpr_private_segment_wavefront_offset 0
		.amdhsa_system_sgpr_workgroup_id_x 1
		.amdhsa_system_sgpr_workgroup_id_y 0
		.amdhsa_system_sgpr_workgroup_id_z 0
		.amdhsa_system_sgpr_workgroup_info 0
		.amdhsa_system_vgpr_workitem_id 0
		.amdhsa_next_free_vgpr 100
		.amdhsa_next_free_sgpr 22
		.amdhsa_accum_offset 100
		.amdhsa_reserve_vcc 1
		.amdhsa_reserve_flat_scratch 0
		.amdhsa_float_round_mode_32 0
		.amdhsa_float_round_mode_16_64 0
		.amdhsa_float_denorm_mode_32 3
		.amdhsa_float_denorm_mode_16_64 3
		.amdhsa_dx10_clamp 1
		.amdhsa_ieee_mode 1
		.amdhsa_fp16_overflow 0
		.amdhsa_tg_split 0
		.amdhsa_exception_fp_ieee_invalid_op 0
		.amdhsa_exception_fp_denorm_src 0
		.amdhsa_exception_fp_ieee_div_zero 0
		.amdhsa_exception_fp_ieee_overflow 0
		.amdhsa_exception_fp_ieee_underflow 0
		.amdhsa_exception_fp_ieee_inexact 0
		.amdhsa_exception_int_div_zero 0
	.end_amdhsa_kernel
	.section	.text._ZN9rocsparseL18bsrxmvn_4x4_kernelILj128ELj16EfliDF16_DF16_fEEvT3_20rocsparse_direction_NS_24const_host_device_scalarIT1_EES1_PKS1_PKT2_SA_S7_PKT4_PKT5_S5_PT6_21rocsparse_index_base_b,"axG",@progbits,_ZN9rocsparseL18bsrxmvn_4x4_kernelILj128ELj16EfliDF16_DF16_fEEvT3_20rocsparse_direction_NS_24const_host_device_scalarIT1_EES1_PKS1_PKT2_SA_S7_PKT4_PKT5_S5_PT6_21rocsparse_index_base_b,comdat
.Lfunc_end97:
	.size	_ZN9rocsparseL18bsrxmvn_4x4_kernelILj128ELj16EfliDF16_DF16_fEEvT3_20rocsparse_direction_NS_24const_host_device_scalarIT1_EES1_PKS1_PKT2_SA_S7_PKT4_PKT5_S5_PT6_21rocsparse_index_base_b, .Lfunc_end97-_ZN9rocsparseL18bsrxmvn_4x4_kernelILj128ELj16EfliDF16_DF16_fEEvT3_20rocsparse_direction_NS_24const_host_device_scalarIT1_EES1_PKS1_PKT2_SA_S7_PKT4_PKT5_S5_PT6_21rocsparse_index_base_b
                                        ; -- End function
	.section	.AMDGPU.csdata,"",@progbits
; Kernel info:
; codeLenInByte = 4204
; NumSgprs: 26
; NumVgprs: 100
; NumAgprs: 0
; TotalNumVgprs: 100
; ScratchSize: 0
; MemoryBound: 0
; FloatMode: 240
; IeeeMode: 1
; LDSByteSize: 0 bytes/workgroup (compile time only)
; SGPRBlocks: 3
; VGPRBlocks: 12
; NumSGPRsForWavesPerEU: 26
; NumVGPRsForWavesPerEU: 100
; AccumOffset: 100
; Occupancy: 4
; WaveLimiterHint : 1
; COMPUTE_PGM_RSRC2:SCRATCH_EN: 0
; COMPUTE_PGM_RSRC2:USER_SGPR: 6
; COMPUTE_PGM_RSRC2:TRAP_HANDLER: 0
; COMPUTE_PGM_RSRC2:TGID_X_EN: 1
; COMPUTE_PGM_RSRC2:TGID_Y_EN: 0
; COMPUTE_PGM_RSRC2:TGID_Z_EN: 0
; COMPUTE_PGM_RSRC2:TIDIG_COMP_CNT: 0
; COMPUTE_PGM_RSRC3_GFX90A:ACCUM_OFFSET: 24
; COMPUTE_PGM_RSRC3_GFX90A:TG_SPLIT: 0
	.section	.text._ZN9rocsparseL18bsrxmvn_4x4_kernelILj128ELj32EfliDF16_DF16_fEEvT3_20rocsparse_direction_NS_24const_host_device_scalarIT1_EES1_PKS1_PKT2_SA_S7_PKT4_PKT5_S5_PT6_21rocsparse_index_base_b,"axG",@progbits,_ZN9rocsparseL18bsrxmvn_4x4_kernelILj128ELj32EfliDF16_DF16_fEEvT3_20rocsparse_direction_NS_24const_host_device_scalarIT1_EES1_PKS1_PKT2_SA_S7_PKT4_PKT5_S5_PT6_21rocsparse_index_base_b,comdat
	.globl	_ZN9rocsparseL18bsrxmvn_4x4_kernelILj128ELj32EfliDF16_DF16_fEEvT3_20rocsparse_direction_NS_24const_host_device_scalarIT1_EES1_PKS1_PKT2_SA_S7_PKT4_PKT5_S5_PT6_21rocsparse_index_base_b ; -- Begin function _ZN9rocsparseL18bsrxmvn_4x4_kernelILj128ELj32EfliDF16_DF16_fEEvT3_20rocsparse_direction_NS_24const_host_device_scalarIT1_EES1_PKS1_PKT2_SA_S7_PKT4_PKT5_S5_PT6_21rocsparse_index_base_b
	.p2align	8
	.type	_ZN9rocsparseL18bsrxmvn_4x4_kernelILj128ELj32EfliDF16_DF16_fEEvT3_20rocsparse_direction_NS_24const_host_device_scalarIT1_EES1_PKS1_PKT2_SA_S7_PKT4_PKT5_S5_PT6_21rocsparse_index_base_b,@function
_ZN9rocsparseL18bsrxmvn_4x4_kernelILj128ELj32EfliDF16_DF16_fEEvT3_20rocsparse_direction_NS_24const_host_device_scalarIT1_EES1_PKS1_PKT2_SA_S7_PKT4_PKT5_S5_PT6_21rocsparse_index_base_b: ; @_ZN9rocsparseL18bsrxmvn_4x4_kernelILj128ELj32EfliDF16_DF16_fEEvT3_20rocsparse_direction_NS_24const_host_device_scalarIT1_EES1_PKS1_PKT2_SA_S7_PKT4_PKT5_S5_PT6_21rocsparse_index_base_b
; %bb.0:
	s_load_dwordx2 s[20:21], s[4:5], 0x58
	s_load_dwordx2 s[16:17], s[4:5], 0x8
	;; [unrolled: 1-line block ×3, first 2 shown]
	s_waitcnt lgkmcnt(0)
	s_bitcmp1_b32 s21, 0
	s_cselect_b64 s[2:3], -1, 0
	s_xor_b64 s[0:1], s[2:3], -1
	s_and_b64 vcc, exec, s[2:3]
	s_cbranch_vccnz .LBB98_2
; %bb.1:
	s_load_dword s16, s[16:17], 0x0
.LBB98_2:
	s_andn2_b64 vcc, exec, s[0:1]
	s_cbranch_vccnz .LBB98_4
; %bb.3:
	s_load_dword s18, s[18:19], 0x0
.LBB98_4:
	s_waitcnt lgkmcnt(0)
	v_cmp_neq_f32_e64 s[0:1], s16, 0
	v_cmp_neq_f32_e64 s[2:3], s18, 1.0
	s_or_b64 s[0:1], s[0:1], s[2:3]
	s_andn2_b64 vcc, exec, s[0:1]
	s_cbranch_vccnz .LBB98_10
; %bb.5:
	s_load_dwordx2 s[8:9], s[4:5], 0x18
	s_load_dwordx2 s[0:1], s[4:5], 0x0
	v_lshrrev_b32_e32 v1, 5, v0
	v_lshl_or_b32 v24, s6, 2, v1
	s_mov_b64 s[2:3], 0
	s_waitcnt lgkmcnt(0)
	s_cmp_lg_u64 s[8:9], 0
	s_cbranch_scc0 .LBB98_11
; %bb.6:
	s_load_dword s6, s[4:5], 0x10
                                        ; implicit-def: $vgpr1
	s_waitcnt lgkmcnt(0)
	v_cmp_gt_i32_e32 vcc, s6, v24
	s_and_saveexec_b64 s[6:7], vcc
	s_xor_b64 s[6:7], exec, s[6:7]
	s_cbranch_execz .LBB98_8
; %bb.7:
	v_ashrrev_i32_e32 v25, 31, v24
	v_lshlrev_b64 v[2:3], 2, v[24:25]
	v_mov_b32_e32 v1, s9
	v_add_co_u32_e32 v2, vcc, s8, v2
	v_addc_co_u32_e32 v3, vcc, v1, v3, vcc
	global_load_dword v1, v[2:3], off
	s_mov_b64 s[2:3], exec
	s_waitcnt vmcnt(0)
	v_subrev_u32_e32 v1, s20, v1
.LBB98_8:
	s_or_b64 exec, exec, s[6:7]
	s_branch .LBB98_12
.LBB98_9:
	v_cmp_gt_i32_e32 vcc, s0, v24
	s_andn2_b64 s[2:3], s[2:3], exec
	s_and_b64 s[6:7], vcc, exec
	s_or_b64 s[2:3], s[2:3], s[6:7]
	s_and_saveexec_b64 s[6:7], s[2:3]
	s_cbranch_execnz .LBB98_13
.LBB98_10:
	s_endpgm
.LBB98_11:
                                        ; implicit-def: $vgpr1
	s_cbranch_execnz .LBB98_9
.LBB98_12:
	v_mov_b32_e32 v24, v1
	s_and_saveexec_b64 s[6:7], s[2:3]
	s_cbranch_execz .LBB98_10
.LBB98_13:
	s_load_dwordx8 s[8:15], s[4:5], 0x20
	v_ashrrev_i32_e32 v25, 31, v24
	v_lshlrev_b64 v[2:3], 3, v[24:25]
	v_and_b32_e32 v26, 31, v0
	s_load_dwordx2 s[6:7], s[4:5], 0x40
	s_waitcnt lgkmcnt(0)
	v_mov_b32_e32 v1, s9
	v_add_co_u32_e32 v4, vcc, s8, v2
	v_addc_co_u32_e32 v5, vcc, v1, v3, vcc
	v_add_co_u32_e32 v1, vcc, 8, v4
	global_load_dwordx2 v[38:39], v[4:5], off
	v_addc_co_u32_e32 v4, vcc, 0, v5, vcc
	v_mov_b32_e32 v5, s11
	v_add_co_u32_e32 v2, vcc, s10, v2
	s_cmp_eq_u64 s[10:11], 0
	v_addc_co_u32_e32 v3, vcc, v5, v3, vcc
	s_cselect_b64 vcc, -1, 0
	v_cndmask_b32_e32 v3, v3, v4, vcc
	v_cndmask_b32_e32 v2, v2, v1, vcc
	global_load_dwordx2 v[2:3], v[2:3], off
	v_mov_b32_e32 v4, s15
	s_mov_b32 s17, 0
	v_mov_b32_e32 v35, 0
	s_cmp_eq_u32 s1, 1
	s_waitcnt vmcnt(1)
	v_subrev_co_u32_e32 v0, vcc, s20, v38
	v_subbrev_co_u32_e32 v1, vcc, 0, v39, vcc
	v_add_co_u32_e32 v28, vcc, v0, v26
	v_addc_co_u32_e32 v29, vcc, 0, v1, vcc
	v_lshlrev_b64 v[0:1], 5, v[28:29]
	s_waitcnt vmcnt(0)
	v_subrev_co_u32_e32 v30, vcc, s20, v2
	v_subbrev_co_u32_e32 v31, vcc, 0, v3, vcc
	v_add_co_u32_e32 v32, vcc, s14, v0
	v_addc_co_u32_e32 v33, vcc, v4, v1, vcc
	v_cmp_lt_i64_e64 s[0:1], v[28:29], v[30:31]
	s_cbranch_scc1 .LBB98_25
; %bb.14:
	v_mov_b32_e32 v34, 0
	v_mov_b32_e32 v37, 0
	;; [unrolled: 1-line block ×3, first 2 shown]
	s_and_saveexec_b64 s[8:9], s[0:1]
	s_cbranch_execz .LBB98_24
; %bb.15:
	v_or_b32_e32 v0, 32, v26
	v_mov_b32_e32 v1, s17
	v_subrev_co_u32_e32 v0, vcc, s20, v0
	v_subb_co_u32_e32 v1, vcc, 0, v1, vcc
	v_add_co_u32_e32 v0, vcc, v0, v38
	v_addc_co_u32_e32 v1, vcc, v1, v39, vcc
	v_cmp_gt_i64_e32 vcc, v[0:1], v[30:31]
	v_cndmask_b32_e32 v1, v31, v1, vcc
	v_cndmask_b32_e32 v0, v30, v0, vcc
	v_mov_b32_e32 v4, s17
	v_sub_co_u32_e32 v5, vcc, s20, v26
	v_not_b32_e32 v3, v38
	v_subbrev_co_u32_e32 v4, vcc, 0, v4, vcc
	v_not_b32_e32 v2, v39
	v_add_co_u32_e32 v3, vcc, v5, v3
	v_addc_co_u32_e32 v2, vcc, v4, v2, vcc
	v_add_co_u32_e32 v0, vcc, v3, v0
	v_addc_co_u32_e32 v1, vcc, v2, v1, vcc
	v_lshrrev_b32_e32 v2, 5, v0
	v_add_u32_e32 v2, 1, v2
	v_and_b32_e32 v2, 3, v2
	s_mov_b32 s2, s17
	s_mov_b32 s3, s17
	v_cmp_ne_u32_e32 vcc, 0, v2
	v_pk_mov_b32 v[36:37], s[2:3], s[2:3] op_sel:[0,1]
	v_pk_mov_b32 v[34:35], s[2:3], s[2:3] op_sel:[0,1]
	;; [unrolled: 1-line block ×4, first 2 shown]
	s_and_saveexec_b64 s[10:11], vcc
	s_cbranch_execz .LBB98_19
; %bb.16:
	v_lshlrev_b64 v[4:5], 2, v[28:29]
	v_mov_b32_e32 v3, 0
	v_mov_b32_e32 v6, s13
	v_add_co_u32_e32 v4, vcc, s12, v4
	v_addc_co_u32_e32 v5, vcc, v6, v5, vcc
	v_lshlrev_b32_e32 v2, 3, v2
	s_mov_b64 s[14:15], 0
	v_mov_b32_e32 v6, s7
	s_movk_i32 s19, 0x400
	v_pk_mov_b32 v[42:43], v[32:33], v[32:33] op_sel:[0,1]
	v_pk_mov_b32 v[40:41], v[28:29], v[28:29] op_sel:[0,1]
	v_mov_b32_e32 v34, v3
	v_mov_b32_e32 v35, v3
	;; [unrolled: 1-line block ×4, first 2 shown]
.LBB98_17:                              ; =>This Inner Loop Header: Depth=1
	global_load_dword v7, v[4:5], off
	global_load_dwordx4 v[8:11], v[42:43], off
	global_load_dwordx4 v[12:15], v[42:43], off offset:16
	v_add_co_u32_e64 v40, s[2:3], 32, v40
	v_addc_co_u32_e64 v41, s[2:3], 0, v41, s[2:3]
	v_add_co_u32_e64 v2, s[2:3], -8, v2
	v_addc_co_u32_e64 v3, s[2:3], -1, v3, s[2:3]
	v_cmp_eq_u64_e64 s[2:3], 0, v[2:3]
	s_or_b64 s[14:15], s[2:3], s[14:15]
	s_waitcnt vmcnt(2)
	v_subrev_u32_e32 v7, s20, v7
	v_lshlrev_b32_e32 v16, 2, v7
	v_ashrrev_i32_e32 v17, 31, v16
	v_lshlrev_b64 v[16:17], 1, v[16:17]
	v_add_co_u32_e32 v16, vcc, s6, v16
	v_addc_co_u32_e32 v17, vcc, v6, v17, vcc
	global_load_dwordx2 v[16:17], v[16:17], off
	s_waitcnt vmcnt(2)
	v_cvt_f32_f16_e32 v21, v10
	v_cvt_f32_f16_e32 v20, v8
	s_waitcnt vmcnt(1)
	v_cvt_f32_f16_e32 v45, v14
	v_cvt_f32_f16_e32 v44, v12
	v_cvt_f32_f16_sdwa v46, v12 dst_sel:DWORD dst_unused:UNUSED_PAD src0_sel:WORD_1
	v_cvt_f32_f16_sdwa v23, v10 dst_sel:DWORD dst_unused:UNUSED_PAD src0_sel:WORD_1
	;; [unrolled: 1-line block ×4, first 2 shown]
	v_cvt_f32_f16_e32 v18, v9
	v_cvt_f32_f16_e32 v19, v11
	v_cvt_f32_f16_sdwa v10, v9 dst_sel:DWORD dst_unused:UNUSED_PAD src0_sel:WORD_1
	v_cvt_f32_f16_e32 v8, v13
	v_cvt_f32_f16_e32 v9, v15
	v_cvt_f32_f16_sdwa v11, v11 dst_sel:DWORD dst_unused:UNUSED_PAD src0_sel:WORD_1
	v_cvt_f32_f16_sdwa v15, v15 dst_sel:DWORD dst_unused:UNUSED_PAD src0_sel:WORD_1
	;; [unrolled: 1-line block ×3, first 2 shown]
	v_add_co_u32_e32 v42, vcc, s19, v42
	v_addc_co_u32_e32 v43, vcc, 0, v43, vcc
	v_add_co_u32_e32 v4, vcc, 0x80, v4
	v_addc_co_u32_e32 v5, vcc, 0, v5, vcc
	s_waitcnt vmcnt(0)
	v_cvt_f32_f16_e32 v12, v16
	v_cvt_f32_f16_sdwa v16, v16 dst_sel:DWORD dst_unused:UNUSED_PAD src0_sel:WORD_1
	v_cvt_f32_f16_e32 v48, v17
	v_cvt_f32_f16_sdwa v50, v17 dst_sel:DWORD dst_unused:UNUSED_PAD src0_sel:WORD_1
	v_pk_fma_f32 v[20:21], v[20:21], v[12:13], v[36:37] op_sel_hi:[1,0,1]
	v_pk_fma_f32 v[12:13], v[44:45], v[12:13], v[34:35] op_sel_hi:[1,0,1]
	;; [unrolled: 1-line block ×8, first 2 shown]
	s_andn2_b64 exec, exec, s[14:15]
	s_cbranch_execnz .LBB98_17
; %bb.18:
	s_or_b64 exec, exec, s[14:15]
.LBB98_19:
	s_or_b64 exec, exec, s[10:11]
	s_mov_b64 s[2:3], 0x5f
	v_cmp_lt_u64_e32 vcc, s[2:3], v[0:1]
	s_and_saveexec_b64 s[2:3], vcc
	s_cbranch_execz .LBB98_23
; %bb.20:
	v_lshlrev_b64 v[0:1], 2, v[40:41]
	v_mov_b32_e32 v2, s13
	v_add_co_u32_e32 v0, vcc, s12, v0
	v_addc_co_u32_e32 v1, vcc, v1, v2, vcc
	v_add_co_u32_e32 v44, vcc, 0x100, v0
	v_addc_co_u32_e32 v45, vcc, 0, v1, vcc
	s_mov_b64 s[10:11], 0
	v_mov_b32_e32 v25, s7
	s_movk_i32 s14, 0x1000
.LBB98_21:                              ; =>This Inner Loop Header: Depth=1
	global_load_dword v27, v[44:45], off offset:-256
	global_load_dwordx4 v[12:15], v[42:43], off
	global_load_dwordx4 v[0:3], v[42:43], off offset:16
	global_load_dword v66, v[44:45], off offset:-128
	global_load_dword v67, v[44:45], off
	global_load_dword v68, v[44:45], off offset:128
	global_load_dwordx4 v[16:19], v[42:43], off offset:3072
	global_load_dwordx4 v[46:49], v[42:43], off offset:1024
	;; [unrolled: 1-line block ×6, first 2 shown]
	v_add_co_u32_e32 v42, vcc, s14, v42
	v_addc_co_u32_e32 v43, vcc, 0, v43, vcc
	v_add_co_u32_e32 v40, vcc, 0x80, v40
	v_addc_co_u32_e32 v41, vcc, 0, v41, vcc
	;; [unrolled: 2-line block ×3, first 2 shown]
	v_cmp_ge_i64_e32 vcc, v[40:41], v[30:31]
	s_or_b64 s[10:11], vcc, s[10:11]
	s_waitcnt vmcnt(11)
	v_subrev_u32_e32 v27, s20, v27
	v_lshlrev_b32_e32 v72, 2, v27
	s_waitcnt vmcnt(9)
	v_cvt_f32_f16_e32 v62, v0
	v_cvt_f32_f16_sdwa v64, v0 dst_sel:DWORD dst_unused:UNUSED_PAD src0_sel:WORD_1
	s_waitcnt vmcnt(8)
	v_subrev_u32_e32 v0, s20, v66
	s_waitcnt vmcnt(6)
	v_subrev_u32_e32 v73, s20, v68
	v_lshlrev_b32_e32 v78, 2, v73
	v_ashrrev_i32_e32 v73, 31, v72
	v_lshlrev_b32_e32 v74, 2, v0
	v_lshlrev_b64 v[72:73], 1, v[72:73]
	v_cvt_f32_f16_e32 v63, v2
	v_cvt_f32_f16_sdwa v65, v2 dst_sel:DWORD dst_unused:UNUSED_PAD src0_sel:WORD_1
	v_subrev_u32_e32 v2, s20, v67
	v_ashrrev_i32_e32 v75, 31, v74
	v_add_co_u32_e32 v72, vcc, s6, v72
	v_lshlrev_b32_e32 v76, 2, v2
	v_lshlrev_b64 v[74:75], 1, v[74:75]
	v_addc_co_u32_e32 v73, vcc, v25, v73, vcc
	v_ashrrev_i32_e32 v77, 31, v76
	v_add_co_u32_e32 v74, vcc, s6, v74
	v_lshlrev_b64 v[76:77], 1, v[76:77]
	v_addc_co_u32_e32 v75, vcc, v25, v75, vcc
	v_ashrrev_i32_e32 v79, 31, v78
	v_add_co_u32_e32 v76, vcc, s6, v76
	v_lshlrev_b64 v[78:79], 1, v[78:79]
	v_addc_co_u32_e32 v77, vcc, v25, v77, vcc
	v_add_co_u32_e32 v78, vcc, s6, v78
	v_addc_co_u32_e32 v79, vcc, v25, v79, vcc
	global_load_dwordx2 v[80:81], v[72:73], off
	global_load_dwordx2 v[82:83], v[74:75], off
	;; [unrolled: 1-line block ×4, first 2 shown]
	v_cvt_f32_f16_e32 v57, v14
	v_cvt_f32_f16_e32 v56, v12
	v_cvt_f32_f16_sdwa v58, v12 dst_sel:DWORD dst_unused:UNUSED_PAD src0_sel:WORD_1
	s_waitcnt vmcnt(9)
	v_cvt_f32_f16_sdwa v12, v16 dst_sel:DWORD dst_unused:UNUSED_PAD src0_sel:WORD_1
	s_waitcnt vmcnt(8)
	v_cvt_f32_f16_e32 v66, v46
	v_cvt_f32_f16_sdwa v68, v46 dst_sel:DWORD dst_unused:UNUSED_PAD src0_sel:WORD_1
	s_waitcnt vmcnt(7)
	v_cvt_f32_f16_e32 v46, v20
	v_cvt_f32_f16_sdwa v72, v20 dst_sel:DWORD dst_unused:UNUSED_PAD src0_sel:WORD_1
	v_cvt_f32_f16_e32 v20, v16
	s_waitcnt vmcnt(4)
	v_cvt_f32_f16_sdwa v0, v50 dst_sel:DWORD dst_unused:UNUSED_PAD src0_sel:WORD_1
	v_cvt_f32_f16_e32 v16, v8
	v_cvt_f32_f16_sdwa v78, v8 dst_sel:DWORD dst_unused:UNUSED_PAD src0_sel:WORD_1
	v_cvt_f32_f16_e32 v8, v4
	;; [unrolled: 2-line block ×4, first 2 shown]
	v_cvt_f32_f16_e32 v55, v15
	v_cvt_f32_f16_e32 v60, v1
	v_cvt_f32_f16_e32 v61, v3
	v_cvt_f32_f16_sdwa v15, v15 dst_sel:DWORD dst_unused:UNUSED_PAD src0_sel:WORD_1
	v_cvt_f32_f16_sdwa v14, v13 dst_sel:DWORD dst_unused:UNUSED_PAD src0_sel:WORD_1
	;; [unrolled: 1-line block ×4, first 2 shown]
	v_cvt_f32_f16_e32 v67, v48
	v_cvt_f32_f16_sdwa v69, v48 dst_sel:DWORD dst_unused:UNUSED_PAD src0_sel:WORD_1
	v_cvt_f32_f16_e32 v70, v47
	v_cvt_f32_f16_sdwa v48, v47 dst_sel:DWORD dst_unused:UNUSED_PAD src0_sel:WORD_1
	;; [unrolled: 2-line block ×7, first 2 shown]
	v_cvt_f32_f16_e32 v71, v49
	v_cvt_f32_f16_e32 v89, v11
	v_cvt_f32_f16_e32 v88, v9
	v_cvt_f32_f16_sdwa v49, v49 dst_sel:DWORD dst_unused:UNUSED_PAD src0_sel:WORD_1
	v_cvt_f32_f16_sdwa v11, v11 dst_sel:DWORD dst_unused:UNUSED_PAD src0_sel:WORD_1
	;; [unrolled: 1-line block ×3, first 2 shown]
	v_cvt_f32_f16_e32 v9, v6
	v_cvt_f32_f16_sdwa v91, v6 dst_sel:DWORD dst_unused:UNUSED_PAD src0_sel:WORD_1
	v_cvt_f32_f16_e32 v75, v23
	v_cvt_f32_f16_e32 v93, v7
	;; [unrolled: 1-line block ×3, first 2 shown]
	v_cvt_f32_f16_sdwa v23, v23 dst_sel:DWORD dst_unused:UNUSED_PAD src0_sel:WORD_1
	v_cvt_f32_f16_sdwa v7, v7 dst_sel:DWORD dst_unused:UNUSED_PAD src0_sel:WORD_1
	;; [unrolled: 1-line block ×3, first 2 shown]
	v_cvt_f32_f16_e32 v5, v52
	v_cvt_f32_f16_sdwa v1, v52 dst_sel:DWORD dst_unused:UNUSED_PAD src0_sel:WORD_1
	v_cvt_f32_f16_e32 v77, v19
	v_cvt_f32_f16_e32 v95, v53
	;; [unrolled: 1-line block ×3, first 2 shown]
	v_cvt_f32_f16_sdwa v19, v19 dst_sel:DWORD dst_unused:UNUSED_PAD src0_sel:WORD_1
	v_cvt_f32_f16_sdwa v53, v53 dst_sel:DWORD dst_unused:UNUSED_PAD src0_sel:WORD_1
	;; [unrolled: 1-line block ×3, first 2 shown]
	s_waitcnt vmcnt(3)
	v_cvt_f32_f16_e32 v50, v80
	v_cvt_f32_f16_sdwa v80, v80 dst_sel:DWORD dst_unused:UNUSED_PAD src0_sel:WORD_1
	v_cvt_f32_f16_e32 v96, v81
	v_cvt_f32_f16_sdwa v98, v81 dst_sel:DWORD dst_unused:UNUSED_PAD src0_sel:WORD_1
	v_pk_fma_f32 v[36:37], v[56:57], v[50:51], v[36:37] op_sel_hi:[1,0,1]
	s_waitcnt vmcnt(2)
	v_cvt_f32_f16_e32 v56, v82
	v_pk_fma_f32 v[34:35], v[62:63], v[50:51], v[34:35] op_sel_hi:[1,0,1]
	v_cvt_f32_f16_sdwa v50, v82 dst_sel:DWORD dst_unused:UNUSED_PAD src0_sel:WORD_1
	v_pk_fma_f32 v[36:37], v[58:59], v[80:81], v[36:37] op_sel_hi:[1,0,1]
	v_pk_fma_f32 v[34:35], v[64:65], v[80:81], v[34:35] op_sel_hi:[1,0,1]
	v_cvt_f32_f16_e32 v62, v83
	v_pk_fma_f32 v[36:37], v[54:55], v[96:97], v[36:37] op_sel_hi:[1,0,1]
	v_pk_fma_f32 v[34:35], v[60:61], v[96:97], v[34:35] op_sel_hi:[1,0,1]
	v_cvt_f32_f16_sdwa v82, v83 dst_sel:DWORD dst_unused:UNUSED_PAD src0_sel:WORD_1
	v_pk_fma_f32 v[14:15], v[14:15], v[98:99], v[36:37] op_sel_hi:[1,0,1]
	v_pk_fma_f32 v[2:3], v[2:3], v[98:99], v[34:35] op_sel_hi:[1,0,1]
	s_waitcnt vmcnt(1)
	v_cvt_f32_f16_e32 v58, v84
	v_pk_fma_f32 v[14:15], v[66:67], v[56:57], v[14:15] op_sel_hi:[1,0,1]
	v_pk_fma_f32 v[2:3], v[16:17], v[56:57], v[2:3] op_sel_hi:[1,0,1]
	v_cvt_f32_f16_sdwa v64, v84 dst_sel:DWORD dst_unused:UNUSED_PAD src0_sel:WORD_1
	v_pk_fma_f32 v[14:15], v[68:69], v[50:51], v[14:15] op_sel_hi:[1,0,1]
	v_pk_fma_f32 v[2:3], v[78:79], v[50:51], v[2:3] op_sel_hi:[1,0,1]
	v_cvt_f32_f16_e32 v80, v85
	v_pk_fma_f32 v[14:15], v[70:71], v[62:63], v[14:15] op_sel_hi:[1,0,1]
	v_pk_fma_f32 v[2:3], v[88:89], v[62:63], v[2:3] op_sel_hi:[1,0,1]
	v_cvt_f32_f16_sdwa v84, v85 dst_sel:DWORD dst_unused:UNUSED_PAD src0_sel:WORD_1
	v_pk_fma_f32 v[14:15], v[48:49], v[82:83], v[14:15] op_sel_hi:[1,0,1]
	v_pk_fma_f32 v[2:3], v[10:11], v[82:83], v[2:3] op_sel_hi:[1,0,1]
	s_waitcnt vmcnt(0)
	v_cvt_f32_f16_e32 v54, v86
	v_pk_fma_f32 v[10:11], v[46:47], v[58:59], v[14:15] op_sel_hi:[1,0,1]
	v_pk_fma_f32 v[2:3], v[8:9], v[58:59], v[2:3] op_sel_hi:[1,0,1]
	v_cvt_f32_f16_sdwa v60, v86 dst_sel:DWORD dst_unused:UNUSED_PAD src0_sel:WORD_1
	v_pk_fma_f32 v[8:9], v[72:73], v[64:65], v[10:11] op_sel_hi:[1,0,1]
	v_pk_fma_f32 v[2:3], v[90:91], v[64:65], v[2:3] op_sel_hi:[1,0,1]
	v_cvt_f32_f16_e32 v86, v87
	v_pk_fma_f32 v[8:9], v[74:75], v[80:81], v[8:9] op_sel_hi:[1,0,1]
	v_pk_fma_f32 v[2:3], v[92:93], v[80:81], v[2:3] op_sel_hi:[1,0,1]
	v_cvt_f32_f16_sdwa v96, v87 dst_sel:DWORD dst_unused:UNUSED_PAD src0_sel:WORD_1
	v_pk_fma_f32 v[8:9], v[22:23], v[84:85], v[8:9] op_sel_hi:[1,0,1]
	v_pk_fma_f32 v[2:3], v[6:7], v[84:85], v[2:3] op_sel_hi:[1,0,1]
	;; [unrolled: 1-line block ×10, first 2 shown]
	s_andn2_b64 exec, exec, s[10:11]
	s_cbranch_execnz .LBB98_21
; %bb.22:
	s_or_b64 exec, exec, s[10:11]
.LBB98_23:
	s_or_b64 exec, exec, s[2:3]
.LBB98_24:
	s_or_b64 exec, exec, s[8:9]
	s_cbranch_execz .LBB98_26
	s_branch .LBB98_37
.LBB98_25:
                                        ; implicit-def: $vgpr35
                                        ; implicit-def: $vgpr37
.LBB98_26:
	s_mov_b32 s8, 0
	v_mov_b32_e32 v35, 0
	v_mov_b32_e32 v34, 0
	;; [unrolled: 1-line block ×4, first 2 shown]
	s_and_saveexec_b64 s[2:3], s[0:1]
	s_cbranch_execz .LBB98_36
; %bb.27:
	v_or_b32_e32 v0, 32, v26
	v_mov_b32_e32 v1, s17
	v_subrev_co_u32_e32 v0, vcc, s20, v0
	v_subb_co_u32_e32 v1, vcc, 0, v1, vcc
	v_add_co_u32_e32 v0, vcc, v0, v38
	v_addc_co_u32_e32 v1, vcc, v1, v39, vcc
	v_cmp_gt_i64_e32 vcc, v[0:1], v[30:31]
	v_cndmask_b32_e32 v1, v31, v1, vcc
	v_cndmask_b32_e32 v0, v30, v0, vcc
	v_mov_b32_e32 v4, s17
	v_sub_co_u32_e32 v5, vcc, s20, v26
	v_not_b32_e32 v3, v38
	v_subbrev_co_u32_e32 v4, vcc, 0, v4, vcc
	v_not_b32_e32 v2, v39
	v_add_co_u32_e32 v3, vcc, v5, v3
	v_addc_co_u32_e32 v2, vcc, v4, v2, vcc
	v_add_co_u32_e32 v0, vcc, v3, v0
	v_addc_co_u32_e32 v1, vcc, v2, v1, vcc
	v_lshrrev_b32_e32 v2, 5, v0
	v_add_u32_e32 v2, 1, v2
	v_and_b32_e32 v2, 3, v2
	s_mov_b32 s9, s8
	v_cmp_ne_u32_e32 vcc, 0, v2
	v_pk_mov_b32 v[36:37], s[8:9], s[8:9] op_sel:[0,1]
	v_pk_mov_b32 v[34:35], s[8:9], s[8:9] op_sel:[0,1]
	s_and_saveexec_b64 s[8:9], vcc
	s_cbranch_execz .LBB98_31
; %bb.28:
	v_lshlrev_b64 v[4:5], 2, v[28:29]
	v_mov_b32_e32 v3, 0
	v_mov_b32_e32 v6, s13
	v_add_co_u32_e32 v4, vcc, s12, v4
	v_addc_co_u32_e32 v5, vcc, v6, v5, vcc
	v_lshlrev_b32_e32 v2, 3, v2
	s_mov_b64 s[10:11], 0
	v_mov_b32_e32 v6, s7
	s_movk_i32 s14, 0x400
	v_mov_b32_e32 v34, v3
	v_mov_b32_e32 v35, v3
	;; [unrolled: 1-line block ×4, first 2 shown]
.LBB98_29:                              ; =>This Inner Loop Header: Depth=1
	global_load_dword v7, v[4:5], off
	global_load_dwordx4 v[8:11], v[32:33], off
	v_add_co_u32_e64 v28, s[0:1], 32, v28
	v_addc_co_u32_e64 v29, s[0:1], 0, v29, s[0:1]
	v_add_co_u32_e64 v2, s[0:1], -8, v2
	v_addc_co_u32_e64 v3, s[0:1], -1, v3, s[0:1]
	v_cmp_eq_u64_e64 s[0:1], 0, v[2:3]
	s_or_b64 s[10:11], s[0:1], s[10:11]
	s_waitcnt vmcnt(1)
	v_subrev_u32_e32 v7, s20, v7
	v_lshlrev_b32_e32 v12, 2, v7
	v_ashrrev_i32_e32 v13, 31, v12
	v_lshlrev_b64 v[12:13], 1, v[12:13]
	v_add_co_u32_e32 v16, vcc, s6, v12
	v_addc_co_u32_e32 v17, vcc, v6, v13, vcc
	global_load_dwordx2 v[18:19], v[16:17], off
	global_load_dwordx4 v[12:15], v[32:33], off offset:16
	s_waitcnt vmcnt(2)
	v_cvt_f32_f16_sdwa v17, v8 dst_sel:DWORD dst_unused:UNUSED_PAD src0_sel:WORD_1
	v_cvt_f32_f16_e32 v16, v8
	v_cvt_f32_f16_sdwa v21, v10 dst_sel:DWORD dst_unused:UNUSED_PAD src0_sel:WORD_1
	v_cvt_f32_f16_e32 v20, v10
	;; [unrolled: 2-line block ×4, first 2 shown]
	v_add_co_u32_e32 v32, vcc, s14, v32
	v_addc_co_u32_e32 v33, vcc, 0, v33, vcc
	v_add_co_u32_e32 v4, vcc, 0x80, v4
	v_addc_co_u32_e32 v5, vcc, 0, v5, vcc
	s_waitcnt vmcnt(1)
	v_cvt_f32_f16_e32 v42, v19
	s_waitcnt vmcnt(0)
	v_cvt_f32_f16_sdwa v11, v12 dst_sel:DWORD dst_unused:UNUSED_PAD src0_sel:WORD_1
	v_cvt_f32_f16_e32 v10, v12
	v_cvt_f32_f16_sdwa v39, v13 dst_sel:DWORD dst_unused:UNUSED_PAD src0_sel:WORD_1
	v_cvt_f32_f16_e32 v38, v13
	;; [unrolled: 2-line block ×3, first 2 shown]
	v_cvt_f32_f16_e32 v14, v18
	v_cvt_f32_f16_sdwa v18, v18 dst_sel:DWORD dst_unused:UNUSED_PAD src0_sel:WORD_1
	v_cvt_f32_f16_sdwa v41, v15 dst_sel:DWORD dst_unused:UNUSED_PAD src0_sel:WORD_1
	v_cvt_f32_f16_e32 v40, v15
	v_cvt_f32_f16_sdwa v44, v19 dst_sel:DWORD dst_unused:UNUSED_PAD src0_sel:WORD_1
	v_pk_fma_f32 v[16:17], v[16:17], v[14:15], v[36:37] op_sel_hi:[1,0,1]
	v_pk_fma_f32 v[14:15], v[22:23], v[14:15], v[34:35] op_sel_hi:[1,0,1]
	;; [unrolled: 1-line block ×8, first 2 shown]
	s_andn2_b64 exec, exec, s[10:11]
	s_cbranch_execnz .LBB98_29
; %bb.30:
	s_or_b64 exec, exec, s[10:11]
.LBB98_31:
	s_or_b64 exec, exec, s[8:9]
	s_mov_b64 s[0:1], 0x5f
	v_cmp_lt_u64_e32 vcc, s[0:1], v[0:1]
	s_and_saveexec_b64 s[0:1], vcc
	s_cbranch_execz .LBB98_35
; %bb.32:
	v_lshlrev_b64 v[0:1], 2, v[28:29]
	v_mov_b32_e32 v2, s13
	v_add_co_u32_e32 v0, vcc, s12, v0
	v_addc_co_u32_e32 v1, vcc, v1, v2, vcc
	v_add_co_u32_e32 v20, vcc, 0x100, v0
	v_addc_co_u32_e32 v21, vcc, 0, v1, vcc
	s_mov_b64 s[8:9], 0
	v_mov_b32_e32 v22, s7
	s_movk_i32 s7, 0x1000
.LBB98_33:                              ; =>This Inner Loop Header: Depth=1
	global_load_dwordx4 v[4:7], v[32:33], off
	global_load_dwordx4 v[0:3], v[32:33], off offset:16
	global_load_dwordx4 v[8:11], v[32:33], off offset:1024
	;; [unrolled: 1-line block ×4, first 2 shown]
	global_load_dword v23, v[20:21], off offset:-256
	global_load_dword v25, v[20:21], off offset:-128
	global_load_dword v27, v[20:21], off
	global_load_dword v68, v[20:21], off offset:128
	global_load_dwordx4 v[38:41], v[32:33], off offset:2064
	global_load_dwordx4 v[42:45], v[32:33], off offset:3072
	;; [unrolled: 1-line block ×3, first 2 shown]
	v_add_co_u32_e32 v32, vcc, s7, v32
	v_addc_co_u32_e32 v33, vcc, 0, v33, vcc
	v_add_co_u32_e32 v28, vcc, 0x80, v28
	v_addc_co_u32_e32 v29, vcc, 0, v29, vcc
	;; [unrolled: 2-line block ×3, first 2 shown]
	v_cmp_ge_i64_e32 vcc, v[28:29], v[30:31]
	s_or_b64 s[8:9], vcc, s[8:9]
	s_waitcnt vmcnt(11)
	v_cvt_f32_f16_sdwa v51, v4 dst_sel:DWORD dst_unused:UNUSED_PAD src0_sel:WORD_1
	v_cvt_f32_f16_e32 v50, v4
	v_cvt_f32_f16_sdwa v53, v6 dst_sel:DWORD dst_unused:UNUSED_PAD src0_sel:WORD_1
	v_cvt_f32_f16_e32 v52, v6
	;; [unrolled: 2-line block ×4, first 2 shown]
	s_waitcnt vmcnt(10)
	v_cvt_f32_f16_sdwa v7, v0 dst_sel:DWORD dst_unused:UNUSED_PAD src0_sel:WORD_1
	v_cvt_f32_f16_e32 v6, v0
	v_cvt_f32_f16_sdwa v57, v1 dst_sel:DWORD dst_unused:UNUSED_PAD src0_sel:WORD_1
	v_cvt_f32_f16_e32 v56, v1
	;; [unrolled: 2-line block ×3, first 2 shown]
	s_waitcnt vmcnt(6)
	v_subrev_u32_e32 v2, s20, v23
	v_lshlrev_b32_e32 v70, 2, v2
	v_cvt_f32_f16_sdwa v59, v8 dst_sel:DWORD dst_unused:UNUSED_PAD src0_sel:WORD_1
	v_cvt_f32_f16_e32 v58, v8
	s_waitcnt vmcnt(5)
	v_subrev_u32_e32 v8, s20, v25
	v_ashrrev_i32_e32 v71, 31, v70
	v_lshlrev_b32_e32 v72, 2, v8
	v_lshlrev_b64 v[70:71], 1, v[70:71]
	v_cvt_f32_f16_sdwa v61, v10 dst_sel:DWORD dst_unused:UNUSED_PAD src0_sel:WORD_1
	v_cvt_f32_f16_e32 v60, v10
	s_waitcnt vmcnt(4)
	v_subrev_u32_e32 v10, s20, v27
	v_ashrrev_i32_e32 v73, 31, v72
	v_add_co_u32_e32 v70, vcc, s6, v70
	v_lshlrev_b32_e32 v74, 2, v10
	v_lshlrev_b64 v[72:73], 1, v[72:73]
	v_addc_co_u32_e32 v71, vcc, v22, v71, vcc
	v_cvt_f32_f16_sdwa v63, v12 dst_sel:DWORD dst_unused:UNUSED_PAD src0_sel:WORD_1
	v_cvt_f32_f16_e32 v62, v12
	s_waitcnt vmcnt(3)
	v_subrev_u32_e32 v12, s20, v68
	v_ashrrev_i32_e32 v75, 31, v74
	v_add_co_u32_e32 v72, vcc, s6, v72
	v_lshlrev_b32_e32 v76, 2, v12
	v_lshlrev_b64 v[74:75], 1, v[74:75]
	v_addc_co_u32_e32 v73, vcc, v22, v73, vcc
	v_ashrrev_i32_e32 v77, 31, v76
	v_add_co_u32_e32 v74, vcc, s6, v74
	v_lshlrev_b64 v[76:77], 1, v[76:77]
	v_addc_co_u32_e32 v75, vcc, v22, v75, vcc
	v_add_co_u32_e32 v76, vcc, s6, v76
	v_addc_co_u32_e32 v77, vcc, v22, v77, vcc
	global_load_dwordx2 v[78:79], v[70:71], off
	global_load_dwordx2 v[80:81], v[72:73], off
	;; [unrolled: 1-line block ×4, first 2 shown]
	s_waitcnt vmcnt(4)
	v_cvt_f32_f16_sdwa v89, v48 dst_sel:DWORD dst_unused:UNUSED_PAD src0_sel:WORD_1
	v_cvt_f32_f16_e32 v88, v48
	v_cvt_f32_f16_sdwa v69, v3 dst_sel:DWORD dst_unused:UNUSED_PAD src0_sel:WORD_1
	v_cvt_f32_f16_e32 v68, v3
	;; [unrolled: 2-line block ×22, first 2 shown]
	s_waitcnt vmcnt(3)
	v_cvt_f32_f16_e32 v48, v78
	v_cvt_f32_f16_sdwa v78, v78 dst_sel:DWORD dst_unused:UNUSED_PAD src0_sel:WORD_1
	v_cvt_f32_f16_e32 v92, v79
	v_cvt_f32_f16_sdwa v94, v79 dst_sel:DWORD dst_unused:UNUSED_PAD src0_sel:WORD_1
	v_pk_fma_f32 v[36:37], v[50:51], v[48:49], v[36:37] op_sel_hi:[1,0,1]
	s_waitcnt vmcnt(2)
	v_cvt_f32_f16_e32 v50, v80
	v_pk_fma_f32 v[34:35], v[54:55], v[48:49], v[34:35] op_sel_hi:[1,0,1]
	v_cvt_f32_f16_sdwa v48, v80 dst_sel:DWORD dst_unused:UNUSED_PAD src0_sel:WORD_1
	v_pk_fma_f32 v[36:37], v[52:53], v[78:79], v[36:37] op_sel_hi:[1,0,1]
	v_pk_fma_f32 v[4:5], v[4:5], v[78:79], v[34:35] op_sel_hi:[1,0,1]
	v_cvt_f32_f16_e32 v54, v81
	v_pk_fma_f32 v[6:7], v[6:7], v[92:93], v[36:37] op_sel_hi:[1,0,1]
	v_pk_fma_f32 v[4:5], v[56:57], v[92:93], v[4:5] op_sel_hi:[1,0,1]
	v_cvt_f32_f16_sdwa v80, v81 dst_sel:DWORD dst_unused:UNUSED_PAD src0_sel:WORD_1
	v_pk_fma_f32 v[0:1], v[0:1], v[94:95], v[6:7] op_sel_hi:[1,0,1]
	v_pk_fma_f32 v[4:5], v[68:69], v[94:95], v[4:5] op_sel_hi:[1,0,1]
	s_waitcnt vmcnt(1)
	v_cvt_f32_f16_e32 v52, v82
	v_pk_fma_f32 v[0:1], v[58:59], v[50:51], v[0:1] op_sel_hi:[1,0,1]
	v_pk_fma_f32 v[2:3], v[2:3], v[50:51], v[4:5] op_sel_hi:[1,0,1]
	v_cvt_f32_f16_sdwa v34, v82 dst_sel:DWORD dst_unused:UNUSED_PAD src0_sel:WORD_1
	v_pk_fma_f32 v[0:1], v[60:61], v[48:49], v[0:1] op_sel_hi:[1,0,1]
	v_pk_fma_f32 v[2:3], v[8:9], v[48:49], v[2:3] op_sel_hi:[1,0,1]
	v_cvt_f32_f16_e32 v78, v83
	v_pk_fma_f32 v[0:1], v[62:63], v[54:55], v[0:1] op_sel_hi:[1,0,1]
	v_pk_fma_f32 v[2:3], v[10:11], v[54:55], v[2:3] op_sel_hi:[1,0,1]
	v_cvt_f32_f16_sdwa v82, v83 dst_sel:DWORD dst_unused:UNUSED_PAD src0_sel:WORD_1
	v_pk_fma_f32 v[0:1], v[64:65], v[80:81], v[0:1] op_sel_hi:[1,0,1]
	v_pk_fma_f32 v[2:3], v[12:13], v[80:81], v[2:3] op_sel_hi:[1,0,1]
	s_waitcnt vmcnt(0)
	v_cvt_f32_f16_e32 v36, v84
	v_pk_fma_f32 v[0:1], v[66:67], v[52:53], v[0:1] op_sel_hi:[1,0,1]
	v_pk_fma_f32 v[2:3], v[70:71], v[52:53], v[2:3] op_sel_hi:[1,0,1]
	v_cvt_f32_f16_sdwa v56, v84 dst_sel:DWORD dst_unused:UNUSED_PAD src0_sel:WORD_1
	v_pk_fma_f32 v[0:1], v[14:15], v[34:35], v[0:1] op_sel_hi:[1,0,1]
	v_pk_fma_f32 v[2:3], v[16:17], v[34:35], v[2:3] op_sel_hi:[1,0,1]
	v_cvt_f32_f16_e32 v84, v85
	v_pk_fma_f32 v[0:1], v[18:19], v[78:79], v[0:1] op_sel_hi:[1,0,1]
	v_pk_fma_f32 v[2:3], v[74:75], v[78:79], v[2:3] op_sel_hi:[1,0,1]
	v_cvt_f32_f16_sdwa v92, v85 dst_sel:DWORD dst_unused:UNUSED_PAD src0_sel:WORD_1
	v_pk_fma_f32 v[0:1], v[72:73], v[82:83], v[0:1] op_sel_hi:[1,0,1]
	v_pk_fma_f32 v[2:3], v[38:39], v[82:83], v[2:3] op_sel_hi:[1,0,1]
	;; [unrolled: 1-line block ×10, first 2 shown]
	s_andn2_b64 exec, exec, s[8:9]
	s_cbranch_execnz .LBB98_33
; %bb.34:
	s_or_b64 exec, exec, s[8:9]
.LBB98_35:
	s_or_b64 exec, exec, s[0:1]
.LBB98_36:
	s_or_b64 exec, exec, s[2:3]
.LBB98_37:
	v_mov_b32_dpp v0, v36 row_shr:1 row_mask:0xf bank_mask:0xf
	v_mov_b32_dpp v1, v37 row_shr:1 row_mask:0xf bank_mask:0xf
	;; [unrolled: 1-line block ×4, first 2 shown]
	v_pk_add_f32 v[0:1], v[36:37], v[0:1]
	v_pk_add_f32 v[4:5], v[34:35], v[4:5]
	v_cmp_eq_u32_e32 vcc, 31, v26
	v_mov_b32_dpp v2, v0 row_shr:2 row_mask:0xf bank_mask:0xf
	v_mov_b32_dpp v3, v1 row_shr:2 row_mask:0xf bank_mask:0xf
	v_mov_b32_dpp v6, v4 row_shr:2 row_mask:0xf bank_mask:0xf
	v_mov_b32_dpp v7, v5 row_shr:2 row_mask:0xf bank_mask:0xf
	v_pk_add_f32 v[0:1], v[0:1], v[2:3]
	v_pk_add_f32 v[4:5], v[4:5], v[6:7]
	s_nop 0
	v_mov_b32_dpp v2, v0 row_shr:4 row_mask:0xf bank_mask:0xe
	v_mov_b32_dpp v3, v1 row_shr:4 row_mask:0xf bank_mask:0xe
	v_mov_b32_dpp v6, v4 row_shr:4 row_mask:0xf bank_mask:0xe
	v_mov_b32_dpp v7, v5 row_shr:4 row_mask:0xf bank_mask:0xe
	v_pk_add_f32 v[0:1], v[0:1], v[2:3]
	v_pk_add_f32 v[4:5], v[4:5], v[6:7]
	s_nop 0
	;; [unrolled: 7-line block ×3, first 2 shown]
	v_mov_b32_dpp v2, v0 row_bcast:15 row_mask:0xa bank_mask:0xf
	v_mov_b32_dpp v3, v1 row_bcast:15 row_mask:0xa bank_mask:0xf
	;; [unrolled: 1-line block ×4, first 2 shown]
	s_and_b64 exec, exec, vcc
	s_cbranch_execz .LBB98_10
; %bb.38:
	s_load_dwordx2 s[0:1], s[4:5], 0x50
	v_cmp_eq_f32_e64 s[2:3], s18, 0
	v_pk_add_f32 v[2:3], v[0:1], v[2:3]
	v_pk_add_f32 v[0:1], v[4:5], v[6:7]
	s_and_b64 vcc, exec, s[2:3]
	v_lshlrev_b32_e32 v4, 2, v24
	s_cbranch_vccz .LBB98_40
; %bb.39:
	v_ashrrev_i32_e32 v5, 31, v4
	v_lshlrev_b64 v[6:7], 2, v[4:5]
	s_waitcnt lgkmcnt(0)
	v_mov_b32_e32 v5, s1
	v_add_co_u32_e32 v10, vcc, s0, v6
	v_addc_co_u32_e32 v11, vcc, v5, v7, vcc
	v_pk_mul_f32 v[6:7], s[16:17], v[2:3] op_sel_hi:[0,1]
	v_pk_mul_f32 v[8:9], s[16:17], v[0:1] op_sel_hi:[0,1]
	global_store_dwordx4 v[10:11], v[6:9], off
	s_cbranch_execnz .LBB98_10
	s_branch .LBB98_41
.LBB98_40:
.LBB98_41:
	v_ashrrev_i32_e32 v5, 31, v4
	v_lshlrev_b64 v[4:5], 2, v[4:5]
	s_waitcnt lgkmcnt(0)
	v_mov_b32_e32 v6, s1
	v_add_co_u32_e32 v8, vcc, s0, v4
	v_addc_co_u32_e32 v9, vcc, v6, v5, vcc
	global_load_dwordx4 v[4:7], v[8:9], off
	v_pk_mul_f32 v[2:3], s[16:17], v[2:3] op_sel_hi:[0,1]
	v_pk_mul_f32 v[10:11], s[16:17], v[0:1] op_sel_hi:[0,1]
	s_waitcnt vmcnt(0)
	v_pk_fma_f32 v[0:1], s[18:19], v[4:5], v[2:3] op_sel_hi:[0,1,1]
	v_pk_fma_f32 v[2:3], s[18:19], v[6:7], v[10:11] op_sel_hi:[0,1,1]
	global_store_dwordx4 v[8:9], v[0:3], off
	s_endpgm
	.section	.rodata,"a",@progbits
	.p2align	6, 0x0
	.amdhsa_kernel _ZN9rocsparseL18bsrxmvn_4x4_kernelILj128ELj32EfliDF16_DF16_fEEvT3_20rocsparse_direction_NS_24const_host_device_scalarIT1_EES1_PKS1_PKT2_SA_S7_PKT4_PKT5_S5_PT6_21rocsparse_index_base_b
		.amdhsa_group_segment_fixed_size 0
		.amdhsa_private_segment_fixed_size 0
		.amdhsa_kernarg_size 96
		.amdhsa_user_sgpr_count 6
		.amdhsa_user_sgpr_private_segment_buffer 1
		.amdhsa_user_sgpr_dispatch_ptr 0
		.amdhsa_user_sgpr_queue_ptr 0
		.amdhsa_user_sgpr_kernarg_segment_ptr 1
		.amdhsa_user_sgpr_dispatch_id 0
		.amdhsa_user_sgpr_flat_scratch_init 0
		.amdhsa_user_sgpr_kernarg_preload_length 0
		.amdhsa_user_sgpr_kernarg_preload_offset 0
		.amdhsa_user_sgpr_private_segment_size 0
		.amdhsa_uses_dynamic_stack 0
		.amdhsa_system_sgpr_private_segment_wavefront_offset 0
		.amdhsa_system_sgpr_workgroup_id_x 1
		.amdhsa_system_sgpr_workgroup_id_y 0
		.amdhsa_system_sgpr_workgroup_id_z 0
		.amdhsa_system_sgpr_workgroup_info 0
		.amdhsa_system_vgpr_workitem_id 0
		.amdhsa_next_free_vgpr 100
		.amdhsa_next_free_sgpr 22
		.amdhsa_accum_offset 100
		.amdhsa_reserve_vcc 1
		.amdhsa_reserve_flat_scratch 0
		.amdhsa_float_round_mode_32 0
		.amdhsa_float_round_mode_16_64 0
		.amdhsa_float_denorm_mode_32 3
		.amdhsa_float_denorm_mode_16_64 3
		.amdhsa_dx10_clamp 1
		.amdhsa_ieee_mode 1
		.amdhsa_fp16_overflow 0
		.amdhsa_tg_split 0
		.amdhsa_exception_fp_ieee_invalid_op 0
		.amdhsa_exception_fp_denorm_src 0
		.amdhsa_exception_fp_ieee_div_zero 0
		.amdhsa_exception_fp_ieee_overflow 0
		.amdhsa_exception_fp_ieee_underflow 0
		.amdhsa_exception_fp_ieee_inexact 0
		.amdhsa_exception_int_div_zero 0
	.end_amdhsa_kernel
	.section	.text._ZN9rocsparseL18bsrxmvn_4x4_kernelILj128ELj32EfliDF16_DF16_fEEvT3_20rocsparse_direction_NS_24const_host_device_scalarIT1_EES1_PKS1_PKT2_SA_S7_PKT4_PKT5_S5_PT6_21rocsparse_index_base_b,"axG",@progbits,_ZN9rocsparseL18bsrxmvn_4x4_kernelILj128ELj32EfliDF16_DF16_fEEvT3_20rocsparse_direction_NS_24const_host_device_scalarIT1_EES1_PKS1_PKT2_SA_S7_PKT4_PKT5_S5_PT6_21rocsparse_index_base_b,comdat
.Lfunc_end98:
	.size	_ZN9rocsparseL18bsrxmvn_4x4_kernelILj128ELj32EfliDF16_DF16_fEEvT3_20rocsparse_direction_NS_24const_host_device_scalarIT1_EES1_PKS1_PKT2_SA_S7_PKT4_PKT5_S5_PT6_21rocsparse_index_base_b, .Lfunc_end98-_ZN9rocsparseL18bsrxmvn_4x4_kernelILj128ELj32EfliDF16_DF16_fEEvT3_20rocsparse_direction_NS_24const_host_device_scalarIT1_EES1_PKS1_PKT2_SA_S7_PKT4_PKT5_S5_PT6_21rocsparse_index_base_b
                                        ; -- End function
	.section	.AMDGPU.csdata,"",@progbits
; Kernel info:
; codeLenInByte = 4292
; NumSgprs: 26
; NumVgprs: 100
; NumAgprs: 0
; TotalNumVgprs: 100
; ScratchSize: 0
; MemoryBound: 0
; FloatMode: 240
; IeeeMode: 1
; LDSByteSize: 0 bytes/workgroup (compile time only)
; SGPRBlocks: 3
; VGPRBlocks: 12
; NumSGPRsForWavesPerEU: 26
; NumVGPRsForWavesPerEU: 100
; AccumOffset: 100
; Occupancy: 4
; WaveLimiterHint : 1
; COMPUTE_PGM_RSRC2:SCRATCH_EN: 0
; COMPUTE_PGM_RSRC2:USER_SGPR: 6
; COMPUTE_PGM_RSRC2:TRAP_HANDLER: 0
; COMPUTE_PGM_RSRC2:TGID_X_EN: 1
; COMPUTE_PGM_RSRC2:TGID_Y_EN: 0
; COMPUTE_PGM_RSRC2:TGID_Z_EN: 0
; COMPUTE_PGM_RSRC2:TIDIG_COMP_CNT: 0
; COMPUTE_PGM_RSRC3_GFX90A:ACCUM_OFFSET: 24
; COMPUTE_PGM_RSRC3_GFX90A:TG_SPLIT: 0
	.section	.text._ZN9rocsparseL18bsrxmvn_4x4_kernelILj128ELj64EfliDF16_DF16_fEEvT3_20rocsparse_direction_NS_24const_host_device_scalarIT1_EES1_PKS1_PKT2_SA_S7_PKT4_PKT5_S5_PT6_21rocsparse_index_base_b,"axG",@progbits,_ZN9rocsparseL18bsrxmvn_4x4_kernelILj128ELj64EfliDF16_DF16_fEEvT3_20rocsparse_direction_NS_24const_host_device_scalarIT1_EES1_PKS1_PKT2_SA_S7_PKT4_PKT5_S5_PT6_21rocsparse_index_base_b,comdat
	.globl	_ZN9rocsparseL18bsrxmvn_4x4_kernelILj128ELj64EfliDF16_DF16_fEEvT3_20rocsparse_direction_NS_24const_host_device_scalarIT1_EES1_PKS1_PKT2_SA_S7_PKT4_PKT5_S5_PT6_21rocsparse_index_base_b ; -- Begin function _ZN9rocsparseL18bsrxmvn_4x4_kernelILj128ELj64EfliDF16_DF16_fEEvT3_20rocsparse_direction_NS_24const_host_device_scalarIT1_EES1_PKS1_PKT2_SA_S7_PKT4_PKT5_S5_PT6_21rocsparse_index_base_b
	.p2align	8
	.type	_ZN9rocsparseL18bsrxmvn_4x4_kernelILj128ELj64EfliDF16_DF16_fEEvT3_20rocsparse_direction_NS_24const_host_device_scalarIT1_EES1_PKS1_PKT2_SA_S7_PKT4_PKT5_S5_PT6_21rocsparse_index_base_b,@function
_ZN9rocsparseL18bsrxmvn_4x4_kernelILj128ELj64EfliDF16_DF16_fEEvT3_20rocsparse_direction_NS_24const_host_device_scalarIT1_EES1_PKS1_PKT2_SA_S7_PKT4_PKT5_S5_PT6_21rocsparse_index_base_b: ; @_ZN9rocsparseL18bsrxmvn_4x4_kernelILj128ELj64EfliDF16_DF16_fEEvT3_20rocsparse_direction_NS_24const_host_device_scalarIT1_EES1_PKS1_PKT2_SA_S7_PKT4_PKT5_S5_PT6_21rocsparse_index_base_b
; %bb.0:
	s_load_dwordx2 s[20:21], s[4:5], 0x58
	s_load_dwordx2 s[16:17], s[4:5], 0x8
	s_load_dwordx2 s[18:19], s[4:5], 0x48
	s_waitcnt lgkmcnt(0)
	s_bitcmp1_b32 s21, 0
	s_cselect_b64 s[2:3], -1, 0
	s_xor_b64 s[0:1], s[2:3], -1
	s_and_b64 vcc, exec, s[2:3]
	s_cbranch_vccnz .LBB99_2
; %bb.1:
	s_load_dword s16, s[16:17], 0x0
.LBB99_2:
	s_andn2_b64 vcc, exec, s[0:1]
	s_cbranch_vccnz .LBB99_4
; %bb.3:
	s_load_dword s18, s[18:19], 0x0
.LBB99_4:
	s_waitcnt lgkmcnt(0)
	v_cmp_neq_f32_e64 s[0:1], s16, 0
	v_cmp_neq_f32_e64 s[2:3], s18, 1.0
	s_or_b64 s[0:1], s[0:1], s[2:3]
	s_andn2_b64 vcc, exec, s[0:1]
	s_cbranch_vccnz .LBB99_10
; %bb.5:
	s_load_dwordx2 s[8:9], s[4:5], 0x18
	s_load_dwordx2 s[0:1], s[4:5], 0x0
	v_lshrrev_b32_e32 v1, 6, v0
	v_lshl_or_b32 v20, s6, 1, v1
	s_mov_b64 s[2:3], 0
	s_waitcnt lgkmcnt(0)
	s_cmp_lg_u64 s[8:9], 0
	s_cbranch_scc0 .LBB99_11
; %bb.6:
	s_load_dword s6, s[4:5], 0x10
                                        ; implicit-def: $vgpr1
	s_waitcnt lgkmcnt(0)
	v_cmp_gt_i32_e32 vcc, s6, v20
	s_and_saveexec_b64 s[6:7], vcc
	s_xor_b64 s[6:7], exec, s[6:7]
	s_cbranch_execz .LBB99_8
; %bb.7:
	v_ashrrev_i32_e32 v21, 31, v20
	v_lshlrev_b64 v[2:3], 2, v[20:21]
	v_mov_b32_e32 v1, s9
	v_add_co_u32_e32 v2, vcc, s8, v2
	v_addc_co_u32_e32 v3, vcc, v1, v3, vcc
	global_load_dword v1, v[2:3], off
	s_mov_b64 s[2:3], exec
	s_waitcnt vmcnt(0)
	v_subrev_u32_e32 v1, s20, v1
.LBB99_8:
	s_or_b64 exec, exec, s[6:7]
	s_branch .LBB99_12
.LBB99_9:
	v_cmp_gt_i32_e32 vcc, s0, v20
	s_andn2_b64 s[2:3], s[2:3], exec
	s_and_b64 s[6:7], vcc, exec
	s_or_b64 s[2:3], s[2:3], s[6:7]
	s_and_saveexec_b64 s[6:7], s[2:3]
	s_cbranch_execnz .LBB99_13
.LBB99_10:
	s_endpgm
.LBB99_11:
                                        ; implicit-def: $vgpr1
	s_cbranch_execnz .LBB99_9
.LBB99_12:
	v_mov_b32_e32 v20, v1
	s_and_saveexec_b64 s[6:7], s[2:3]
	s_cbranch_execz .LBB99_10
.LBB99_13:
	s_load_dwordx8 s[8:15], s[4:5], 0x20
	v_ashrrev_i32_e32 v21, 31, v20
	v_lshlrev_b64 v[2:3], 3, v[20:21]
	v_and_b32_e32 v22, 63, v0
	s_load_dwordx2 s[6:7], s[4:5], 0x40
	s_waitcnt lgkmcnt(0)
	v_mov_b32_e32 v1, s9
	v_add_co_u32_e32 v4, vcc, s8, v2
	v_addc_co_u32_e32 v5, vcc, v1, v3, vcc
	v_add_co_u32_e32 v1, vcc, 8, v4
	global_load_dwordx2 v[34:35], v[4:5], off
	v_addc_co_u32_e32 v4, vcc, 0, v5, vcc
	v_mov_b32_e32 v5, s11
	v_add_co_u32_e32 v2, vcc, s10, v2
	s_cmp_eq_u64 s[10:11], 0
	v_addc_co_u32_e32 v3, vcc, v5, v3, vcc
	s_cselect_b64 vcc, -1, 0
	v_cndmask_b32_e32 v3, v3, v4, vcc
	v_cndmask_b32_e32 v2, v2, v1, vcc
	global_load_dwordx2 v[2:3], v[2:3], off
	v_mov_b32_e32 v4, s15
	s_mov_b32 s17, 0
	v_mov_b32_e32 v31, 0
	s_cmp_eq_u32 s1, 1
	s_waitcnt vmcnt(1)
	v_subrev_co_u32_e32 v0, vcc, s20, v34
	v_subbrev_co_u32_e32 v1, vcc, 0, v35, vcc
	v_add_co_u32_e32 v24, vcc, v0, v22
	v_addc_co_u32_e32 v25, vcc, 0, v1, vcc
	v_lshlrev_b64 v[0:1], 5, v[24:25]
	s_waitcnt vmcnt(0)
	v_subrev_co_u32_e32 v26, vcc, s20, v2
	v_subbrev_co_u32_e32 v27, vcc, 0, v3, vcc
	v_add_co_u32_e32 v28, vcc, s14, v0
	v_addc_co_u32_e32 v29, vcc, v4, v1, vcc
	v_cmp_lt_i64_e64 s[0:1], v[24:25], v[26:27]
	s_cbranch_scc1 .LBB99_25
; %bb.14:
	v_mov_b32_e32 v30, 0
	v_mov_b32_e32 v33, 0
	;; [unrolled: 1-line block ×3, first 2 shown]
	s_and_saveexec_b64 s[8:9], s[0:1]
	s_cbranch_execz .LBB99_24
; %bb.15:
	v_or_b32_e32 v0, 64, v22
	v_mov_b32_e32 v1, s17
	v_subrev_co_u32_e32 v0, vcc, s20, v0
	v_subb_co_u32_e32 v1, vcc, 0, v1, vcc
	v_add_co_u32_e32 v0, vcc, v0, v34
	v_addc_co_u32_e32 v1, vcc, v1, v35, vcc
	v_cmp_gt_i64_e32 vcc, v[0:1], v[26:27]
	v_cndmask_b32_e32 v1, v27, v1, vcc
	v_cndmask_b32_e32 v0, v26, v0, vcc
	v_mov_b32_e32 v4, s17
	v_sub_co_u32_e32 v5, vcc, s20, v22
	v_not_b32_e32 v3, v34
	v_subbrev_co_u32_e32 v4, vcc, 0, v4, vcc
	v_not_b32_e32 v2, v35
	v_add_co_u32_e32 v3, vcc, v5, v3
	v_addc_co_u32_e32 v2, vcc, v4, v2, vcc
	v_add_co_u32_e32 v0, vcc, v3, v0
	v_addc_co_u32_e32 v1, vcc, v2, v1, vcc
	v_lshrrev_b32_e32 v2, 6, v0
	v_add_u32_e32 v2, 1, v2
	v_and_b32_e32 v2, 3, v2
	s_mov_b32 s2, s17
	s_mov_b32 s3, s17
	v_cmp_ne_u32_e32 vcc, 0, v2
	v_pk_mov_b32 v[32:33], s[2:3], s[2:3] op_sel:[0,1]
	v_pk_mov_b32 v[30:31], s[2:3], s[2:3] op_sel:[0,1]
	;; [unrolled: 1-line block ×4, first 2 shown]
	s_and_saveexec_b64 s[10:11], vcc
	s_cbranch_execz .LBB99_19
; %bb.16:
	v_lshlrev_b64 v[4:5], 2, v[24:25]
	v_mov_b32_e32 v3, 0
	v_mov_b32_e32 v6, s13
	v_add_co_u32_e32 v4, vcc, s12, v4
	v_addc_co_u32_e32 v5, vcc, v6, v5, vcc
	v_lshlrev_b32_e32 v2, 3, v2
	s_mov_b64 s[14:15], 0
	v_mov_b32_e32 v6, s7
	s_movk_i32 s19, 0x800
	v_pk_mov_b32 v[38:39], v[28:29], v[28:29] op_sel:[0,1]
	v_pk_mov_b32 v[36:37], v[24:25], v[24:25] op_sel:[0,1]
	v_mov_b32_e32 v30, v3
	v_mov_b32_e32 v31, v3
	;; [unrolled: 1-line block ×4, first 2 shown]
.LBB99_17:                              ; =>This Inner Loop Header: Depth=1
	global_load_dword v7, v[4:5], off
	global_load_dwordx4 v[8:11], v[38:39], off
	global_load_dwordx4 v[12:15], v[38:39], off offset:16
	v_add_co_u32_e64 v36, s[2:3], 64, v36
	v_addc_co_u32_e64 v37, s[2:3], 0, v37, s[2:3]
	v_add_co_u32_e64 v2, s[2:3], -8, v2
	v_addc_co_u32_e64 v3, s[2:3], -1, v3, s[2:3]
	v_cmp_eq_u64_e64 s[2:3], 0, v[2:3]
	s_or_b64 s[14:15], s[2:3], s[14:15]
	s_waitcnt vmcnt(2)
	v_subrev_u32_e32 v7, s20, v7
	v_lshlrev_b32_e32 v16, 2, v7
	v_ashrrev_i32_e32 v17, 31, v16
	v_lshlrev_b64 v[16:17], 1, v[16:17]
	v_add_co_u32_e32 v16, vcc, s6, v16
	v_addc_co_u32_e32 v17, vcc, v6, v17, vcc
	global_load_dwordx2 v[16:17], v[16:17], off
	s_waitcnt vmcnt(2)
	v_cvt_f32_f16_e32 v41, v10
	v_cvt_f32_f16_e32 v40, v8
	v_cvt_f32_f16_sdwa v43, v10 dst_sel:DWORD dst_unused:UNUSED_PAD src0_sel:WORD_1
	v_cvt_f32_f16_e32 v45, v11
	v_cvt_f32_f16_sdwa v19, v11 dst_sel:DWORD dst_unused:UNUSED_PAD src0_sel:WORD_1
	s_waitcnt vmcnt(1)
	v_cvt_f32_f16_e32 v11, v14
	v_cvt_f32_f16_e32 v10, v12
	v_cvt_f32_f16_sdwa v46, v12 dst_sel:DWORD dst_unused:UNUSED_PAD src0_sel:WORD_1
	v_cvt_f32_f16_sdwa v42, v8 dst_sel:DWORD dst_unused:UNUSED_PAD src0_sel:WORD_1
	;; [unrolled: 1-line block ×3, first 2 shown]
	v_cvt_f32_f16_e32 v44, v9
	v_cvt_f32_f16_e32 v49, v15
	;; [unrolled: 1-line block ×3, first 2 shown]
	v_cvt_f32_f16_sdwa v18, v9 dst_sel:DWORD dst_unused:UNUSED_PAD src0_sel:WORD_1
	v_cvt_f32_f16_sdwa v8, v13 dst_sel:DWORD dst_unused:UNUSED_PAD src0_sel:WORD_1
	;; [unrolled: 1-line block ×3, first 2 shown]
	v_add_co_u32_e32 v38, vcc, s19, v38
	v_addc_co_u32_e32 v39, vcc, 0, v39, vcc
	v_add_co_u32_e32 v4, vcc, 0x100, v4
	v_addc_co_u32_e32 v5, vcc, 0, v5, vcc
	s_waitcnt vmcnt(0)
	v_cvt_f32_f16_e32 v12, v16
	v_cvt_f32_f16_sdwa v14, v16 dst_sel:DWORD dst_unused:UNUSED_PAD src0_sel:WORD_1
	v_cvt_f32_f16_e32 v16, v17
	v_cvt_f32_f16_sdwa v50, v17 dst_sel:DWORD dst_unused:UNUSED_PAD src0_sel:WORD_1
	v_pk_fma_f32 v[32:33], v[40:41], v[12:13], v[32:33] op_sel_hi:[1,0,1]
	v_pk_fma_f32 v[10:11], v[10:11], v[12:13], v[30:31] op_sel_hi:[1,0,1]
	v_pk_fma_f32 v[12:13], v[42:43], v[14:15], v[32:33] op_sel_hi:[1,0,1]
	v_pk_fma_f32 v[10:11], v[46:47], v[14:15], v[10:11] op_sel_hi:[1,0,1]
	v_pk_fma_f32 v[12:13], v[44:45], v[16:17], v[12:13] op_sel_hi:[1,0,1]
	v_pk_fma_f32 v[10:11], v[48:49], v[16:17], v[10:11] op_sel_hi:[1,0,1]
	v_pk_fma_f32 v[32:33], v[18:19], v[50:51], v[12:13] op_sel_hi:[1,0,1]
	v_pk_fma_f32 v[30:31], v[8:9], v[50:51], v[10:11] op_sel_hi:[1,0,1]
	s_andn2_b64 exec, exec, s[14:15]
	s_cbranch_execnz .LBB99_17
; %bb.18:
	s_or_b64 exec, exec, s[14:15]
.LBB99_19:
	s_or_b64 exec, exec, s[10:11]
	s_mov_b64 s[2:3], 0xbf
	v_cmp_lt_u64_e32 vcc, s[2:3], v[0:1]
	s_and_saveexec_b64 s[10:11], vcc
	s_cbranch_execz .LBB99_23
; %bb.20:
	v_lshlrev_b64 v[0:1], 2, v[36:37]
	v_mov_b32_e32 v2, s13
	v_add_co_u32_e32 v0, vcc, s12, v0
	v_addc_co_u32_e32 v1, vcc, v1, v2, vcc
	v_add_co_u32_e32 v40, vcc, 0x200, v0
	v_addc_co_u32_e32 v41, vcc, 0, v1, vcc
	s_mov_b64 s[14:15], 0
	v_mov_b32_e32 v21, s7
	s_movk_i32 s19, 0x1000
.LBB99_21:                              ; =>This Inner Loop Header: Depth=1
	global_load_dword v23, v[40:41], off offset:-512
	global_load_dwordx4 v[4:7], v[38:39], off
	global_load_dwordx4 v[16:19], v[38:39], off offset:16
	global_load_dword v66, v[40:41], off offset:-256
	global_load_dword v67, v[40:41], off
	global_load_dword v68, v[40:41], off offset:256
	global_load_dwordx4 v[42:45], v[38:39], off offset:2048
	global_load_dwordx4 v[12:15], v[38:39], off offset:2064
	v_add_co_u32_e32 v54, vcc, s19, v38
	v_addc_co_u32_e32 v55, vcc, 0, v39, vcc
	v_add_co_u32_e32 v36, vcc, 0x100, v36
	v_addc_co_u32_e32 v37, vcc, 0, v37, vcc
	;; [unrolled: 2-line block ×4, first 2 shown]
	global_load_dwordx4 v[8:11], v[54:55], off
	global_load_dwordx4 v[0:3], v[54:55], off offset:16
	global_load_dwordx4 v[46:49], v[54:55], off offset:2048
	;; [unrolled: 1-line block ×3, first 2 shown]
	v_cmp_ge_i64_e64 s[2:3], v[36:37], v[26:27]
	s_or_b64 s[14:15], s[2:3], s[14:15]
	s_waitcnt vmcnt(11)
	v_subrev_u32_e32 v23, s20, v23
	s_waitcnt vmcnt(10)
	v_cvt_f32_f16_e32 v57, v6
	v_cvt_f32_f16_e32 v56, v4
	s_waitcnt vmcnt(8)
	v_subrev_u32_e32 v69, s20, v66
	v_lshlrev_b32_e32 v70, 2, v69
	s_waitcnt vmcnt(6)
	v_subrev_u32_e32 v73, s20, v68
	v_lshlrev_b32_e32 v68, 2, v23
	v_ashrrev_i32_e32 v69, 31, v68
	v_subrev_u32_e32 v71, s20, v67
	v_lshlrev_b64 v[68:69], 1, v[68:69]
	v_lshlrev_b32_e32 v72, 2, v71
	v_ashrrev_i32_e32 v71, 31, v70
	v_add_co_u32_e32 v68, vcc, s6, v68
	v_lshlrev_b64 v[70:71], 1, v[70:71]
	v_addc_co_u32_e32 v69, vcc, v21, v69, vcc
	v_lshlrev_b32_e32 v74, 2, v73
	v_ashrrev_i32_e32 v73, 31, v72
	v_add_co_u32_e32 v70, vcc, s6, v70
	v_lshlrev_b64 v[72:73], 1, v[72:73]
	v_addc_co_u32_e32 v71, vcc, v21, v71, vcc
	v_ashrrev_i32_e32 v75, 31, v74
	v_add_co_u32_e32 v72, vcc, s6, v72
	v_lshlrev_b64 v[74:75], 1, v[74:75]
	v_addc_co_u32_e32 v73, vcc, v21, v73, vcc
	v_add_co_u32_e32 v74, vcc, s6, v74
	v_addc_co_u32_e32 v75, vcc, v21, v75, vcc
	global_load_dwordx2 v[76:77], v[68:69], off
	global_load_dwordx2 v[78:79], v[70:71], off
	;; [unrolled: 1-line block ×4, first 2 shown]
	v_cvt_f32_f16_sdwa v59, v6 dst_sel:DWORD dst_unused:UNUSED_PAD src0_sel:WORD_1
	v_cvt_f32_f16_e32 v61, v7
	v_cvt_f32_f16_sdwa v55, v7 dst_sel:DWORD dst_unused:UNUSED_PAD src0_sel:WORD_1
	v_cvt_f32_f16_e32 v7, v18
	v_cvt_f32_f16_e32 v6, v16
	s_waitcnt vmcnt(6)
	v_cvt_f32_f16_e32 v88, v0
	v_cvt_f32_f16_sdwa v90, v0 dst_sel:DWORD dst_unused:UNUSED_PAD src0_sel:WORD_1
	s_waitcnt vmcnt(4)
	v_cvt_f32_f16_e32 v0, v50
	v_cvt_f32_f16_sdwa v94, v50 dst_sel:DWORD dst_unused:UNUSED_PAD src0_sel:WORD_1
	v_cvt_f32_f16_sdwa v58, v4 dst_sel:DWORD dst_unused:UNUSED_PAD src0_sel:WORD_1
	;; [unrolled: 1-line block ×4, first 2 shown]
	v_cvt_f32_f16_e32 v60, v5
	v_cvt_f32_f16_e32 v65, v19
	;; [unrolled: 1-line block ×3, first 2 shown]
	v_cvt_f32_f16_sdwa v54, v5 dst_sel:DWORD dst_unused:UNUSED_PAD src0_sel:WORD_1
	v_cvt_f32_f16_sdwa v4, v17 dst_sel:DWORD dst_unused:UNUSED_PAD src0_sel:WORD_1
	;; [unrolled: 1-line block ×3, first 2 shown]
	v_cvt_f32_f16_e32 v17, v44
	v_cvt_f32_f16_e32 v16, v42
	v_cvt_f32_f16_sdwa v19, v44 dst_sel:DWORD dst_unused:UNUSED_PAD src0_sel:WORD_1
	v_cvt_f32_f16_sdwa v18, v42 dst_sel:DWORD dst_unused:UNUSED_PAD src0_sel:WORD_1
	v_cvt_f32_f16_e32 v66, v43
	v_cvt_f32_f16_sdwa v44, v43 dst_sel:DWORD dst_unused:UNUSED_PAD src0_sel:WORD_1
	v_cvt_f32_f16_e32 v43, v14
	v_cvt_f32_f16_e32 v42, v12
	v_cvt_f32_f16_sdwa v69, v14 dst_sel:DWORD dst_unused:UNUSED_PAD src0_sel:WORD_1
	v_cvt_f32_f16_sdwa v68, v12 dst_sel:DWORD dst_unused:UNUSED_PAD src0_sel:WORD_1
	v_cvt_f32_f16_e32 v67, v45
	v_cvt_f32_f16_e32 v71, v15
	;; [unrolled: 1-line block ×3, first 2 shown]
	v_cvt_f32_f16_sdwa v45, v45 dst_sel:DWORD dst_unused:UNUSED_PAD src0_sel:WORD_1
	v_cvt_f32_f16_sdwa v15, v15 dst_sel:DWORD dst_unused:UNUSED_PAD src0_sel:WORD_1
	v_cvt_f32_f16_sdwa v14, v13 dst_sel:DWORD dst_unused:UNUSED_PAD src0_sel:WORD_1
	v_cvt_f32_f16_e32 v73, v10
	v_cvt_f32_f16_e32 v72, v8
	v_cvt_f32_f16_e32 v89, v2
	v_cvt_f32_f16_sdwa v75, v10 dst_sel:DWORD dst_unused:UNUSED_PAD src0_sel:WORD_1
	v_cvt_f32_f16_sdwa v74, v8 dst_sel:DWORD dst_unused:UNUSED_PAD src0_sel:WORD_1
	;; [unrolled: 1-line block ×3, first 2 shown]
	v_cvt_f32_f16_e32 v85, v11
	v_cvt_f32_f16_e32 v84, v9
	;; [unrolled: 1-line block ×4, first 2 shown]
	v_cvt_f32_f16_sdwa v11, v11 dst_sel:DWORD dst_unused:UNUSED_PAD src0_sel:WORD_1
	v_cvt_f32_f16_sdwa v10, v9 dst_sel:DWORD dst_unused:UNUSED_PAD src0_sel:WORD_1
	;; [unrolled: 1-line block ×4, first 2 shown]
	v_cvt_f32_f16_e32 v9, v48
	v_cvt_f32_f16_e32 v8, v46
	;; [unrolled: 1-line block ×3, first 2 shown]
	v_cvt_f32_f16_sdwa v87, v48 dst_sel:DWORD dst_unused:UNUSED_PAD src0_sel:WORD_1
	v_cvt_f32_f16_sdwa v86, v46 dst_sel:DWORD dst_unused:UNUSED_PAD src0_sel:WORD_1
	;; [unrolled: 1-line block ×3, first 2 shown]
	v_cvt_f32_f16_e32 v12, v47
	v_cvt_f32_f16_e32 v13, v49
	v_cvt_f32_f16_sdwa v48, v47 dst_sel:DWORD dst_unused:UNUSED_PAD src0_sel:WORD_1
	v_cvt_f32_f16_e32 v46, v51
	v_cvt_f32_f16_e32 v47, v53
	v_cvt_f32_f16_sdwa v49, v49 dst_sel:DWORD dst_unused:UNUSED_PAD src0_sel:WORD_1
	v_cvt_f32_f16_sdwa v53, v53 dst_sel:DWORD dst_unused:UNUSED_PAD src0_sel:WORD_1
	;; [unrolled: 1-line block ×3, first 2 shown]
	s_waitcnt vmcnt(3)
	v_cvt_f32_f16_e32 v50, v76
	v_cvt_f32_f16_sdwa v76, v76 dst_sel:DWORD dst_unused:UNUSED_PAD src0_sel:WORD_1
	v_cvt_f32_f16_e32 v96, v77
	v_cvt_f32_f16_sdwa v98, v77 dst_sel:DWORD dst_unused:UNUSED_PAD src0_sel:WORD_1
	v_pk_fma_f32 v[32:33], v[56:57], v[50:51], v[32:33] op_sel_hi:[1,0,1]
	s_waitcnt vmcnt(2)
	v_cvt_f32_f16_e32 v56, v78
	v_pk_fma_f32 v[6:7], v[6:7], v[50:51], v[30:31] op_sel_hi:[1,0,1]
	v_cvt_f32_f16_sdwa v30, v78 dst_sel:DWORD dst_unused:UNUSED_PAD src0_sel:WORD_1
	v_pk_fma_f32 v[32:33], v[58:59], v[76:77], v[32:33] op_sel_hi:[1,0,1]
	v_pk_fma_f32 v[6:7], v[62:63], v[76:77], v[6:7] op_sel_hi:[1,0,1]
	v_cvt_f32_f16_e32 v50, v79
	v_pk_fma_f32 v[32:33], v[60:61], v[96:97], v[32:33] op_sel_hi:[1,0,1]
	v_pk_fma_f32 v[6:7], v[64:65], v[96:97], v[6:7] op_sel_hi:[1,0,1]
	v_cvt_f32_f16_sdwa v78, v79 dst_sel:DWORD dst_unused:UNUSED_PAD src0_sel:WORD_1
	v_pk_fma_f32 v[32:33], v[54:55], v[98:99], v[32:33] op_sel_hi:[1,0,1]
	v_pk_fma_f32 v[4:5], v[4:5], v[98:99], v[6:7] op_sel_hi:[1,0,1]
	s_waitcnt vmcnt(1)
	v_cvt_f32_f16_e32 v58, v80
	v_pk_fma_f32 v[6:7], v[16:17], v[56:57], v[32:33] op_sel_hi:[1,0,1]
	v_pk_fma_f32 v[4:5], v[42:43], v[56:57], v[4:5] op_sel_hi:[1,0,1]
	v_cvt_f32_f16_sdwa v62, v80 dst_sel:DWORD dst_unused:UNUSED_PAD src0_sel:WORD_1
	v_pk_fma_f32 v[6:7], v[18:19], v[30:31], v[6:7] op_sel_hi:[1,0,1]
	v_pk_fma_f32 v[4:5], v[68:69], v[30:31], v[4:5] op_sel_hi:[1,0,1]
	v_cvt_f32_f16_e32 v76, v81
	v_pk_fma_f32 v[6:7], v[66:67], v[50:51], v[6:7] op_sel_hi:[1,0,1]
	v_pk_fma_f32 v[4:5], v[70:71], v[50:51], v[4:5] op_sel_hi:[1,0,1]
	v_cvt_f32_f16_sdwa v80, v81 dst_sel:DWORD dst_unused:UNUSED_PAD src0_sel:WORD_1
	v_pk_fma_f32 v[6:7], v[44:45], v[78:79], v[6:7] op_sel_hi:[1,0,1]
	v_pk_fma_f32 v[4:5], v[14:15], v[78:79], v[4:5] op_sel_hi:[1,0,1]
	s_waitcnt vmcnt(0)
	v_cvt_f32_f16_e32 v60, v82
	v_pk_fma_f32 v[6:7], v[72:73], v[58:59], v[6:7] op_sel_hi:[1,0,1]
	v_pk_fma_f32 v[4:5], v[88:89], v[58:59], v[4:5] op_sel_hi:[1,0,1]
	v_cvt_f32_f16_sdwa v64, v82 dst_sel:DWORD dst_unused:UNUSED_PAD src0_sel:WORD_1
	v_pk_fma_f32 v[6:7], v[74:75], v[62:63], v[6:7] op_sel_hi:[1,0,1]
	v_pk_fma_f32 v[4:5], v[90:91], v[62:63], v[4:5] op_sel_hi:[1,0,1]
	v_cvt_f32_f16_e32 v82, v83
	v_pk_fma_f32 v[6:7], v[84:85], v[76:77], v[6:7] op_sel_hi:[1,0,1]
	v_pk_fma_f32 v[4:5], v[92:93], v[76:77], v[4:5] op_sel_hi:[1,0,1]
	v_cvt_f32_f16_sdwa v96, v83 dst_sel:DWORD dst_unused:UNUSED_PAD src0_sel:WORD_1
	v_pk_fma_f32 v[6:7], v[10:11], v[80:81], v[6:7] op_sel_hi:[1,0,1]
	v_pk_fma_f32 v[2:3], v[2:3], v[80:81], v[4:5] op_sel_hi:[1,0,1]
	;; [unrolled: 1-line block ×10, first 2 shown]
	s_andn2_b64 exec, exec, s[14:15]
	s_cbranch_execnz .LBB99_21
; %bb.22:
	s_or_b64 exec, exec, s[14:15]
.LBB99_23:
	s_or_b64 exec, exec, s[10:11]
.LBB99_24:
	s_or_b64 exec, exec, s[8:9]
	s_cbranch_execz .LBB99_26
	s_branch .LBB99_37
.LBB99_25:
                                        ; implicit-def: $vgpr31
                                        ; implicit-def: $vgpr33
.LBB99_26:
	s_mov_b32 s8, 0
	v_mov_b32_e32 v31, 0
	v_mov_b32_e32 v30, 0
	;; [unrolled: 1-line block ×4, first 2 shown]
	s_and_saveexec_b64 s[2:3], s[0:1]
	s_cbranch_execz .LBB99_36
; %bb.27:
	v_or_b32_e32 v0, 64, v22
	v_mov_b32_e32 v1, s17
	v_subrev_co_u32_e32 v0, vcc, s20, v0
	v_subb_co_u32_e32 v1, vcc, 0, v1, vcc
	v_add_co_u32_e32 v0, vcc, v0, v34
	v_addc_co_u32_e32 v1, vcc, v1, v35, vcc
	v_cmp_gt_i64_e32 vcc, v[0:1], v[26:27]
	v_cndmask_b32_e32 v1, v27, v1, vcc
	v_cndmask_b32_e32 v0, v26, v0, vcc
	v_mov_b32_e32 v4, s17
	v_sub_co_u32_e32 v5, vcc, s20, v22
	v_not_b32_e32 v3, v34
	v_subbrev_co_u32_e32 v4, vcc, 0, v4, vcc
	v_not_b32_e32 v2, v35
	v_add_co_u32_e32 v3, vcc, v5, v3
	v_addc_co_u32_e32 v2, vcc, v4, v2, vcc
	v_add_co_u32_e32 v0, vcc, v3, v0
	v_addc_co_u32_e32 v1, vcc, v2, v1, vcc
	v_lshrrev_b32_e32 v2, 6, v0
	v_add_u32_e32 v2, 1, v2
	v_and_b32_e32 v2, 3, v2
	s_mov_b32 s9, s8
	v_cmp_ne_u32_e32 vcc, 0, v2
	v_pk_mov_b32 v[32:33], s[8:9], s[8:9] op_sel:[0,1]
	v_pk_mov_b32 v[30:31], s[8:9], s[8:9] op_sel:[0,1]
	s_and_saveexec_b64 s[8:9], vcc
	s_cbranch_execz .LBB99_31
; %bb.28:
	v_lshlrev_b64 v[4:5], 2, v[24:25]
	v_mov_b32_e32 v3, 0
	v_mov_b32_e32 v6, s13
	v_add_co_u32_e32 v4, vcc, s12, v4
	v_addc_co_u32_e32 v5, vcc, v6, v5, vcc
	v_lshlrev_b32_e32 v2, 3, v2
	s_mov_b64 s[10:11], 0
	v_mov_b32_e32 v6, s7
	s_movk_i32 s14, 0x800
	v_mov_b32_e32 v30, v3
	v_mov_b32_e32 v31, v3
	;; [unrolled: 1-line block ×4, first 2 shown]
.LBB99_29:                              ; =>This Inner Loop Header: Depth=1
	global_load_dword v7, v[4:5], off
	global_load_dwordx4 v[8:11], v[28:29], off
	v_add_co_u32_e64 v24, s[0:1], 64, v24
	v_addc_co_u32_e64 v25, s[0:1], 0, v25, s[0:1]
	v_add_co_u32_e64 v2, s[0:1], -8, v2
	v_addc_co_u32_e64 v3, s[0:1], -1, v3, s[0:1]
	v_cmp_eq_u64_e64 s[0:1], 0, v[2:3]
	s_or_b64 s[10:11], s[0:1], s[10:11]
	s_waitcnt vmcnt(1)
	v_subrev_u32_e32 v7, s20, v7
	v_lshlrev_b32_e32 v12, 2, v7
	v_ashrrev_i32_e32 v13, 31, v12
	v_lshlrev_b64 v[12:13], 1, v[12:13]
	v_add_co_u32_e32 v16, vcc, s6, v12
	v_addc_co_u32_e32 v17, vcc, v6, v13, vcc
	global_load_dwordx2 v[18:19], v[16:17], off
	global_load_dwordx4 v[12:15], v[28:29], off offset:16
	s_waitcnt vmcnt(2)
	v_cvt_f32_f16_sdwa v17, v8 dst_sel:DWORD dst_unused:UNUSED_PAD src0_sel:WORD_1
	v_cvt_f32_f16_e32 v16, v8
	v_cvt_f32_f16_sdwa v35, v10 dst_sel:DWORD dst_unused:UNUSED_PAD src0_sel:WORD_1
	v_cvt_f32_f16_e32 v34, v10
	;; [unrolled: 2-line block ×4, first 2 shown]
	v_add_co_u32_e32 v28, vcc, s14, v28
	v_addc_co_u32_e32 v29, vcc, 0, v29, vcc
	v_add_co_u32_e32 v4, vcc, 0x100, v4
	v_addc_co_u32_e32 v5, vcc, 0, v5, vcc
	s_waitcnt vmcnt(1)
	v_cvt_f32_f16_e32 v42, v19
	s_waitcnt vmcnt(0)
	v_cvt_f32_f16_sdwa v37, v12 dst_sel:DWORD dst_unused:UNUSED_PAD src0_sel:WORD_1
	v_cvt_f32_f16_e32 v36, v12
	v_cvt_f32_f16_sdwa v11, v13 dst_sel:DWORD dst_unused:UNUSED_PAD src0_sel:WORD_1
	v_cvt_f32_f16_e32 v10, v13
	;; [unrolled: 2-line block ×3, first 2 shown]
	v_cvt_f32_f16_e32 v14, v18
	v_cvt_f32_f16_sdwa v18, v18 dst_sel:DWORD dst_unused:UNUSED_PAD src0_sel:WORD_1
	v_cvt_f32_f16_sdwa v41, v15 dst_sel:DWORD dst_unused:UNUSED_PAD src0_sel:WORD_1
	v_cvt_f32_f16_e32 v40, v15
	v_cvt_f32_f16_sdwa v44, v19 dst_sel:DWORD dst_unused:UNUSED_PAD src0_sel:WORD_1
	v_pk_fma_f32 v[16:17], v[16:17], v[14:15], v[32:33] op_sel_hi:[1,0,1]
	v_pk_fma_f32 v[14:15], v[38:39], v[14:15], v[30:31] op_sel_hi:[1,0,1]
	;; [unrolled: 1-line block ×8, first 2 shown]
	s_andn2_b64 exec, exec, s[10:11]
	s_cbranch_execnz .LBB99_29
; %bb.30:
	s_or_b64 exec, exec, s[10:11]
.LBB99_31:
	s_or_b64 exec, exec, s[8:9]
	s_mov_b64 s[0:1], 0xbf
	v_cmp_lt_u64_e32 vcc, s[0:1], v[0:1]
	s_and_saveexec_b64 s[8:9], vcc
	s_cbranch_execz .LBB99_35
; %bb.32:
	v_lshlrev_b64 v[0:1], 2, v[24:25]
	v_mov_b32_e32 v2, s13
	v_add_co_u32_e32 v0, vcc, s12, v0
	v_addc_co_u32_e32 v1, vcc, v1, v2, vcc
	v_add_co_u32_e32 v16, vcc, 0x200, v0
	v_addc_co_u32_e32 v17, vcc, 0, v1, vcc
	s_mov_b64 s[10:11], 0
	v_mov_b32_e32 v18, s7
	s_movk_i32 s7, 0x1000
.LBB99_33:                              ; =>This Inner Loop Header: Depth=1
	global_load_dwordx4 v[0:3], v[28:29], off
	global_load_dwordx4 v[4:7], v[28:29], off offset:16
	global_load_dwordx4 v[8:11], v[28:29], off offset:2048
	;; [unrolled: 1-line block ×3, first 2 shown]
	global_load_dword v19, v[16:17], off offset:-512
	global_load_dword v21, v[16:17], off offset:-256
	global_load_dword v23, v[16:17], off
	global_load_dword v66, v[16:17], off offset:256
	v_add_co_u32_e32 v50, vcc, s7, v28
	v_addc_co_u32_e32 v51, vcc, 0, v29, vcc
	v_add_co_u32_e32 v24, vcc, 0x100, v24
	v_addc_co_u32_e32 v25, vcc, 0, v25, vcc
	global_load_dwordx4 v[34:37], v[50:51], off
	global_load_dwordx4 v[38:41], v[50:51], off offset:16
	global_load_dwordx4 v[42:45], v[50:51], off offset:2048
	;; [unrolled: 1-line block ×3, first 2 shown]
	v_add_co_u32_e32 v16, vcc, 0x400, v16
	v_addc_co_u32_e32 v17, vcc, 0, v17, vcc
	v_add_co_u32_e32 v28, vcc, 0x2000, v28
	v_addc_co_u32_e32 v29, vcc, 0, v29, vcc
	v_cmp_ge_i64_e64 s[0:1], v[24:25], v[26:27]
	s_or_b64 s[10:11], s[0:1], s[10:11]
	s_waitcnt vmcnt(11)
	v_cvt_f32_f16_sdwa v51, v0 dst_sel:DWORD dst_unused:UNUSED_PAD src0_sel:WORD_1
	v_cvt_f32_f16_e32 v50, v0
	v_cvt_f32_f16_sdwa v53, v2 dst_sel:DWORD dst_unused:UNUSED_PAD src0_sel:WORD_1
	v_cvt_f32_f16_e32 v52, v2
	s_waitcnt vmcnt(10)
	v_cvt_f32_f16_sdwa v55, v4 dst_sel:DWORD dst_unused:UNUSED_PAD src0_sel:WORD_1
	v_cvt_f32_f16_e32 v54, v4
	v_cvt_f32_f16_sdwa v57, v1 dst_sel:DWORD dst_unused:UNUSED_PAD src0_sel:WORD_1
	v_cvt_f32_f16_e32 v56, v1
	;; [unrolled: 2-line block ×6, first 2 shown]
	s_waitcnt vmcnt(9)
	v_cvt_f32_f16_sdwa v7, v8 dst_sel:DWORD dst_unused:UNUSED_PAD src0_sel:WORD_1
	v_cvt_f32_f16_e32 v6, v8
	s_waitcnt vmcnt(7)
	v_subrev_u32_e32 v8, s20, v19
	v_lshlrev_b32_e32 v68, 2, v8
	v_cvt_f32_f16_sdwa v61, v10 dst_sel:DWORD dst_unused:UNUSED_PAD src0_sel:WORD_1
	v_cvt_f32_f16_e32 v60, v10
	s_waitcnt vmcnt(6)
	v_subrev_u32_e32 v10, s20, v21
	v_ashrrev_i32_e32 v69, 31, v68
	v_lshlrev_b32_e32 v70, 2, v10
	v_lshlrev_b64 v[68:69], 1, v[68:69]
	v_cvt_f32_f16_sdwa v63, v12 dst_sel:DWORD dst_unused:UNUSED_PAD src0_sel:WORD_1
	v_cvt_f32_f16_e32 v62, v12
	s_waitcnt vmcnt(5)
	v_subrev_u32_e32 v12, s20, v23
	v_ashrrev_i32_e32 v71, 31, v70
	v_add_co_u32_e32 v68, vcc, s6, v68
	v_lshlrev_b32_e32 v72, 2, v12
	v_lshlrev_b64 v[70:71], 1, v[70:71]
	v_addc_co_u32_e32 v69, vcc, v18, v69, vcc
	v_cvt_f32_f16_sdwa v65, v14 dst_sel:DWORD dst_unused:UNUSED_PAD src0_sel:WORD_1
	v_cvt_f32_f16_e32 v64, v14
	s_waitcnt vmcnt(4)
	v_subrev_u32_e32 v14, s20, v66
	v_ashrrev_i32_e32 v73, 31, v72
	v_add_co_u32_e32 v70, vcc, s6, v70
	v_lshlrev_b32_e32 v74, 2, v14
	v_lshlrev_b64 v[72:73], 1, v[72:73]
	v_addc_co_u32_e32 v71, vcc, v18, v71, vcc
	v_ashrrev_i32_e32 v75, 31, v74
	v_add_co_u32_e32 v72, vcc, s6, v72
	v_lshlrev_b64 v[74:75], 1, v[74:75]
	v_addc_co_u32_e32 v73, vcc, v18, v73, vcc
	v_add_co_u32_e32 v74, vcc, s6, v74
	v_addc_co_u32_e32 v75, vcc, v18, v75, vcc
	global_load_dwordx2 v[76:77], v[68:69], off
	global_load_dwordx2 v[78:79], v[70:71], off
	;; [unrolled: 1-line block ×4, first 2 shown]
	v_cvt_f32_f16_sdwa v67, v9 dst_sel:DWORD dst_unused:UNUSED_PAD src0_sel:WORD_1
	v_cvt_f32_f16_e32 v66, v9
	v_cvt_f32_f16_sdwa v9, v11 dst_sel:DWORD dst_unused:UNUSED_PAD src0_sel:WORD_1
	v_cvt_f32_f16_e32 v8, v11
	;; [unrolled: 2-line block ×4, first 2 shown]
	s_waitcnt vmcnt(7)
	v_cvt_f32_f16_e32 v14, v34
	v_cvt_f32_f16_sdwa v15, v34 dst_sel:DWORD dst_unused:UNUSED_PAD src0_sel:WORD_1
	v_cvt_f32_f16_e32 v34, v35
	v_cvt_f32_f16_sdwa v35, v35 dst_sel:DWORD dst_unused:UNUSED_PAD src0_sel:WORD_1
	v_cvt_f32_f16_e32 v68, v36
	v_cvt_f32_f16_sdwa v69, v36 dst_sel:DWORD dst_unused:UNUSED_PAD src0_sel:WORD_1
	v_cvt_f32_f16_e32 v36, v37
	v_cvt_f32_f16_sdwa v37, v37 dst_sel:DWORD dst_unused:UNUSED_PAD src0_sel:WORD_1
	s_waitcnt vmcnt(6)
	v_cvt_f32_f16_e32 v70, v38
	v_cvt_f32_f16_sdwa v71, v38 dst_sel:DWORD dst_unused:UNUSED_PAD src0_sel:WORD_1
	v_cvt_f32_f16_e32 v38, v39
	v_cvt_f32_f16_sdwa v39, v39 dst_sel:DWORD dst_unused:UNUSED_PAD src0_sel:WORD_1
	v_cvt_f32_f16_e32 v72, v40
	v_cvt_f32_f16_sdwa v73, v40 dst_sel:DWORD dst_unused:UNUSED_PAD src0_sel:WORD_1
	v_cvt_f32_f16_e32 v40, v41
	v_cvt_f32_f16_sdwa v41, v41 dst_sel:DWORD dst_unused:UNUSED_PAD src0_sel:WORD_1
	;; [unrolled: 9-line block ×4, first 2 shown]
	s_waitcnt vmcnt(3)
	v_cvt_f32_f16_e32 v90, v76
	v_cvt_f32_f16_sdwa v76, v76 dst_sel:DWORD dst_unused:UNUSED_PAD src0_sel:WORD_1
	v_cvt_f32_f16_e32 v92, v77
	v_cvt_f32_f16_sdwa v94, v77 dst_sel:DWORD dst_unused:UNUSED_PAD src0_sel:WORD_1
	v_pk_fma_f32 v[32:33], v[50:51], v[90:91], v[32:33] op_sel_hi:[1,0,1]
	s_waitcnt vmcnt(2)
	v_cvt_f32_f16_e32 v50, v78
	v_pk_fma_f32 v[30:31], v[56:57], v[90:91], v[30:31] op_sel_hi:[1,0,1]
	v_cvt_f32_f16_sdwa v56, v78 dst_sel:DWORD dst_unused:UNUSED_PAD src0_sel:WORD_1
	v_pk_fma_f32 v[32:33], v[52:53], v[76:77], v[32:33] op_sel_hi:[1,0,1]
	v_pk_fma_f32 v[0:1], v[0:1], v[76:77], v[30:31] op_sel_hi:[1,0,1]
	v_cvt_f32_f16_e32 v78, v79
	v_pk_fma_f32 v[32:33], v[54:55], v[92:93], v[32:33] op_sel_hi:[1,0,1]
	v_pk_fma_f32 v[0:1], v[2:3], v[92:93], v[0:1] op_sel_hi:[1,0,1]
	v_cvt_f32_f16_sdwa v90, v79 dst_sel:DWORD dst_unused:UNUSED_PAD src0_sel:WORD_1
	v_pk_fma_f32 v[4:5], v[4:5], v[94:95], v[32:33] op_sel_hi:[1,0,1]
	v_pk_fma_f32 v[0:1], v[58:59], v[94:95], v[0:1] op_sel_hi:[1,0,1]
	s_waitcnt vmcnt(1)
	v_cvt_f32_f16_e32 v52, v80
	v_pk_fma_f32 v[4:5], v[6:7], v[50:51], v[4:5] op_sel_hi:[1,0,1]
	v_pk_fma_f32 v[0:1], v[66:67], v[50:51], v[0:1] op_sel_hi:[1,0,1]
	v_cvt_f32_f16_sdwa v30, v80 dst_sel:DWORD dst_unused:UNUSED_PAD src0_sel:WORD_1
	v_pk_fma_f32 v[4:5], v[60:61], v[56:57], v[4:5] op_sel_hi:[1,0,1]
	v_pk_fma_f32 v[0:1], v[8:9], v[56:57], v[0:1] op_sel_hi:[1,0,1]
	v_cvt_f32_f16_e32 v76, v81
	v_pk_fma_f32 v[4:5], v[62:63], v[78:79], v[4:5] op_sel_hi:[1,0,1]
	v_pk_fma_f32 v[0:1], v[10:11], v[78:79], v[0:1] op_sel_hi:[1,0,1]
	v_cvt_f32_f16_sdwa v80, v81 dst_sel:DWORD dst_unused:UNUSED_PAD src0_sel:WORD_1
	v_pk_fma_f32 v[4:5], v[64:65], v[90:91], v[4:5] op_sel_hi:[1,0,1]
	v_pk_fma_f32 v[0:1], v[12:13], v[90:91], v[0:1] op_sel_hi:[1,0,1]
	s_waitcnt vmcnt(0)
	v_cvt_f32_f16_e32 v54, v82
	v_pk_fma_f32 v[4:5], v[14:15], v[52:53], v[4:5] op_sel_hi:[1,0,1]
	v_pk_fma_f32 v[0:1], v[34:35], v[52:53], v[0:1] op_sel_hi:[1,0,1]
	v_cvt_f32_f16_sdwa v2, v82 dst_sel:DWORD dst_unused:UNUSED_PAD src0_sel:WORD_1
	v_pk_fma_f32 v[4:5], v[68:69], v[30:31], v[4:5] op_sel_hi:[1,0,1]
	v_pk_fma_f32 v[0:1], v[36:37], v[30:31], v[0:1] op_sel_hi:[1,0,1]
	v_cvt_f32_f16_e32 v82, v83
	v_pk_fma_f32 v[4:5], v[70:71], v[76:77], v[4:5] op_sel_hi:[1,0,1]
	v_pk_fma_f32 v[0:1], v[38:39], v[76:77], v[0:1] op_sel_hi:[1,0,1]
	v_cvt_f32_f16_sdwa v92, v83 dst_sel:DWORD dst_unused:UNUSED_PAD src0_sel:WORD_1
	v_pk_fma_f32 v[4:5], v[72:73], v[80:81], v[4:5] op_sel_hi:[1,0,1]
	v_pk_fma_f32 v[0:1], v[40:41], v[80:81], v[0:1] op_sel_hi:[1,0,1]
	;; [unrolled: 1-line block ×10, first 2 shown]
	s_andn2_b64 exec, exec, s[10:11]
	s_cbranch_execnz .LBB99_33
; %bb.34:
	s_or_b64 exec, exec, s[10:11]
.LBB99_35:
	s_or_b64 exec, exec, s[8:9]
.LBB99_36:
	s_or_b64 exec, exec, s[2:3]
.LBB99_37:
	v_mov_b32_dpp v0, v32 row_shr:1 row_mask:0xf bank_mask:0xf
	v_mov_b32_dpp v1, v33 row_shr:1 row_mask:0xf bank_mask:0xf
	;; [unrolled: 1-line block ×4, first 2 shown]
	v_pk_add_f32 v[0:1], v[32:33], v[0:1]
	v_pk_add_f32 v[4:5], v[30:31], v[4:5]
	v_cmp_eq_u32_e32 vcc, 63, v22
	v_mov_b32_dpp v2, v0 row_shr:2 row_mask:0xf bank_mask:0xf
	v_mov_b32_dpp v3, v1 row_shr:2 row_mask:0xf bank_mask:0xf
	v_mov_b32_dpp v6, v4 row_shr:2 row_mask:0xf bank_mask:0xf
	v_mov_b32_dpp v7, v5 row_shr:2 row_mask:0xf bank_mask:0xf
	v_pk_add_f32 v[0:1], v[0:1], v[2:3]
	v_pk_add_f32 v[4:5], v[4:5], v[6:7]
	s_nop 0
	v_mov_b32_dpp v2, v0 row_shr:4 row_mask:0xf bank_mask:0xe
	v_mov_b32_dpp v3, v1 row_shr:4 row_mask:0xf bank_mask:0xe
	v_mov_b32_dpp v6, v4 row_shr:4 row_mask:0xf bank_mask:0xe
	v_mov_b32_dpp v7, v5 row_shr:4 row_mask:0xf bank_mask:0xe
	v_pk_add_f32 v[0:1], v[0:1], v[2:3]
	v_pk_add_f32 v[4:5], v[4:5], v[6:7]
	s_nop 0
	;; [unrolled: 7-line block ×3, first 2 shown]
	v_mov_b32_dpp v2, v0 row_bcast:15 row_mask:0xa bank_mask:0xf
	v_mov_b32_dpp v3, v1 row_bcast:15 row_mask:0xa bank_mask:0xf
	;; [unrolled: 1-line block ×4, first 2 shown]
	v_pk_add_f32 v[0:1], v[0:1], v[2:3]
	v_pk_add_f32 v[4:5], v[4:5], v[6:7]
	s_nop 0
	v_mov_b32_dpp v2, v0 row_bcast:31 row_mask:0xc bank_mask:0xf
	v_mov_b32_dpp v3, v1 row_bcast:31 row_mask:0xc bank_mask:0xf
	;; [unrolled: 1-line block ×4, first 2 shown]
	s_and_b64 exec, exec, vcc
	s_cbranch_execz .LBB99_10
; %bb.38:
	s_load_dwordx2 s[0:1], s[4:5], 0x50
	v_cmp_eq_f32_e64 s[2:3], s18, 0
	v_pk_add_f32 v[2:3], v[0:1], v[2:3]
	v_pk_add_f32 v[0:1], v[4:5], v[6:7]
	s_and_b64 vcc, exec, s[2:3]
	v_lshlrev_b32_e32 v4, 2, v20
	s_cbranch_vccz .LBB99_40
; %bb.39:
	v_ashrrev_i32_e32 v5, 31, v4
	v_lshlrev_b64 v[6:7], 2, v[4:5]
	s_waitcnt lgkmcnt(0)
	v_mov_b32_e32 v5, s1
	v_add_co_u32_e32 v10, vcc, s0, v6
	v_addc_co_u32_e32 v11, vcc, v5, v7, vcc
	v_pk_mul_f32 v[6:7], s[16:17], v[2:3] op_sel_hi:[0,1]
	v_pk_mul_f32 v[8:9], s[16:17], v[0:1] op_sel_hi:[0,1]
	global_store_dwordx4 v[10:11], v[6:9], off
	s_cbranch_execnz .LBB99_10
	s_branch .LBB99_41
.LBB99_40:
.LBB99_41:
	v_ashrrev_i32_e32 v5, 31, v4
	v_lshlrev_b64 v[4:5], 2, v[4:5]
	s_waitcnt lgkmcnt(0)
	v_mov_b32_e32 v6, s1
	v_add_co_u32_e32 v8, vcc, s0, v4
	v_addc_co_u32_e32 v9, vcc, v6, v5, vcc
	global_load_dwordx4 v[4:7], v[8:9], off
	v_pk_mul_f32 v[2:3], s[16:17], v[2:3] op_sel_hi:[0,1]
	v_pk_mul_f32 v[10:11], s[16:17], v[0:1] op_sel_hi:[0,1]
	s_waitcnt vmcnt(0)
	v_pk_fma_f32 v[0:1], s[18:19], v[4:5], v[2:3] op_sel_hi:[0,1,1]
	v_pk_fma_f32 v[2:3], s[18:19], v[6:7], v[10:11] op_sel_hi:[0,1,1]
	global_store_dwordx4 v[8:9], v[0:3], off
	s_endpgm
	.section	.rodata,"a",@progbits
	.p2align	6, 0x0
	.amdhsa_kernel _ZN9rocsparseL18bsrxmvn_4x4_kernelILj128ELj64EfliDF16_DF16_fEEvT3_20rocsparse_direction_NS_24const_host_device_scalarIT1_EES1_PKS1_PKT2_SA_S7_PKT4_PKT5_S5_PT6_21rocsparse_index_base_b
		.amdhsa_group_segment_fixed_size 0
		.amdhsa_private_segment_fixed_size 0
		.amdhsa_kernarg_size 96
		.amdhsa_user_sgpr_count 6
		.amdhsa_user_sgpr_private_segment_buffer 1
		.amdhsa_user_sgpr_dispatch_ptr 0
		.amdhsa_user_sgpr_queue_ptr 0
		.amdhsa_user_sgpr_kernarg_segment_ptr 1
		.amdhsa_user_sgpr_dispatch_id 0
		.amdhsa_user_sgpr_flat_scratch_init 0
		.amdhsa_user_sgpr_kernarg_preload_length 0
		.amdhsa_user_sgpr_kernarg_preload_offset 0
		.amdhsa_user_sgpr_private_segment_size 0
		.amdhsa_uses_dynamic_stack 0
		.amdhsa_system_sgpr_private_segment_wavefront_offset 0
		.amdhsa_system_sgpr_workgroup_id_x 1
		.amdhsa_system_sgpr_workgroup_id_y 0
		.amdhsa_system_sgpr_workgroup_id_z 0
		.amdhsa_system_sgpr_workgroup_info 0
		.amdhsa_system_vgpr_workitem_id 0
		.amdhsa_next_free_vgpr 100
		.amdhsa_next_free_sgpr 22
		.amdhsa_accum_offset 100
		.amdhsa_reserve_vcc 1
		.amdhsa_reserve_flat_scratch 0
		.amdhsa_float_round_mode_32 0
		.amdhsa_float_round_mode_16_64 0
		.amdhsa_float_denorm_mode_32 3
		.amdhsa_float_denorm_mode_16_64 3
		.amdhsa_dx10_clamp 1
		.amdhsa_ieee_mode 1
		.amdhsa_fp16_overflow 0
		.amdhsa_tg_split 0
		.amdhsa_exception_fp_ieee_invalid_op 0
		.amdhsa_exception_fp_denorm_src 0
		.amdhsa_exception_fp_ieee_div_zero 0
		.amdhsa_exception_fp_ieee_overflow 0
		.amdhsa_exception_fp_ieee_underflow 0
		.amdhsa_exception_fp_ieee_inexact 0
		.amdhsa_exception_int_div_zero 0
	.end_amdhsa_kernel
	.section	.text._ZN9rocsparseL18bsrxmvn_4x4_kernelILj128ELj64EfliDF16_DF16_fEEvT3_20rocsparse_direction_NS_24const_host_device_scalarIT1_EES1_PKS1_PKT2_SA_S7_PKT4_PKT5_S5_PT6_21rocsparse_index_base_b,"axG",@progbits,_ZN9rocsparseL18bsrxmvn_4x4_kernelILj128ELj64EfliDF16_DF16_fEEvT3_20rocsparse_direction_NS_24const_host_device_scalarIT1_EES1_PKS1_PKT2_SA_S7_PKT4_PKT5_S5_PT6_21rocsparse_index_base_b,comdat
.Lfunc_end99:
	.size	_ZN9rocsparseL18bsrxmvn_4x4_kernelILj128ELj64EfliDF16_DF16_fEEvT3_20rocsparse_direction_NS_24const_host_device_scalarIT1_EES1_PKS1_PKT2_SA_S7_PKT4_PKT5_S5_PT6_21rocsparse_index_base_b, .Lfunc_end99-_ZN9rocsparseL18bsrxmvn_4x4_kernelILj128ELj64EfliDF16_DF16_fEEvT3_20rocsparse_direction_NS_24const_host_device_scalarIT1_EES1_PKS1_PKT2_SA_S7_PKT4_PKT5_S5_PT6_21rocsparse_index_base_b
                                        ; -- End function
	.section	.AMDGPU.csdata,"",@progbits
; Kernel info:
; codeLenInByte = 4384
; NumSgprs: 26
; NumVgprs: 100
; NumAgprs: 0
; TotalNumVgprs: 100
; ScratchSize: 0
; MemoryBound: 0
; FloatMode: 240
; IeeeMode: 1
; LDSByteSize: 0 bytes/workgroup (compile time only)
; SGPRBlocks: 3
; VGPRBlocks: 12
; NumSGPRsForWavesPerEU: 26
; NumVGPRsForWavesPerEU: 100
; AccumOffset: 100
; Occupancy: 4
; WaveLimiterHint : 1
; COMPUTE_PGM_RSRC2:SCRATCH_EN: 0
; COMPUTE_PGM_RSRC2:USER_SGPR: 6
; COMPUTE_PGM_RSRC2:TRAP_HANDLER: 0
; COMPUTE_PGM_RSRC2:TGID_X_EN: 1
; COMPUTE_PGM_RSRC2:TGID_Y_EN: 0
; COMPUTE_PGM_RSRC2:TGID_Z_EN: 0
; COMPUTE_PGM_RSRC2:TIDIG_COMP_CNT: 0
; COMPUTE_PGM_RSRC3_GFX90A:ACCUM_OFFSET: 24
; COMPUTE_PGM_RSRC3_GFX90A:TG_SPLIT: 0
	.section	.text._ZN9rocsparseL18bsrxmvn_4x4_kernelILj128ELj4EfllDF16_DF16_fEEvT3_20rocsparse_direction_NS_24const_host_device_scalarIT1_EES1_PKS1_PKT2_SA_S7_PKT4_PKT5_S5_PT6_21rocsparse_index_base_b,"axG",@progbits,_ZN9rocsparseL18bsrxmvn_4x4_kernelILj128ELj4EfllDF16_DF16_fEEvT3_20rocsparse_direction_NS_24const_host_device_scalarIT1_EES1_PKS1_PKT2_SA_S7_PKT4_PKT5_S5_PT6_21rocsparse_index_base_b,comdat
	.globl	_ZN9rocsparseL18bsrxmvn_4x4_kernelILj128ELj4EfllDF16_DF16_fEEvT3_20rocsparse_direction_NS_24const_host_device_scalarIT1_EES1_PKS1_PKT2_SA_S7_PKT4_PKT5_S5_PT6_21rocsparse_index_base_b ; -- Begin function _ZN9rocsparseL18bsrxmvn_4x4_kernelILj128ELj4EfllDF16_DF16_fEEvT3_20rocsparse_direction_NS_24const_host_device_scalarIT1_EES1_PKS1_PKT2_SA_S7_PKT4_PKT5_S5_PT6_21rocsparse_index_base_b
	.p2align	8
	.type	_ZN9rocsparseL18bsrxmvn_4x4_kernelILj128ELj4EfllDF16_DF16_fEEvT3_20rocsparse_direction_NS_24const_host_device_scalarIT1_EES1_PKS1_PKT2_SA_S7_PKT4_PKT5_S5_PT6_21rocsparse_index_base_b,@function
_ZN9rocsparseL18bsrxmvn_4x4_kernelILj128ELj4EfllDF16_DF16_fEEvT3_20rocsparse_direction_NS_24const_host_device_scalarIT1_EES1_PKS1_PKT2_SA_S7_PKT4_PKT5_S5_PT6_21rocsparse_index_base_b: ; @_ZN9rocsparseL18bsrxmvn_4x4_kernelILj128ELj4EfllDF16_DF16_fEEvT3_20rocsparse_direction_NS_24const_host_device_scalarIT1_EES1_PKS1_PKT2_SA_S7_PKT4_PKT5_S5_PT6_21rocsparse_index_base_b
; %bb.0:
	s_load_dwordx2 s[22:23], s[4:5], 0x60
	s_load_dwordx4 s[16:19], s[4:5], 0x10
	s_load_dwordx2 s[20:21], s[4:5], 0x50
	s_waitcnt lgkmcnt(0)
	s_bitcmp1_b32 s23, 0
	s_cselect_b64 s[2:3], -1, 0
	s_xor_b64 s[0:1], s[2:3], -1
	s_and_b64 vcc, exec, s[2:3]
	s_cbranch_vccnz .LBB100_2
; %bb.1:
	s_load_dword s16, s[16:17], 0x0
.LBB100_2:
	s_andn2_b64 vcc, exec, s[0:1]
	s_cbranch_vccnz .LBB100_4
; %bb.3:
	s_load_dword s20, s[20:21], 0x0
.LBB100_4:
	s_waitcnt lgkmcnt(0)
	v_cmp_neq_f32_e64 s[0:1], s16, 0
	v_cmp_neq_f32_e64 s[2:3], s20, 1.0
	s_or_b64 s[0:1], s[0:1], s[2:3]
	s_andn2_b64 vcc, exec, s[0:1]
	s_cbranch_vccnz .LBB100_10
; %bb.5:
	s_load_dwordx2 s[2:3], s[4:5], 0x20
	v_lshrrev_b32_e32 v1, 2, v0
	v_lshl_or_b32 v2, s6, 5, v1
	v_mov_b32_e32 v3, 0
	s_mov_b64 s[0:1], 0
	s_waitcnt lgkmcnt(0)
	s_cmp_lg_u64 s[2:3], 0
	s_cbranch_scc0 .LBB100_11
; %bb.6:
	v_cmp_gt_i64_e32 vcc, s[18:19], v[2:3]
                                        ; implicit-def: $vgpr20_vgpr21
	s_and_saveexec_b64 s[6:7], vcc
	s_xor_b64 s[6:7], exec, s[6:7]
                                        ; implicit-def: $sgpr18_sgpr19
	s_cbranch_execz .LBB100_8
; %bb.7:
	v_lshlrev_b64 v[4:5], 3, v[2:3]
	v_mov_b32_e32 v1, s3
	v_add_co_u32_e32 v4, vcc, s2, v4
	v_addc_co_u32_e32 v5, vcc, v1, v5, vcc
	global_load_dwordx2 v[4:5], v[4:5], off
	s_mov_b64 s[0:1], exec
	s_mov_b32 s19, 0
	s_waitcnt vmcnt(0)
	v_subrev_co_u32_e32 v20, vcc, s22, v4
	v_subbrev_co_u32_e32 v21, vcc, 0, v5, vcc
.LBB100_8:
	s_or_b64 exec, exec, s[6:7]
.LBB100_9:
	s_and_saveexec_b64 s[2:3], s[0:1]
	s_cbranch_execnz .LBB100_15
.LBB100_10:
	s_endpgm
.LBB100_11:
                                        ; implicit-def: $vgpr20_vgpr21
                                        ; implicit-def: $sgpr18_sgpr19
	s_cbranch_execz .LBB100_9
; %bb.12:
	s_load_dwordx2 s[2:3], s[4:5], 0x0
                                        ; implicit-def: $vgpr20_vgpr21
	s_waitcnt lgkmcnt(0)
	v_cmp_gt_i64_e32 vcc, s[2:3], v[2:3]
	s_and_saveexec_b64 s[2:3], vcc
                                        ; implicit-def: $sgpr18_sgpr19
; %bb.13:
	s_mov_b32 s19, 0
	s_or_b64 s[0:1], s[0:1], exec
	v_pk_mov_b32 v[20:21], v[2:3], v[2:3] op_sel:[0,1]
; %bb.14:
	s_or_b64 exec, exec, s[2:3]
	s_and_saveexec_b64 s[2:3], s[0:1]
	s_cbranch_execz .LBB100_10
.LBB100_15:
	s_load_dwordx8 s[8:15], s[4:5], 0x28
	v_lshlrev_b64 v[2:3], 3, v[20:21]
	v_and_b32_e32 v22, 3, v0
	v_mov_b32_e32 v0, s19
	v_mov_b32_e32 v31, 0
	s_waitcnt lgkmcnt(0)
	v_mov_b32_e32 v1, s9
	v_add_co_u32_e32 v4, vcc, s8, v2
	v_addc_co_u32_e32 v5, vcc, v1, v3, vcc
	v_add_co_u32_e32 v1, vcc, 8, v4
	global_load_dwordx2 v[16:17], v[4:5], off
	v_addc_co_u32_e32 v4, vcc, 0, v5, vcc
	v_mov_b32_e32 v5, s11
	v_add_co_u32_e32 v2, vcc, s10, v2
	s_cmp_eq_u64 s[10:11], 0
	v_addc_co_u32_e32 v3, vcc, v5, v3, vcc
	s_cselect_b64 vcc, -1, 0
	v_cndmask_b32_e32 v3, v3, v4, vcc
	v_cndmask_b32_e32 v2, v2, v1, vcc
	global_load_dwordx2 v[2:3], v[2:3], off
	s_load_dwordx2 s[6:7], s[4:5], 0x48
	s_load_dword s0, s[4:5], 0x8
	v_mov_b32_e32 v4, s15
	s_waitcnt lgkmcnt(0)
	s_cmp_eq_u32 s0, 1
	s_waitcnt vmcnt(1)
	v_subrev_co_u32_e32 v1, vcc, s22, v16
	v_subb_co_u32_e32 v5, vcc, v17, v0, vcc
	v_add_co_u32_e32 v24, vcc, v1, v22
	v_addc_co_u32_e32 v25, vcc, 0, v5, vcc
	s_waitcnt vmcnt(0)
	v_subrev_co_u32_e32 v26, vcc, s22, v2
	v_subb_co_u32_e32 v27, vcc, v3, v0, vcc
	v_lshlrev_b64 v[0:1], 5, v[24:25]
	v_add_co_u32_e32 v28, vcc, s14, v0
	v_addc_co_u32_e32 v29, vcc, v4, v1, vcc
	v_cmp_lt_i64_e64 s[0:1], v[24:25], v[26:27]
	s_cbranch_scc1 .LBB100_27
; %bb.16:
	v_mov_b32_e32 v30, 0
	v_mov_b32_e32 v33, 0
	;; [unrolled: 1-line block ×3, first 2 shown]
	s_and_saveexec_b64 s[8:9], s[0:1]
	s_cbranch_execz .LBB100_26
; %bb.17:
	v_or_b32_e32 v0, 4, v22
	v_mov_b32_e32 v1, s19
	v_subrev_co_u32_e32 v0, vcc, s22, v0
	v_subb_co_u32_e32 v1, vcc, 0, v1, vcc
	v_add_co_u32_e32 v0, vcc, v0, v16
	v_addc_co_u32_e32 v1, vcc, v1, v17, vcc
	v_cmp_gt_i64_e32 vcc, v[0:1], v[26:27]
	v_cndmask_b32_e32 v1, v27, v1, vcc
	v_cndmask_b32_e32 v0, v26, v0, vcc
	v_mov_b32_e32 v4, s19
	v_sub_co_u32_e32 v5, vcc, s22, v22
	v_not_b32_e32 v3, v16
	v_subbrev_co_u32_e32 v4, vcc, 0, v4, vcc
	v_not_b32_e32 v2, v17
	v_add_co_u32_e32 v3, vcc, v5, v3
	v_addc_co_u32_e32 v2, vcc, v4, v2, vcc
	v_add_co_u32_e32 v0, vcc, v3, v0
	v_addc_co_u32_e32 v1, vcc, v2, v1, vcc
	v_lshrrev_b32_e32 v2, 2, v0
	v_add_u32_e32 v2, 1, v2
	v_and_b32_e32 v2, 3, v2
	v_mov_b32_e32 v32, 0
	v_cmp_ne_u32_e32 vcc, 0, v2
	v_mov_b32_e32 v33, v32
	v_mov_b32_e32 v30, v32
	;; [unrolled: 1-line block ×3, first 2 shown]
	v_pk_mov_b32 v[18:19], v[24:25], v[24:25] op_sel:[0,1]
	v_pk_mov_b32 v[34:35], v[28:29], v[28:29] op_sel:[0,1]
	s_and_saveexec_b64 s[2:3], vcc
	s_cbranch_execz .LBB100_21
; %bb.18:
	v_lshlrev_b64 v[4:5], 3, v[24:25]
	v_mov_b32_e32 v3, 0
	v_mov_b32_e32 v6, s13
	v_add_co_u32_e32 v4, vcc, s12, v4
	v_addc_co_u32_e32 v5, vcc, v6, v5, vcc
	v_lshlrev_b32_e32 v2, 2, v2
	s_mov_b64 s[10:11], 0
	v_mov_b32_e32 v6, s19
	v_mov_b32_e32 v7, s7
	s_movk_i32 s14, 0x80
	v_pk_mov_b32 v[34:35], v[28:29], v[28:29] op_sel:[0,1]
	v_pk_mov_b32 v[18:19], v[24:25], v[24:25] op_sel:[0,1]
	v_mov_b32_e32 v32, v3
	v_mov_b32_e32 v33, v3
	;; [unrolled: 1-line block ×4, first 2 shown]
.LBB100_19:                             ; =>This Inner Loop Header: Depth=1
	global_load_dwordx2 v[36:37], v[4:5], off
	global_load_dwordx4 v[8:11], v[34:35], off
	global_load_dwordx4 v[12:15], v[34:35], off offset:16
	s_waitcnt vmcnt(2)
	v_subrev_co_u32_e32 v36, vcc, s22, v36
	v_subb_co_u32_e32 v37, vcc, v37, v6, vcc
	v_lshlrev_b64 v[36:37], 3, v[36:37]
	v_add_co_u32_e32 v36, vcc, s6, v36
	v_addc_co_u32_e32 v37, vcc, v7, v37, vcc
	global_load_dwordx2 v[36:37], v[36:37], off
	v_add_co_u32_e32 v34, vcc, s14, v34
	v_addc_co_u32_e32 v35, vcc, 0, v35, vcc
	v_add_co_u32_e32 v18, vcc, 4, v18
	s_waitcnt vmcnt(2)
	v_cvt_f32_f16_e32 v39, v10
	v_cvt_f32_f16_e32 v38, v8
	v_cvt_f32_f16_sdwa v41, v10 dst_sel:DWORD dst_unused:UNUSED_PAD src0_sel:WORD_1
	v_cvt_f32_f16_sdwa v40, v8 dst_sel:DWORD dst_unused:UNUSED_PAD src0_sel:WORD_1
	v_cvt_f32_f16_e32 v42, v9
	v_cvt_f32_f16_sdwa v10, v9 dst_sel:DWORD dst_unused:UNUSED_PAD src0_sel:WORD_1
	s_waitcnt vmcnt(1)
	v_cvt_f32_f16_e32 v9, v14
	v_cvt_f32_f16_e32 v8, v12
	v_cvt_f32_f16_sdwa v44, v12 dst_sel:DWORD dst_unused:UNUSED_PAD src0_sel:WORD_1
	v_addc_co_u32_e32 v19, vcc, 0, v19, vcc
	v_cvt_f32_f16_sdwa v45, v14 dst_sel:DWORD dst_unused:UNUSED_PAD src0_sel:WORD_1
	v_add_co_u32_e32 v4, vcc, 32, v4
	v_cvt_f32_f16_e32 v43, v11
	v_cvt_f32_f16_e32 v47, v15
	;; [unrolled: 1-line block ×3, first 2 shown]
	v_addc_co_u32_e32 v5, vcc, 0, v5, vcc
	v_cvt_f32_f16_sdwa v11, v11 dst_sel:DWORD dst_unused:UNUSED_PAD src0_sel:WORD_1
	v_cvt_f32_f16_sdwa v15, v15 dst_sel:DWORD dst_unused:UNUSED_PAD src0_sel:WORD_1
	;; [unrolled: 1-line block ×3, first 2 shown]
	v_add_co_u32_e32 v2, vcc, -4, v2
	v_addc_co_u32_e32 v3, vcc, -1, v3, vcc
	v_cmp_eq_u64_e32 vcc, 0, v[2:3]
	s_or_b64 s[10:11], vcc, s[10:11]
	s_waitcnt vmcnt(0)
	v_cvt_f32_f16_e32 v12, v36
	v_cvt_f32_f16_sdwa v36, v36 dst_sel:DWORD dst_unused:UNUSED_PAD src0_sel:WORD_1
	v_cvt_f32_f16_e32 v48, v37
	v_cvt_f32_f16_sdwa v50, v37 dst_sel:DWORD dst_unused:UNUSED_PAD src0_sel:WORD_1
	v_pk_fma_f32 v[32:33], v[38:39], v[12:13], v[32:33] op_sel_hi:[1,0,1]
	v_pk_fma_f32 v[8:9], v[8:9], v[12:13], v[30:31] op_sel_hi:[1,0,1]
	;; [unrolled: 1-line block ×8, first 2 shown]
	s_andn2_b64 exec, exec, s[10:11]
	s_cbranch_execnz .LBB100_19
; %bb.20:
	s_or_b64 exec, exec, s[10:11]
.LBB100_21:
	s_or_b64 exec, exec, s[2:3]
	v_cmp_lt_u64_e32 vcc, 11, v[0:1]
	s_and_saveexec_b64 s[10:11], vcc
	s_cbranch_execz .LBB100_25
; %bb.22:
	v_lshlrev_b64 v[0:1], 3, v[18:19]
	v_mov_b32_e32 v2, s13
	v_add_co_u32_e32 v0, vcc, s12, v0
	v_addc_co_u32_e32 v1, vcc, v1, v2, vcc
	v_add_co_u32_e32 v36, vcc, 64, v0
	v_addc_co_u32_e32 v37, vcc, 0, v1, vcc
	s_mov_b64 s[14:15], 0
	v_mov_b32_e32 v23, s19
	v_mov_b32_e32 v38, s7
.LBB100_23:                             ; =>This Inner Loop Header: Depth=1
	global_load_dwordx2 v[56:57], v[36:37], off offset:-64
	global_load_dwordx2 v[58:59], v[36:37], off offset:-32
	global_load_dwordx2 v[60:61], v[36:37], off
	global_load_dwordx4 v[0:3], v[34:35], off offset:256
	global_load_dwordx4 v[12:15], v[34:35], off
	global_load_dwordx4 v[8:11], v[34:35], off offset:128
	global_load_dwordx4 v[4:7], v[34:35], off offset:272
	;; [unrolled: 1-line block ×3, first 2 shown]
	global_load_dwordx2 v[62:63], v[36:37], off offset:32
	global_load_dwordx4 v[44:47], v[34:35], off offset:144
	global_load_dwordx4 v[48:51], v[34:35], off offset:384
	;; [unrolled: 1-line block ×3, first 2 shown]
	v_add_co_u32_e32 v18, vcc, 16, v18
	v_addc_co_u32_e32 v19, vcc, 0, v19, vcc
	v_add_co_u32_e32 v36, vcc, 0x80, v36
	v_addc_co_u32_e32 v37, vcc, 0, v37, vcc
	;; [unrolled: 2-line block ×3, first 2 shown]
	v_cmp_ge_i64_e64 s[2:3], v[18:19], v[26:27]
	s_or_b64 s[14:15], s[2:3], s[14:15]
	s_waitcnt vmcnt(11)
	v_subrev_co_u32_e32 v56, vcc, s22, v56
	v_subb_co_u32_e32 v57, vcc, v57, v23, vcc
	s_waitcnt vmcnt(10)
	v_subrev_co_u32_e32 v58, vcc, s22, v58
	v_subb_co_u32_e32 v59, vcc, v59, v23, vcc
	;; [unrolled: 3-line block ×4, first 2 shown]
	v_lshlrev_b64 v[56:57], 3, v[56:57]
	v_add_co_u32_e32 v56, vcc, s6, v56
	v_lshlrev_b64 v[58:59], 3, v[58:59]
	v_addc_co_u32_e32 v57, vcc, v38, v57, vcc
	v_add_co_u32_e32 v58, vcc, s6, v58
	v_lshlrev_b64 v[60:61], 3, v[60:61]
	v_addc_co_u32_e32 v59, vcc, v38, v59, vcc
	;; [unrolled: 3-line block ×3, first 2 shown]
	v_add_co_u32_e32 v62, vcc, s6, v62
	v_addc_co_u32_e32 v63, vcc, v38, v63, vcc
	global_load_dwordx2 v[82:83], v[56:57], off
	global_load_dwordx2 v[84:85], v[58:59], off
	;; [unrolled: 1-line block ×4, first 2 shown]
	v_cvt_f32_f16_e32 v67, v14
	v_cvt_f32_f16_e32 v66, v12
	v_cvt_f32_f16_sdwa v68, v12 dst_sel:DWORD dst_unused:UNUSED_PAD src0_sel:WORD_1
	v_cvt_f32_f16_e32 v12, v8
	v_cvt_f32_f16_sdwa v72, v8 dst_sel:DWORD dst_unused:UNUSED_PAD src0_sel:WORD_1
	;; [unrolled: 2-line block ×3, first 2 shown]
	v_cvt_f32_f16_e32 v81, v42
	v_cvt_f32_f16_e32 v80, v40
	v_cvt_f32_f16_sdwa v56, v40 dst_sel:DWORD dst_unused:UNUSED_PAD src0_sel:WORD_1
	s_waitcnt vmcnt(6)
	v_cvt_f32_f16_e32 v40, v44
	v_cvt_f32_f16_sdwa v60, v44 dst_sel:DWORD dst_unused:UNUSED_PAD src0_sel:WORD_1
	v_cvt_f32_f16_e32 v44, v4
	v_cvt_f32_f16_sdwa v90, v4 dst_sel:DWORD dst_unused:UNUSED_PAD src0_sel:WORD_1
	s_waitcnt vmcnt(5)
	v_cvt_f32_f16_e32 v0, v48
	v_cvt_f32_f16_sdwa v92, v48 dst_sel:DWORD dst_unused:UNUSED_PAD src0_sel:WORD_1
	s_waitcnt vmcnt(4)
	v_cvt_f32_f16_e32 v4, v52
	v_cvt_f32_f16_sdwa v48, v52 dst_sel:DWORD dst_unused:UNUSED_PAD src0_sel:WORD_1
	v_cvt_f32_f16_sdwa v69, v14 dst_sel:DWORD dst_unused:UNUSED_PAD src0_sel:WORD_1
	;; [unrolled: 1-line block ×3, first 2 shown]
	v_cvt_f32_f16_e32 v71, v15
	v_cvt_f32_f16_e32 v70, v13
	;; [unrolled: 1-line block ×4, first 2 shown]
	v_cvt_f32_f16_sdwa v15, v15 dst_sel:DWORD dst_unused:UNUSED_PAD src0_sel:WORD_1
	v_cvt_f32_f16_sdwa v14, v13 dst_sel:DWORD dst_unused:UNUSED_PAD src0_sel:WORD_1
	;; [unrolled: 1-line block ×4, first 2 shown]
	v_cvt_f32_f16_e32 v13, v10
	v_cvt_f32_f16_e32 v41, v46
	v_cvt_f32_f16_sdwa v73, v10 dst_sel:DWORD dst_unused:UNUSED_PAD src0_sel:WORD_1
	v_cvt_f32_f16_sdwa v61, v46 dst_sel:DWORD dst_unused:UNUSED_PAD src0_sel:WORD_1
	v_cvt_f32_f16_e32 v75, v11
	v_cvt_f32_f16_e32 v74, v9
	;; [unrolled: 1-line block ×4, first 2 shown]
	v_cvt_f32_f16_sdwa v11, v11 dst_sel:DWORD dst_unused:UNUSED_PAD src0_sel:WORD_1
	v_cvt_f32_f16_sdwa v10, v9 dst_sel:DWORD dst_unused:UNUSED_PAD src0_sel:WORD_1
	;; [unrolled: 1-line block ×4, first 2 shown]
	v_cvt_f32_f16_e32 v9, v2
	v_cvt_f32_f16_e32 v45, v6
	v_cvt_f32_f16_sdwa v77, v2 dst_sel:DWORD dst_unused:UNUSED_PAD src0_sel:WORD_1
	v_cvt_f32_f16_sdwa v91, v6 dst_sel:DWORD dst_unused:UNUSED_PAD src0_sel:WORD_1
	v_cvt_f32_f16_e32 v64, v1
	v_cvt_f32_f16_e32 v65, v3
	;; [unrolled: 1-line block ×4, first 2 shown]
	v_cvt_f32_f16_sdwa v3, v3 dst_sel:DWORD dst_unused:UNUSED_PAD src0_sel:WORD_1
	v_cvt_f32_f16_sdwa v2, v1 dst_sel:DWORD dst_unused:UNUSED_PAD src0_sel:WORD_1
	;; [unrolled: 1-line block ×4, first 2 shown]
	v_cvt_f32_f16_e32 v1, v50
	v_cvt_f32_f16_e32 v5, v54
	v_cvt_f32_f16_sdwa v93, v50 dst_sel:DWORD dst_unused:UNUSED_PAD src0_sel:WORD_1
	v_cvt_f32_f16_e32 v94, v49
	v_cvt_f32_f16_sdwa v50, v49 dst_sel:DWORD dst_unused:UNUSED_PAD src0_sel:WORD_1
	v_cvt_f32_f16_sdwa v49, v54 dst_sel:DWORD dst_unused:UNUSED_PAD src0_sel:WORD_1
	v_cvt_f32_f16_e32 v95, v51
	v_cvt_f32_f16_e32 v97, v55
	;; [unrolled: 1-line block ×3, first 2 shown]
	v_cvt_f32_f16_sdwa v51, v51 dst_sel:DWORD dst_unused:UNUSED_PAD src0_sel:WORD_1
	v_cvt_f32_f16_sdwa v55, v55 dst_sel:DWORD dst_unused:UNUSED_PAD src0_sel:WORD_1
	;; [unrolled: 1-line block ×3, first 2 shown]
	s_waitcnt vmcnt(3)
	v_cvt_f32_f16_e32 v52, v82
	v_cvt_f32_f16_sdwa v82, v82 dst_sel:DWORD dst_unused:UNUSED_PAD src0_sel:WORD_1
	v_cvt_f32_f16_e32 v98, v83
	v_cvt_f32_f16_sdwa v100, v83 dst_sel:DWORD dst_unused:UNUSED_PAD src0_sel:WORD_1
	v_pk_fma_f32 v[32:33], v[66:67], v[52:53], v[32:33] op_sel_hi:[1,0,1]
	s_waitcnt vmcnt(2)
	v_cvt_f32_f16_e32 v66, v84
	v_pk_fma_f32 v[30:31], v[80:81], v[52:53], v[30:31] op_sel_hi:[1,0,1]
	v_cvt_f32_f16_sdwa v52, v84 dst_sel:DWORD dst_unused:UNUSED_PAD src0_sel:WORD_1
	v_pk_fma_f32 v[32:33], v[68:69], v[82:83], v[32:33] op_sel_hi:[1,0,1]
	v_pk_fma_f32 v[30:31], v[56:57], v[82:83], v[30:31] op_sel_hi:[1,0,1]
	v_cvt_f32_f16_e32 v80, v85
	v_pk_fma_f32 v[32:33], v[70:71], v[98:99], v[32:33] op_sel_hi:[1,0,1]
	v_pk_fma_f32 v[30:31], v[58:59], v[98:99], v[30:31] op_sel_hi:[1,0,1]
	v_cvt_f32_f16_sdwa v84, v85 dst_sel:DWORD dst_unused:UNUSED_PAD src0_sel:WORD_1
	v_pk_fma_f32 v[14:15], v[14:15], v[100:101], v[32:33] op_sel_hi:[1,0,1]
	v_pk_fma_f32 v[30:31], v[42:43], v[100:101], v[30:31] op_sel_hi:[1,0,1]
	s_waitcnt vmcnt(1)
	v_cvt_f32_f16_e32 v68, v86
	v_pk_fma_f32 v[12:13], v[12:13], v[66:67], v[14:15] op_sel_hi:[1,0,1]
	v_pk_fma_f32 v[14:15], v[40:41], v[66:67], v[30:31] op_sel_hi:[1,0,1]
	v_cvt_f32_f16_sdwa v56, v86 dst_sel:DWORD dst_unused:UNUSED_PAD src0_sel:WORD_1
	v_pk_fma_f32 v[12:13], v[72:73], v[52:53], v[12:13] op_sel_hi:[1,0,1]
	v_pk_fma_f32 v[14:15], v[60:61], v[52:53], v[14:15] op_sel_hi:[1,0,1]
	v_cvt_f32_f16_e32 v82, v87
	v_pk_fma_f32 v[12:13], v[74:75], v[80:81], v[12:13] op_sel_hi:[1,0,1]
	v_pk_fma_f32 v[14:15], v[62:63], v[80:81], v[14:15] op_sel_hi:[1,0,1]
	v_cvt_f32_f16_sdwa v86, v87 dst_sel:DWORD dst_unused:UNUSED_PAD src0_sel:WORD_1
	v_pk_fma_f32 v[10:11], v[10:11], v[84:85], v[12:13] op_sel_hi:[1,0,1]
	v_pk_fma_f32 v[12:13], v[46:47], v[84:85], v[14:15] op_sel_hi:[1,0,1]
	s_waitcnt vmcnt(0)
	v_cvt_f32_f16_e32 v70, v88
	v_pk_fma_f32 v[8:9], v[8:9], v[68:69], v[10:11] op_sel_hi:[1,0,1]
	v_pk_fma_f32 v[10:11], v[44:45], v[68:69], v[12:13] op_sel_hi:[1,0,1]
	v_cvt_f32_f16_sdwa v58, v88 dst_sel:DWORD dst_unused:UNUSED_PAD src0_sel:WORD_1
	v_pk_fma_f32 v[8:9], v[76:77], v[56:57], v[8:9] op_sel_hi:[1,0,1]
	v_pk_fma_f32 v[10:11], v[90:91], v[56:57], v[10:11] op_sel_hi:[1,0,1]
	v_cvt_f32_f16_e32 v88, v89
	v_pk_fma_f32 v[8:9], v[64:65], v[82:83], v[8:9] op_sel_hi:[1,0,1]
	v_pk_fma_f32 v[10:11], v[78:79], v[82:83], v[10:11] op_sel_hi:[1,0,1]
	v_cvt_f32_f16_sdwa v98, v89 dst_sel:DWORD dst_unused:UNUSED_PAD src0_sel:WORD_1
	v_pk_fma_f32 v[2:3], v[2:3], v[86:87], v[8:9] op_sel_hi:[1,0,1]
	v_pk_fma_f32 v[6:7], v[6:7], v[86:87], v[10:11] op_sel_hi:[1,0,1]
	;; [unrolled: 1-line block ×10, first 2 shown]
	s_andn2_b64 exec, exec, s[14:15]
	s_cbranch_execnz .LBB100_23
; %bb.24:
	s_or_b64 exec, exec, s[14:15]
.LBB100_25:
	s_or_b64 exec, exec, s[10:11]
.LBB100_26:
	s_or_b64 exec, exec, s[8:9]
	s_cbranch_execz .LBB100_28
	s_branch .LBB100_39
.LBB100_27:
                                        ; implicit-def: $vgpr31
                                        ; implicit-def: $vgpr33
.LBB100_28:
	v_mov_b32_e32 v31, 0
	v_mov_b32_e32 v30, 0
	;; [unrolled: 1-line block ×4, first 2 shown]
	s_and_saveexec_b64 s[2:3], s[0:1]
	s_cbranch_execz .LBB100_38
; %bb.29:
	v_or_b32_e32 v0, 4, v22
	v_mov_b32_e32 v1, s19
	v_subrev_co_u32_e32 v0, vcc, s22, v0
	v_subb_co_u32_e32 v1, vcc, 0, v1, vcc
	v_add_co_u32_e32 v0, vcc, v0, v16
	v_addc_co_u32_e32 v1, vcc, v1, v17, vcc
	v_cmp_gt_i64_e32 vcc, v[0:1], v[26:27]
	v_cndmask_b32_e32 v1, v27, v1, vcc
	v_cndmask_b32_e32 v0, v26, v0, vcc
	v_mov_b32_e32 v4, s19
	v_sub_co_u32_e32 v5, vcc, s22, v22
	v_not_b32_e32 v3, v16
	v_subbrev_co_u32_e32 v4, vcc, 0, v4, vcc
	v_not_b32_e32 v2, v17
	v_add_co_u32_e32 v3, vcc, v5, v3
	v_addc_co_u32_e32 v2, vcc, v4, v2, vcc
	v_add_co_u32_e32 v0, vcc, v3, v0
	v_addc_co_u32_e32 v1, vcc, v2, v1, vcc
	v_lshrrev_b32_e32 v2, 2, v0
	v_add_u32_e32 v2, 1, v2
	v_and_b32_e32 v2, 3, v2
	v_mov_b32_e32 v32, 0
	v_cmp_ne_u32_e32 vcc, 0, v2
	v_mov_b32_e32 v33, v32
	v_mov_b32_e32 v30, v32
	;; [unrolled: 1-line block ×3, first 2 shown]
	s_and_saveexec_b64 s[0:1], vcc
	s_cbranch_execz .LBB100_33
; %bb.30:
	v_lshlrev_b64 v[4:5], 3, v[24:25]
	v_mov_b32_e32 v3, 0
	v_mov_b32_e32 v6, s13
	v_add_co_u32_e32 v4, vcc, s12, v4
	v_addc_co_u32_e32 v5, vcc, v6, v5, vcc
	v_lshlrev_b32_e32 v2, 2, v2
	s_mov_b64 s[8:9], 0
	v_mov_b32_e32 v6, s19
	v_mov_b32_e32 v7, s7
	s_movk_i32 s10, 0x80
	v_mov_b32_e32 v32, v3
	v_mov_b32_e32 v33, v3
	;; [unrolled: 1-line block ×4, first 2 shown]
.LBB100_31:                             ; =>This Inner Loop Header: Depth=1
	global_load_dwordx2 v[12:13], v[4:5], off
	global_load_dwordx4 v[8:11], v[28:29], off
	s_waitcnt vmcnt(1)
	v_subrev_co_u32_e32 v12, vcc, s22, v12
	v_subb_co_u32_e32 v13, vcc, v13, v6, vcc
	v_lshlrev_b64 v[12:13], 3, v[12:13]
	v_add_co_u32_e32 v16, vcc, s6, v12
	v_addc_co_u32_e32 v17, vcc, v7, v13, vcc
	global_load_dwordx2 v[18:19], v[16:17], off
	global_load_dwordx4 v[12:15], v[28:29], off offset:16
	v_add_co_u32_e32 v28, vcc, s10, v28
	v_addc_co_u32_e32 v29, vcc, 0, v29, vcc
	v_add_co_u32_e32 v24, vcc, 4, v24
	s_waitcnt vmcnt(2)
	v_cvt_f32_f16_sdwa v17, v8 dst_sel:DWORD dst_unused:UNUSED_PAD src0_sel:WORD_1
	v_cvt_f32_f16_e32 v16, v8
	v_cvt_f32_f16_sdwa v41, v9 dst_sel:DWORD dst_unused:UNUSED_PAD src0_sel:WORD_1
	v_cvt_f32_f16_e32 v40, v9
	v_addc_co_u32_e32 v25, vcc, 0, v25, vcc
	v_cvt_f32_f16_sdwa v35, v10 dst_sel:DWORD dst_unused:UNUSED_PAD src0_sel:WORD_1
	v_cvt_f32_f16_e32 v34, v10
	v_cvt_f32_f16_sdwa v9, v11 dst_sel:DWORD dst_unused:UNUSED_PAD src0_sel:WORD_1
	v_cvt_f32_f16_e32 v8, v11
	v_add_co_u32_e32 v4, vcc, 32, v4
	v_addc_co_u32_e32 v5, vcc, 0, v5, vcc
	v_add_co_u32_e32 v2, vcc, -4, v2
	v_addc_co_u32_e32 v3, vcc, -1, v3, vcc
	v_cmp_eq_u64_e32 vcc, 0, v[2:3]
	s_or_b64 s[8:9], vcc, s[8:9]
	s_waitcnt vmcnt(1)
	v_cvt_f32_f16_e32 v42, v19
	s_waitcnt vmcnt(0)
	v_cvt_f32_f16_sdwa v39, v14 dst_sel:DWORD dst_unused:UNUSED_PAD src0_sel:WORD_1
	v_cvt_f32_f16_e32 v38, v14
	v_cvt_f32_f16_e32 v14, v18
	v_cvt_f32_f16_sdwa v18, v18 dst_sel:DWORD dst_unused:UNUSED_PAD src0_sel:WORD_1
	v_cvt_f32_f16_sdwa v37, v12 dst_sel:DWORD dst_unused:UNUSED_PAD src0_sel:WORD_1
	v_cvt_f32_f16_e32 v36, v12
	v_cvt_f32_f16_sdwa v11, v13 dst_sel:DWORD dst_unused:UNUSED_PAD src0_sel:WORD_1
	v_cvt_f32_f16_e32 v10, v13
	;; [unrolled: 2-line block ×3, first 2 shown]
	v_cvt_f32_f16_sdwa v44, v19 dst_sel:DWORD dst_unused:UNUSED_PAD src0_sel:WORD_1
	v_pk_fma_f32 v[16:17], v[16:17], v[14:15], v[32:33] op_sel_hi:[1,0,1]
	v_pk_fma_f32 v[14:15], v[40:41], v[14:15], v[30:31] op_sel_hi:[1,0,1]
	;; [unrolled: 1-line block ×8, first 2 shown]
	s_andn2_b64 exec, exec, s[8:9]
	s_cbranch_execnz .LBB100_31
; %bb.32:
	s_or_b64 exec, exec, s[8:9]
.LBB100_33:
	s_or_b64 exec, exec, s[0:1]
	v_cmp_lt_u64_e32 vcc, 11, v[0:1]
	s_and_saveexec_b64 s[8:9], vcc
	s_cbranch_execz .LBB100_37
; %bb.34:
	v_lshlrev_b64 v[0:1], 3, v[24:25]
	v_mov_b32_e32 v2, s13
	v_add_co_u32_e32 v0, vcc, s12, v0
	v_addc_co_u32_e32 v1, vcc, v1, v2, vcc
	v_add_co_u32_e32 v34, vcc, 64, v0
	v_addc_co_u32_e32 v35, vcc, 0, v1, vcc
	s_mov_b64 s[10:11], 0
	v_mov_b32_e32 v23, s19
	v_mov_b32_e32 v36, s7
.LBB100_35:                             ; =>This Inner Loop Header: Depth=1
	global_load_dwordx4 v[0:3], v[28:29], off
	global_load_dwordx4 v[4:7], v[28:29], off offset:16
	global_load_dwordx4 v[8:11], v[28:29], off offset:128
	;; [unrolled: 1-line block ×4, first 2 shown]
	global_load_dwordx2 v[50:51], v[34:35], off offset:-64
	global_load_dwordx2 v[52:53], v[34:35], off offset:-32
	global_load_dwordx2 v[54:55], v[34:35], off
	global_load_dwordx2 v[56:57], v[34:35], off offset:32
	global_load_dwordx4 v[38:41], v[28:29], off offset:272
	global_load_dwordx4 v[42:45], v[28:29], off offset:384
	;; [unrolled: 1-line block ×3, first 2 shown]
	v_add_co_u32_e32 v24, vcc, 16, v24
	v_addc_co_u32_e32 v25, vcc, 0, v25, vcc
	v_add_co_u32_e32 v34, vcc, 0x80, v34
	v_addc_co_u32_e32 v35, vcc, 0, v35, vcc
	;; [unrolled: 2-line block ×3, first 2 shown]
	v_cmp_ge_i64_e64 s[0:1], v[24:25], v[26:27]
	s_or_b64 s[10:11], s[0:1], s[10:11]
	s_waitcnt vmcnt(11)
	v_cvt_f32_f16_sdwa v59, v0 dst_sel:DWORD dst_unused:UNUSED_PAD src0_sel:WORD_1
	v_cvt_f32_f16_e32 v58, v0
	v_cvt_f32_f16_sdwa v77, v1 dst_sel:DWORD dst_unused:UNUSED_PAD src0_sel:WORD_1
	v_cvt_f32_f16_e32 v76, v1
	v_cvt_f32_f16_sdwa v61, v2 dst_sel:DWORD dst_unused:UNUSED_PAD src0_sel:WORD_1
	s_waitcnt vmcnt(6)
	v_subrev_co_u32_e32 v50, vcc, s22, v50
	v_subb_co_u32_e32 v51, vcc, v51, v23, vcc
	s_waitcnt vmcnt(5)
	v_subrev_co_u32_e32 v52, vcc, s22, v52
	v_subb_co_u32_e32 v53, vcc, v53, v23, vcc
	;; [unrolled: 3-line block ×4, first 2 shown]
	v_lshlrev_b64 v[50:51], 3, v[50:51]
	v_add_co_u32_e32 v50, vcc, s6, v50
	v_lshlrev_b64 v[52:53], 3, v[52:53]
	v_addc_co_u32_e32 v51, vcc, v36, v51, vcc
	v_add_co_u32_e32 v52, vcc, s6, v52
	v_lshlrev_b64 v[54:55], 3, v[54:55]
	v_addc_co_u32_e32 v53, vcc, v36, v53, vcc
	;; [unrolled: 3-line block ×3, first 2 shown]
	v_add_co_u32_e32 v56, vcc, s6, v56
	v_addc_co_u32_e32 v57, vcc, v36, v57, vcc
	global_load_dwordx2 v[78:79], v[50:51], off
	global_load_dwordx2 v[80:81], v[52:53], off
	;; [unrolled: 1-line block ×4, first 2 shown]
	s_waitcnt vmcnt(4)
	v_cvt_f32_f16_sdwa v89, v48 dst_sel:DWORD dst_unused:UNUSED_PAD src0_sel:WORD_1
	v_cvt_f32_f16_e32 v88, v48
	v_cvt_f32_f16_e32 v60, v2
	v_cvt_f32_f16_sdwa v1, v3 dst_sel:DWORD dst_unused:UNUSED_PAD src0_sel:WORD_1
	v_cvt_f32_f16_e32 v0, v3
	v_cvt_f32_f16_sdwa v63, v4 dst_sel:DWORD dst_unused:UNUSED_PAD src0_sel:WORD_1
	v_cvt_f32_f16_e32 v62, v4
	v_cvt_f32_f16_sdwa v3, v5 dst_sel:DWORD dst_unused:UNUSED_PAD src0_sel:WORD_1
	v_cvt_f32_f16_e32 v2, v5
	v_cvt_f32_f16_sdwa v65, v6 dst_sel:DWORD dst_unused:UNUSED_PAD src0_sel:WORD_1
	v_cvt_f32_f16_e32 v64, v6
	v_cvt_f32_f16_sdwa v5, v7 dst_sel:DWORD dst_unused:UNUSED_PAD src0_sel:WORD_1
	v_cvt_f32_f16_e32 v4, v7
	v_cvt_f32_f16_sdwa v67, v8 dst_sel:DWORD dst_unused:UNUSED_PAD src0_sel:WORD_1
	v_cvt_f32_f16_e32 v66, v8
	v_cvt_f32_f16_sdwa v7, v9 dst_sel:DWORD dst_unused:UNUSED_PAD src0_sel:WORD_1
	v_cvt_f32_f16_e32 v6, v9
	v_cvt_f32_f16_sdwa v69, v10 dst_sel:DWORD dst_unused:UNUSED_PAD src0_sel:WORD_1
	v_cvt_f32_f16_e32 v68, v10
	v_cvt_f32_f16_sdwa v9, v11 dst_sel:DWORD dst_unused:UNUSED_PAD src0_sel:WORD_1
	v_cvt_f32_f16_e32 v8, v11
	v_cvt_f32_f16_sdwa v71, v12 dst_sel:DWORD dst_unused:UNUSED_PAD src0_sel:WORD_1
	v_cvt_f32_f16_e32 v70, v12
	v_cvt_f32_f16_sdwa v11, v13 dst_sel:DWORD dst_unused:UNUSED_PAD src0_sel:WORD_1
	v_cvt_f32_f16_e32 v10, v13
	v_cvt_f32_f16_sdwa v73, v14 dst_sel:DWORD dst_unused:UNUSED_PAD src0_sel:WORD_1
	v_cvt_f32_f16_e32 v72, v14
	v_cvt_f32_f16_sdwa v13, v15 dst_sel:DWORD dst_unused:UNUSED_PAD src0_sel:WORD_1
	v_cvt_f32_f16_e32 v12, v15
	v_cvt_f32_f16_sdwa v75, v16 dst_sel:DWORD dst_unused:UNUSED_PAD src0_sel:WORD_1
	v_cvt_f32_f16_e32 v74, v16
	v_cvt_f32_f16_sdwa v51, v17 dst_sel:DWORD dst_unused:UNUSED_PAD src0_sel:WORD_1
	v_cvt_f32_f16_e32 v50, v17
	v_cvt_f32_f16_sdwa v15, v18 dst_sel:DWORD dst_unused:UNUSED_PAD src0_sel:WORD_1
	v_cvt_f32_f16_e32 v14, v18
	v_cvt_f32_f16_sdwa v17, v19 dst_sel:DWORD dst_unused:UNUSED_PAD src0_sel:WORD_1
	v_cvt_f32_f16_e32 v16, v19
	v_cvt_f32_f16_sdwa v19, v38 dst_sel:DWORD dst_unused:UNUSED_PAD src0_sel:WORD_1
	v_cvt_f32_f16_e32 v18, v38
	v_cvt_f32_f16_sdwa v53, v39 dst_sel:DWORD dst_unused:UNUSED_PAD src0_sel:WORD_1
	v_cvt_f32_f16_e32 v52, v39
	v_cvt_f32_f16_sdwa v39, v40 dst_sel:DWORD dst_unused:UNUSED_PAD src0_sel:WORD_1
	v_cvt_f32_f16_e32 v38, v40
	v_cvt_f32_f16_sdwa v55, v41 dst_sel:DWORD dst_unused:UNUSED_PAD src0_sel:WORD_1
	v_cvt_f32_f16_e32 v54, v41
	v_cvt_f32_f16_sdwa v41, v42 dst_sel:DWORD dst_unused:UNUSED_PAD src0_sel:WORD_1
	v_cvt_f32_f16_e32 v40, v42
	v_cvt_f32_f16_sdwa v87, v43 dst_sel:DWORD dst_unused:UNUSED_PAD src0_sel:WORD_1
	v_cvt_f32_f16_e32 v86, v43
	v_cvt_f32_f16_sdwa v57, v44 dst_sel:DWORD dst_unused:UNUSED_PAD src0_sel:WORD_1
	v_cvt_f32_f16_e32 v56, v44
	v_cvt_f32_f16_sdwa v43, v45 dst_sel:DWORD dst_unused:UNUSED_PAD src0_sel:WORD_1
	v_cvt_f32_f16_e32 v42, v45
	v_cvt_f32_f16_sdwa v45, v46 dst_sel:DWORD dst_unused:UNUSED_PAD src0_sel:WORD_1
	v_cvt_f32_f16_e32 v44, v46
	v_cvt_f32_f16_sdwa v91, v47 dst_sel:DWORD dst_unused:UNUSED_PAD src0_sel:WORD_1
	v_cvt_f32_f16_e32 v90, v47
	v_cvt_f32_f16_sdwa v47, v49 dst_sel:DWORD dst_unused:UNUSED_PAD src0_sel:WORD_1
	v_cvt_f32_f16_e32 v46, v49
	s_waitcnt vmcnt(3)
	v_cvt_f32_f16_e32 v48, v78
	v_cvt_f32_f16_sdwa v78, v78 dst_sel:DWORD dst_unused:UNUSED_PAD src0_sel:WORD_1
	v_cvt_f32_f16_e32 v92, v79
	v_cvt_f32_f16_sdwa v94, v79 dst_sel:DWORD dst_unused:UNUSED_PAD src0_sel:WORD_1
	v_pk_fma_f32 v[32:33], v[58:59], v[48:49], v[32:33] op_sel_hi:[1,0,1]
	s_waitcnt vmcnt(2)
	v_cvt_f32_f16_e32 v58, v80
	v_pk_fma_f32 v[30:31], v[76:77], v[48:49], v[30:31] op_sel_hi:[1,0,1]
	v_cvt_f32_f16_sdwa v48, v80 dst_sel:DWORD dst_unused:UNUSED_PAD src0_sel:WORD_1
	v_pk_fma_f32 v[32:33], v[60:61], v[78:79], v[32:33] op_sel_hi:[1,0,1]
	v_pk_fma_f32 v[0:1], v[0:1], v[78:79], v[30:31] op_sel_hi:[1,0,1]
	v_cvt_f32_f16_e32 v76, v81
	v_pk_fma_f32 v[32:33], v[62:63], v[92:93], v[32:33] op_sel_hi:[1,0,1]
	v_pk_fma_f32 v[0:1], v[2:3], v[92:93], v[0:1] op_sel_hi:[1,0,1]
	v_cvt_f32_f16_sdwa v80, v81 dst_sel:DWORD dst_unused:UNUSED_PAD src0_sel:WORD_1
	v_pk_fma_f32 v[32:33], v[64:65], v[94:95], v[32:33] op_sel_hi:[1,0,1]
	v_pk_fma_f32 v[0:1], v[4:5], v[94:95], v[0:1] op_sel_hi:[1,0,1]
	s_waitcnt vmcnt(1)
	v_cvt_f32_f16_e32 v60, v82
	v_pk_fma_f32 v[4:5], v[66:67], v[58:59], v[32:33] op_sel_hi:[1,0,1]
	v_pk_fma_f32 v[0:1], v[6:7], v[58:59], v[0:1] op_sel_hi:[1,0,1]
	v_cvt_f32_f16_sdwa v30, v82 dst_sel:DWORD dst_unused:UNUSED_PAD src0_sel:WORD_1
	v_pk_fma_f32 v[4:5], v[68:69], v[48:49], v[4:5] op_sel_hi:[1,0,1]
	v_pk_fma_f32 v[0:1], v[8:9], v[48:49], v[0:1] op_sel_hi:[1,0,1]
	v_cvt_f32_f16_e32 v78, v83
	v_pk_fma_f32 v[4:5], v[70:71], v[76:77], v[4:5] op_sel_hi:[1,0,1]
	v_pk_fma_f32 v[0:1], v[10:11], v[76:77], v[0:1] op_sel_hi:[1,0,1]
	v_cvt_f32_f16_sdwa v82, v83 dst_sel:DWORD dst_unused:UNUSED_PAD src0_sel:WORD_1
	v_pk_fma_f32 v[4:5], v[72:73], v[80:81], v[4:5] op_sel_hi:[1,0,1]
	v_pk_fma_f32 v[0:1], v[12:13], v[80:81], v[0:1] op_sel_hi:[1,0,1]
	s_waitcnt vmcnt(0)
	v_cvt_f32_f16_e32 v62, v84
	v_pk_fma_f32 v[4:5], v[74:75], v[60:61], v[4:5] op_sel_hi:[1,0,1]
	v_pk_fma_f32 v[0:1], v[50:51], v[60:61], v[0:1] op_sel_hi:[1,0,1]
	v_cvt_f32_f16_sdwa v2, v84 dst_sel:DWORD dst_unused:UNUSED_PAD src0_sel:WORD_1
	v_pk_fma_f32 v[4:5], v[14:15], v[30:31], v[4:5] op_sel_hi:[1,0,1]
	v_pk_fma_f32 v[0:1], v[16:17], v[30:31], v[0:1] op_sel_hi:[1,0,1]
	v_cvt_f32_f16_e32 v84, v85
	v_pk_fma_f32 v[4:5], v[18:19], v[78:79], v[4:5] op_sel_hi:[1,0,1]
	v_pk_fma_f32 v[0:1], v[52:53], v[78:79], v[0:1] op_sel_hi:[1,0,1]
	v_cvt_f32_f16_sdwa v92, v85 dst_sel:DWORD dst_unused:UNUSED_PAD src0_sel:WORD_1
	v_pk_fma_f32 v[4:5], v[38:39], v[82:83], v[4:5] op_sel_hi:[1,0,1]
	v_pk_fma_f32 v[0:1], v[54:55], v[82:83], v[0:1] op_sel_hi:[1,0,1]
	;; [unrolled: 1-line block ×10, first 2 shown]
	s_andn2_b64 exec, exec, s[10:11]
	s_cbranch_execnz .LBB100_35
; %bb.36:
	s_or_b64 exec, exec, s[10:11]
.LBB100_37:
	s_or_b64 exec, exec, s[8:9]
.LBB100_38:
	s_or_b64 exec, exec, s[2:3]
.LBB100_39:
	v_mov_b32_dpp v0, v32 row_shr:1 row_mask:0xf bank_mask:0xf
	v_mov_b32_dpp v1, v33 row_shr:1 row_mask:0xf bank_mask:0xf
	;; [unrolled: 1-line block ×4, first 2 shown]
	v_pk_add_f32 v[0:1], v[32:33], v[0:1]
	v_pk_add_f32 v[4:5], v[30:31], v[4:5]
	v_cmp_eq_u32_e32 vcc, 3, v22
	v_mov_b32_dpp v2, v0 row_shr:2 row_mask:0xf bank_mask:0xf
	v_mov_b32_dpp v3, v1 row_shr:2 row_mask:0xf bank_mask:0xf
	;; [unrolled: 1-line block ×4, first 2 shown]
	s_and_b64 exec, exec, vcc
	s_cbranch_execz .LBB100_10
; %bb.40:
	s_load_dwordx2 s[0:1], s[4:5], 0x58
	v_cmp_eq_f32_e64 s[2:3], s20, 0
	v_pk_add_f32 v[2:3], v[0:1], v[2:3]
	v_pk_add_f32 v[0:1], v[4:5], v[6:7]
	s_and_b64 vcc, exec, s[2:3]
	v_lshlrev_b64 v[4:5], 4, v[20:21]
	s_cbranch_vccz .LBB100_42
; %bb.41:
	s_waitcnt lgkmcnt(0)
	v_mov_b32_e32 v6, s1
	v_add_co_u32_e32 v10, vcc, s0, v4
	v_addc_co_u32_e32 v11, vcc, v6, v5, vcc
	v_pk_mul_f32 v[6:7], s[16:17], v[2:3] op_sel_hi:[0,1]
	v_pk_mul_f32 v[8:9], s[16:17], v[0:1] op_sel_hi:[0,1]
	global_store_dwordx4 v[10:11], v[6:9], off
	s_cbranch_execnz .LBB100_10
	s_branch .LBB100_43
.LBB100_42:
.LBB100_43:
	s_waitcnt lgkmcnt(0)
	v_mov_b32_e32 v6, s1
	v_add_co_u32_e32 v8, vcc, s0, v4
	v_addc_co_u32_e32 v9, vcc, v6, v5, vcc
	global_load_dwordx4 v[4:7], v[8:9], off
	v_pk_mul_f32 v[2:3], s[16:17], v[2:3] op_sel_hi:[0,1]
	v_pk_mul_f32 v[10:11], s[16:17], v[0:1] op_sel_hi:[0,1]
	s_waitcnt vmcnt(0)
	v_pk_fma_f32 v[0:1], s[20:21], v[4:5], v[2:3] op_sel_hi:[0,1,1]
	v_pk_fma_f32 v[2:3], s[20:21], v[6:7], v[10:11] op_sel_hi:[0,1,1]
	global_store_dwordx4 v[8:9], v[0:3], off
	s_endpgm
	.section	.rodata,"a",@progbits
	.p2align	6, 0x0
	.amdhsa_kernel _ZN9rocsparseL18bsrxmvn_4x4_kernelILj128ELj4EfllDF16_DF16_fEEvT3_20rocsparse_direction_NS_24const_host_device_scalarIT1_EES1_PKS1_PKT2_SA_S7_PKT4_PKT5_S5_PT6_21rocsparse_index_base_b
		.amdhsa_group_segment_fixed_size 0
		.amdhsa_private_segment_fixed_size 0
		.amdhsa_kernarg_size 104
		.amdhsa_user_sgpr_count 6
		.amdhsa_user_sgpr_private_segment_buffer 1
		.amdhsa_user_sgpr_dispatch_ptr 0
		.amdhsa_user_sgpr_queue_ptr 0
		.amdhsa_user_sgpr_kernarg_segment_ptr 1
		.amdhsa_user_sgpr_dispatch_id 0
		.amdhsa_user_sgpr_flat_scratch_init 0
		.amdhsa_user_sgpr_kernarg_preload_length 0
		.amdhsa_user_sgpr_kernarg_preload_offset 0
		.amdhsa_user_sgpr_private_segment_size 0
		.amdhsa_uses_dynamic_stack 0
		.amdhsa_system_sgpr_private_segment_wavefront_offset 0
		.amdhsa_system_sgpr_workgroup_id_x 1
		.amdhsa_system_sgpr_workgroup_id_y 0
		.amdhsa_system_sgpr_workgroup_id_z 0
		.amdhsa_system_sgpr_workgroup_info 0
		.amdhsa_system_vgpr_workitem_id 0
		.amdhsa_next_free_vgpr 102
		.amdhsa_next_free_sgpr 24
		.amdhsa_accum_offset 104
		.amdhsa_reserve_vcc 1
		.amdhsa_reserve_flat_scratch 0
		.amdhsa_float_round_mode_32 0
		.amdhsa_float_round_mode_16_64 0
		.amdhsa_float_denorm_mode_32 3
		.amdhsa_float_denorm_mode_16_64 3
		.amdhsa_dx10_clamp 1
		.amdhsa_ieee_mode 1
		.amdhsa_fp16_overflow 0
		.amdhsa_tg_split 0
		.amdhsa_exception_fp_ieee_invalid_op 0
		.amdhsa_exception_fp_denorm_src 0
		.amdhsa_exception_fp_ieee_div_zero 0
		.amdhsa_exception_fp_ieee_overflow 0
		.amdhsa_exception_fp_ieee_underflow 0
		.amdhsa_exception_fp_ieee_inexact 0
		.amdhsa_exception_int_div_zero 0
	.end_amdhsa_kernel
	.section	.text._ZN9rocsparseL18bsrxmvn_4x4_kernelILj128ELj4EfllDF16_DF16_fEEvT3_20rocsparse_direction_NS_24const_host_device_scalarIT1_EES1_PKS1_PKT2_SA_S7_PKT4_PKT5_S5_PT6_21rocsparse_index_base_b,"axG",@progbits,_ZN9rocsparseL18bsrxmvn_4x4_kernelILj128ELj4EfllDF16_DF16_fEEvT3_20rocsparse_direction_NS_24const_host_device_scalarIT1_EES1_PKS1_PKT2_SA_S7_PKT4_PKT5_S5_PT6_21rocsparse_index_base_b,comdat
.Lfunc_end100:
	.size	_ZN9rocsparseL18bsrxmvn_4x4_kernelILj128ELj4EfllDF16_DF16_fEEvT3_20rocsparse_direction_NS_24const_host_device_scalarIT1_EES1_PKS1_PKT2_SA_S7_PKT4_PKT5_S5_PT6_21rocsparse_index_base_b, .Lfunc_end100-_ZN9rocsparseL18bsrxmvn_4x4_kernelILj128ELj4EfllDF16_DF16_fEEvT3_20rocsparse_direction_NS_24const_host_device_scalarIT1_EES1_PKS1_PKT2_SA_S7_PKT4_PKT5_S5_PT6_21rocsparse_index_base_b
                                        ; -- End function
	.section	.AMDGPU.csdata,"",@progbits
; Kernel info:
; codeLenInByte = 4008
; NumSgprs: 28
; NumVgprs: 102
; NumAgprs: 0
; TotalNumVgprs: 102
; ScratchSize: 0
; MemoryBound: 0
; FloatMode: 240
; IeeeMode: 1
; LDSByteSize: 0 bytes/workgroup (compile time only)
; SGPRBlocks: 3
; VGPRBlocks: 12
; NumSGPRsForWavesPerEU: 28
; NumVGPRsForWavesPerEU: 102
; AccumOffset: 104
; Occupancy: 4
; WaveLimiterHint : 1
; COMPUTE_PGM_RSRC2:SCRATCH_EN: 0
; COMPUTE_PGM_RSRC2:USER_SGPR: 6
; COMPUTE_PGM_RSRC2:TRAP_HANDLER: 0
; COMPUTE_PGM_RSRC2:TGID_X_EN: 1
; COMPUTE_PGM_RSRC2:TGID_Y_EN: 0
; COMPUTE_PGM_RSRC2:TGID_Z_EN: 0
; COMPUTE_PGM_RSRC2:TIDIG_COMP_CNT: 0
; COMPUTE_PGM_RSRC3_GFX90A:ACCUM_OFFSET: 25
; COMPUTE_PGM_RSRC3_GFX90A:TG_SPLIT: 0
	.section	.text._ZN9rocsparseL18bsrxmvn_4x4_kernelILj128ELj8EfllDF16_DF16_fEEvT3_20rocsparse_direction_NS_24const_host_device_scalarIT1_EES1_PKS1_PKT2_SA_S7_PKT4_PKT5_S5_PT6_21rocsparse_index_base_b,"axG",@progbits,_ZN9rocsparseL18bsrxmvn_4x4_kernelILj128ELj8EfllDF16_DF16_fEEvT3_20rocsparse_direction_NS_24const_host_device_scalarIT1_EES1_PKS1_PKT2_SA_S7_PKT4_PKT5_S5_PT6_21rocsparse_index_base_b,comdat
	.globl	_ZN9rocsparseL18bsrxmvn_4x4_kernelILj128ELj8EfllDF16_DF16_fEEvT3_20rocsparse_direction_NS_24const_host_device_scalarIT1_EES1_PKS1_PKT2_SA_S7_PKT4_PKT5_S5_PT6_21rocsparse_index_base_b ; -- Begin function _ZN9rocsparseL18bsrxmvn_4x4_kernelILj128ELj8EfllDF16_DF16_fEEvT3_20rocsparse_direction_NS_24const_host_device_scalarIT1_EES1_PKS1_PKT2_SA_S7_PKT4_PKT5_S5_PT6_21rocsparse_index_base_b
	.p2align	8
	.type	_ZN9rocsparseL18bsrxmvn_4x4_kernelILj128ELj8EfllDF16_DF16_fEEvT3_20rocsparse_direction_NS_24const_host_device_scalarIT1_EES1_PKS1_PKT2_SA_S7_PKT4_PKT5_S5_PT6_21rocsparse_index_base_b,@function
_ZN9rocsparseL18bsrxmvn_4x4_kernelILj128ELj8EfllDF16_DF16_fEEvT3_20rocsparse_direction_NS_24const_host_device_scalarIT1_EES1_PKS1_PKT2_SA_S7_PKT4_PKT5_S5_PT6_21rocsparse_index_base_b: ; @_ZN9rocsparseL18bsrxmvn_4x4_kernelILj128ELj8EfllDF16_DF16_fEEvT3_20rocsparse_direction_NS_24const_host_device_scalarIT1_EES1_PKS1_PKT2_SA_S7_PKT4_PKT5_S5_PT6_21rocsparse_index_base_b
; %bb.0:
	s_load_dwordx2 s[22:23], s[4:5], 0x60
	s_load_dwordx4 s[16:19], s[4:5], 0x10
	s_load_dwordx2 s[20:21], s[4:5], 0x50
	s_waitcnt lgkmcnt(0)
	s_bitcmp1_b32 s23, 0
	s_cselect_b64 s[2:3], -1, 0
	s_xor_b64 s[0:1], s[2:3], -1
	s_and_b64 vcc, exec, s[2:3]
	s_cbranch_vccnz .LBB101_2
; %bb.1:
	s_load_dword s16, s[16:17], 0x0
.LBB101_2:
	s_andn2_b64 vcc, exec, s[0:1]
	s_cbranch_vccnz .LBB101_4
; %bb.3:
	s_load_dword s20, s[20:21], 0x0
.LBB101_4:
	s_waitcnt lgkmcnt(0)
	v_cmp_neq_f32_e64 s[0:1], s16, 0
	v_cmp_neq_f32_e64 s[2:3], s20, 1.0
	s_or_b64 s[0:1], s[0:1], s[2:3]
	s_andn2_b64 vcc, exec, s[0:1]
	s_cbranch_vccnz .LBB101_10
; %bb.5:
	s_load_dwordx2 s[2:3], s[4:5], 0x20
	v_lshrrev_b32_e32 v1, 3, v0
	v_lshl_or_b32 v2, s6, 4, v1
	v_mov_b32_e32 v3, 0
	s_mov_b64 s[0:1], 0
	s_waitcnt lgkmcnt(0)
	s_cmp_lg_u64 s[2:3], 0
	s_cbranch_scc0 .LBB101_11
; %bb.6:
	v_cmp_gt_i64_e32 vcc, s[18:19], v[2:3]
                                        ; implicit-def: $vgpr20_vgpr21
	s_and_saveexec_b64 s[6:7], vcc
	s_xor_b64 s[6:7], exec, s[6:7]
                                        ; implicit-def: $sgpr18_sgpr19
	s_cbranch_execz .LBB101_8
; %bb.7:
	v_lshlrev_b64 v[4:5], 3, v[2:3]
	v_mov_b32_e32 v1, s3
	v_add_co_u32_e32 v4, vcc, s2, v4
	v_addc_co_u32_e32 v5, vcc, v1, v5, vcc
	global_load_dwordx2 v[4:5], v[4:5], off
	s_mov_b64 s[0:1], exec
	s_mov_b32 s19, 0
	s_waitcnt vmcnt(0)
	v_subrev_co_u32_e32 v20, vcc, s22, v4
	v_subbrev_co_u32_e32 v21, vcc, 0, v5, vcc
.LBB101_8:
	s_or_b64 exec, exec, s[6:7]
.LBB101_9:
	s_and_saveexec_b64 s[2:3], s[0:1]
	s_cbranch_execnz .LBB101_15
.LBB101_10:
	s_endpgm
.LBB101_11:
                                        ; implicit-def: $vgpr20_vgpr21
                                        ; implicit-def: $sgpr18_sgpr19
	s_cbranch_execz .LBB101_9
; %bb.12:
	s_load_dwordx2 s[2:3], s[4:5], 0x0
                                        ; implicit-def: $vgpr20_vgpr21
	s_waitcnt lgkmcnt(0)
	v_cmp_gt_i64_e32 vcc, s[2:3], v[2:3]
	s_and_saveexec_b64 s[2:3], vcc
                                        ; implicit-def: $sgpr18_sgpr19
; %bb.13:
	s_mov_b32 s19, 0
	s_or_b64 s[0:1], s[0:1], exec
	v_pk_mov_b32 v[20:21], v[2:3], v[2:3] op_sel:[0,1]
; %bb.14:
	s_or_b64 exec, exec, s[2:3]
	s_and_saveexec_b64 s[2:3], s[0:1]
	s_cbranch_execz .LBB101_10
.LBB101_15:
	s_load_dwordx8 s[8:15], s[4:5], 0x28
	v_lshlrev_b64 v[2:3], 3, v[20:21]
	v_and_b32_e32 v22, 7, v0
	v_mov_b32_e32 v0, s19
	v_mov_b32_e32 v31, 0
	s_waitcnt lgkmcnt(0)
	v_mov_b32_e32 v1, s9
	v_add_co_u32_e32 v4, vcc, s8, v2
	v_addc_co_u32_e32 v5, vcc, v1, v3, vcc
	v_add_co_u32_e32 v1, vcc, 8, v4
	global_load_dwordx2 v[34:35], v[4:5], off
	v_addc_co_u32_e32 v4, vcc, 0, v5, vcc
	v_mov_b32_e32 v5, s11
	v_add_co_u32_e32 v2, vcc, s10, v2
	s_cmp_eq_u64 s[10:11], 0
	v_addc_co_u32_e32 v3, vcc, v5, v3, vcc
	s_cselect_b64 vcc, -1, 0
	v_cndmask_b32_e32 v3, v3, v4, vcc
	v_cndmask_b32_e32 v2, v2, v1, vcc
	global_load_dwordx2 v[2:3], v[2:3], off
	s_load_dwordx2 s[6:7], s[4:5], 0x48
	s_load_dword s0, s[4:5], 0x8
	v_mov_b32_e32 v4, s15
	s_waitcnt lgkmcnt(0)
	s_cmp_eq_u32 s0, 1
	s_waitcnt vmcnt(1)
	v_subrev_co_u32_e32 v1, vcc, s22, v34
	v_subb_co_u32_e32 v5, vcc, v35, v0, vcc
	v_add_co_u32_e32 v24, vcc, v1, v22
	v_addc_co_u32_e32 v25, vcc, 0, v5, vcc
	s_waitcnt vmcnt(0)
	v_subrev_co_u32_e32 v26, vcc, s22, v2
	v_subb_co_u32_e32 v27, vcc, v3, v0, vcc
	v_lshlrev_b64 v[0:1], 5, v[24:25]
	v_add_co_u32_e32 v28, vcc, s14, v0
	v_addc_co_u32_e32 v29, vcc, v4, v1, vcc
	v_cmp_lt_i64_e64 s[0:1], v[24:25], v[26:27]
	s_cbranch_scc1 .LBB101_27
; %bb.16:
	v_mov_b32_e32 v30, 0
	v_mov_b32_e32 v33, 0
	;; [unrolled: 1-line block ×3, first 2 shown]
	s_and_saveexec_b64 s[8:9], s[0:1]
	s_cbranch_execz .LBB101_26
; %bb.17:
	v_or_b32_e32 v0, 8, v22
	v_mov_b32_e32 v1, s19
	v_subrev_co_u32_e32 v0, vcc, s22, v0
	v_subb_co_u32_e32 v1, vcc, 0, v1, vcc
	v_add_co_u32_e32 v0, vcc, v0, v34
	v_addc_co_u32_e32 v1, vcc, v1, v35, vcc
	v_cmp_gt_i64_e32 vcc, v[0:1], v[26:27]
	v_cndmask_b32_e32 v1, v27, v1, vcc
	v_cndmask_b32_e32 v0, v26, v0, vcc
	v_mov_b32_e32 v4, s19
	v_sub_co_u32_e32 v5, vcc, s22, v22
	v_not_b32_e32 v3, v34
	v_subbrev_co_u32_e32 v4, vcc, 0, v4, vcc
	v_not_b32_e32 v2, v35
	v_add_co_u32_e32 v3, vcc, v5, v3
	v_addc_co_u32_e32 v2, vcc, v4, v2, vcc
	v_add_co_u32_e32 v0, vcc, v3, v0
	v_addc_co_u32_e32 v1, vcc, v2, v1, vcc
	v_lshrrev_b32_e32 v2, 3, v0
	v_add_u32_e32 v2, 1, v2
	v_and_b32_e32 v2, 3, v2
	v_mov_b32_e32 v32, 0
	v_cmp_ne_u32_e32 vcc, 0, v2
	v_mov_b32_e32 v33, v32
	v_mov_b32_e32 v30, v32
	v_mov_b32_e32 v31, v32
	v_pk_mov_b32 v[36:37], v[24:25], v[24:25] op_sel:[0,1]
	v_pk_mov_b32 v[38:39], v[28:29], v[28:29] op_sel:[0,1]
	s_and_saveexec_b64 s[2:3], vcc
	s_cbranch_execz .LBB101_21
; %bb.18:
	v_lshlrev_b64 v[4:5], 3, v[24:25]
	v_mov_b32_e32 v3, 0
	v_mov_b32_e32 v6, s13
	v_add_co_u32_e32 v4, vcc, s12, v4
	v_addc_co_u32_e32 v5, vcc, v6, v5, vcc
	v_lshlrev_b32_e32 v2, 2, v2
	s_mov_b64 s[10:11], 0
	v_mov_b32_e32 v6, s19
	v_mov_b32_e32 v7, s7
	s_movk_i32 s14, 0x100
	v_pk_mov_b32 v[38:39], v[28:29], v[28:29] op_sel:[0,1]
	v_pk_mov_b32 v[36:37], v[24:25], v[24:25] op_sel:[0,1]
	v_mov_b32_e32 v31, v3
	v_mov_b32_e32 v30, v3
	;; [unrolled: 1-line block ×4, first 2 shown]
.LBB101_19:                             ; =>This Inner Loop Header: Depth=1
	global_load_dwordx2 v[16:17], v[4:5], off
	global_load_dwordx4 v[8:11], v[38:39], off
	global_load_dwordx4 v[12:15], v[38:39], off offset:16
	s_waitcnt vmcnt(2)
	v_subrev_co_u32_e32 v16, vcc, s22, v16
	v_subb_co_u32_e32 v17, vcc, v17, v6, vcc
	v_lshlrev_b64 v[16:17], 3, v[16:17]
	v_add_co_u32_e32 v16, vcc, s6, v16
	v_addc_co_u32_e32 v17, vcc, v7, v17, vcc
	global_load_dwordx2 v[16:17], v[16:17], off
	v_add_co_u32_e32 v38, vcc, s14, v38
	v_addc_co_u32_e32 v39, vcc, 0, v39, vcc
	v_add_co_u32_e32 v36, vcc, 8, v36
	s_waitcnt vmcnt(2)
	v_cvt_f32_f16_e32 v18, v8
	v_cvt_f32_f16_e32 v19, v10
	v_cvt_f32_f16_sdwa v41, v10 dst_sel:DWORD dst_unused:UNUSED_PAD src0_sel:WORD_1
	v_cvt_f32_f16_sdwa v40, v8 dst_sel:DWORD dst_unused:UNUSED_PAD src0_sel:WORD_1
	v_cvt_f32_f16_e32 v42, v9
	v_cvt_f32_f16_sdwa v10, v9 dst_sel:DWORD dst_unused:UNUSED_PAD src0_sel:WORD_1
	s_waitcnt vmcnt(1)
	v_cvt_f32_f16_e32 v8, v12
	v_cvt_f32_f16_e32 v9, v14
	v_cvt_f32_f16_sdwa v44, v12 dst_sel:DWORD dst_unused:UNUSED_PAD src0_sel:WORD_1
	v_addc_co_u32_e32 v37, vcc, 0, v37, vcc
	v_cvt_f32_f16_sdwa v45, v14 dst_sel:DWORD dst_unused:UNUSED_PAD src0_sel:WORD_1
	v_add_co_u32_e32 v4, vcc, 64, v4
	v_cvt_f32_f16_e32 v43, v11
	v_cvt_f32_f16_e32 v47, v15
	;; [unrolled: 1-line block ×3, first 2 shown]
	v_addc_co_u32_e32 v5, vcc, 0, v5, vcc
	v_cvt_f32_f16_sdwa v11, v11 dst_sel:DWORD dst_unused:UNUSED_PAD src0_sel:WORD_1
	v_cvt_f32_f16_sdwa v15, v15 dst_sel:DWORD dst_unused:UNUSED_PAD src0_sel:WORD_1
	;; [unrolled: 1-line block ×3, first 2 shown]
	v_add_co_u32_e32 v2, vcc, -4, v2
	v_addc_co_u32_e32 v3, vcc, -1, v3, vcc
	v_cmp_eq_u64_e32 vcc, 0, v[2:3]
	s_or_b64 s[10:11], vcc, s[10:11]
	s_waitcnt vmcnt(0)
	v_cvt_f32_f16_e32 v12, v16
	v_cvt_f32_f16_sdwa v16, v16 dst_sel:DWORD dst_unused:UNUSED_PAD src0_sel:WORD_1
	v_cvt_f32_f16_e32 v48, v17
	v_cvt_f32_f16_sdwa v50, v17 dst_sel:DWORD dst_unused:UNUSED_PAD src0_sel:WORD_1
	v_pk_fma_f32 v[18:19], v[18:19], v[12:13], v[32:33] op_sel_hi:[1,0,1]
	v_pk_fma_f32 v[8:9], v[8:9], v[12:13], v[30:31] op_sel_hi:[1,0,1]
	;; [unrolled: 1-line block ×8, first 2 shown]
	s_andn2_b64 exec, exec, s[10:11]
	s_cbranch_execnz .LBB101_19
; %bb.20:
	s_or_b64 exec, exec, s[10:11]
.LBB101_21:
	s_or_b64 exec, exec, s[2:3]
	v_cmp_lt_u64_e32 vcc, 23, v[0:1]
	s_and_saveexec_b64 s[10:11], vcc
	s_cbranch_execz .LBB101_25
; %bb.22:
	v_lshlrev_b64 v[0:1], 3, v[36:37]
	v_mov_b32_e32 v2, s13
	v_add_co_u32_e32 v0, vcc, s12, v0
	v_addc_co_u32_e32 v1, vcc, v1, v2, vcc
	v_add_co_u32_e32 v40, vcc, 0x80, v0
	v_addc_co_u32_e32 v41, vcc, 0, v1, vcc
	s_mov_b64 s[14:15], 0
	v_mov_b32_e32 v23, s19
	v_mov_b32_e32 v48, s7
.LBB101_23:                             ; =>This Inner Loop Header: Depth=1
	global_load_dwordx2 v[62:63], v[40:41], off offset:-128
	global_load_dwordx4 v[12:15], v[38:39], off
	global_load_dwordx4 v[0:3], v[38:39], off offset:16
	global_load_dwordx2 v[46:47], v[40:41], off offset:-64
	global_load_dwordx2 v[42:43], v[40:41], off
	global_load_dwordx4 v[8:11], v[38:39], off offset:512
	global_load_dwordx4 v[16:19], v[38:39], off offset:256
	global_load_dwordx2 v[44:45], v[40:41], off offset:64
	global_load_dwordx4 v[4:7], v[38:39], off offset:272
	global_load_dwordx4 v[50:53], v[38:39], off offset:528
	;; [unrolled: 1-line block ×4, first 2 shown]
	v_add_co_u32_e32 v36, vcc, 32, v36
	v_addc_co_u32_e32 v37, vcc, 0, v37, vcc
	v_add_co_u32_e32 v40, vcc, 0x100, v40
	v_addc_co_u32_e32 v41, vcc, 0, v41, vcc
	;; [unrolled: 2-line block ×3, first 2 shown]
	v_cmp_ge_i64_e64 s[2:3], v[36:37], v[26:27]
	s_or_b64 s[14:15], s[2:3], s[14:15]
	s_waitcnt vmcnt(11)
	v_subrev_co_u32_e32 v62, vcc, s22, v62
	v_subb_co_u32_e32 v63, vcc, v63, v23, vcc
	s_waitcnt vmcnt(8)
	v_subrev_co_u32_e32 v46, vcc, s22, v46
	v_subb_co_u32_e32 v47, vcc, v47, v23, vcc
	;; [unrolled: 3-line block ×3, first 2 shown]
	v_cvt_f32_f16_e32 v64, v12
	v_cvt_f32_f16_sdwa v70, v12 dst_sel:DWORD dst_unused:UNUSED_PAD src0_sel:WORD_1
	s_waitcnt vmcnt(5)
	v_cvt_f32_f16_e32 v12, v16
	v_cvt_f32_f16_sdwa v74, v16 dst_sel:DWORD dst_unused:UNUSED_PAD src0_sel:WORD_1
	v_cvt_f32_f16_e32 v16, v8
	v_cvt_f32_f16_sdwa v78, v8 dst_sel:DWORD dst_unused:UNUSED_PAD src0_sel:WORD_1
	s_waitcnt vmcnt(4)
	v_subrev_co_u32_e32 v8, vcc, s22, v44
	v_cvt_f32_f16_sdwa v68, v9 dst_sel:DWORD dst_unused:UNUSED_PAD src0_sel:WORD_1
	v_cvt_f32_f16_e32 v80, v9
	v_subb_co_u32_e32 v9, vcc, v45, v23, vcc
	v_lshlrev_b64 v[44:45], 3, v[62:63]
	v_add_co_u32_e32 v44, vcc, s6, v44
	v_lshlrev_b64 v[46:47], 3, v[46:47]
	v_addc_co_u32_e32 v45, vcc, v48, v45, vcc
	v_add_co_u32_e32 v46, vcc, s6, v46
	v_lshlrev_b64 v[42:43], 3, v[42:43]
	v_addc_co_u32_e32 v47, vcc, v48, v47, vcc
	;; [unrolled: 3-line block ×3, first 2 shown]
	v_add_co_u32_e32 v8, vcc, s6, v8
	v_addc_co_u32_e32 v9, vcc, v48, v9, vcc
	global_load_dwordx2 v[62:63], v[44:45], off
	global_load_dwordx2 v[82:83], v[46:47], off
	;; [unrolled: 1-line block ×4, first 2 shown]
	v_cvt_f32_f16_e32 v65, v14
	v_cvt_f32_f16_e32 v66, v0
	;; [unrolled: 1-line block ×3, first 2 shown]
	v_cvt_f32_f16_sdwa v71, v14 dst_sel:DWORD dst_unused:UNUSED_PAD src0_sel:WORD_1
	v_cvt_f32_f16_e32 v72, v13
	v_cvt_f32_f16_sdwa v14, v13 dst_sel:DWORD dst_unused:UNUSED_PAD src0_sel:WORD_1
	v_cvt_f32_f16_e32 v13, v18
	;; [unrolled: 2-line block ×5, first 2 shown]
	v_cvt_f32_f16_sdwa v69, v11 dst_sel:DWORD dst_unused:UNUSED_PAD src0_sel:WORD_1
	v_cvt_f32_f16_sdwa v11, v2 dst_sel:DWORD dst_unused:UNUSED_PAD src0_sel:WORD_1
	;; [unrolled: 1-line block ×3, first 2 shown]
	v_cvt_f32_f16_e32 v42, v1
	v_cvt_f32_f16_sdwa v2, v1 dst_sel:DWORD dst_unused:UNUSED_PAD src0_sel:WORD_1
	s_waitcnt vmcnt(7)
	v_cvt_f32_f16_e32 v1, v6
	v_cvt_f32_f16_e32 v0, v4
	v_cvt_f32_f16_sdwa v45, v6 dst_sel:DWORD dst_unused:UNUSED_PAD src0_sel:WORD_1
	v_cvt_f32_f16_sdwa v44, v4 dst_sel:DWORD dst_unused:UNUSED_PAD src0_sel:WORD_1
	v_cvt_f32_f16_e32 v46, v5
	v_cvt_f32_f16_sdwa v6, v5 dst_sel:DWORD dst_unused:UNUSED_PAD src0_sel:WORD_1
	s_waitcnt vmcnt(6)
	v_cvt_f32_f16_e32 v5, v52
	v_cvt_f32_f16_e32 v4, v50
	v_cvt_f32_f16_sdwa v89, v52 dst_sel:DWORD dst_unused:UNUSED_PAD src0_sel:WORD_1
	v_cvt_f32_f16_sdwa v88, v50 dst_sel:DWORD dst_unused:UNUSED_PAD src0_sel:WORD_1
	s_waitcnt vmcnt(5)
	v_cvt_f32_f16_e32 v50, v54
	v_cvt_f32_f16_sdwa v52, v54 dst_sel:DWORD dst_unused:UNUSED_PAD src0_sel:WORD_1
	s_waitcnt vmcnt(4)
	v_cvt_f32_f16_e32 v54, v58
	v_cvt_f32_f16_sdwa v94, v58 dst_sel:DWORD dst_unused:UNUSED_PAD src0_sel:WORD_1
	v_cvt_f32_f16_e32 v73, v15
	v_cvt_f32_f16_e32 v43, v3
	v_cvt_f32_f16_sdwa v15, v15 dst_sel:DWORD dst_unused:UNUSED_PAD src0_sel:WORD_1
	v_cvt_f32_f16_sdwa v3, v3 dst_sel:DWORD dst_unused:UNUSED_PAD src0_sel:WORD_1
	v_cvt_f32_f16_e32 v77, v19
	v_cvt_f32_f16_e32 v47, v7
	v_cvt_f32_f16_sdwa v19, v19 dst_sel:DWORD dst_unused:UNUSED_PAD src0_sel:WORD_1
	;; [unrolled: 4-line block ×3, first 2 shown]
	v_cvt_f32_f16_sdwa v9, v53 dst_sel:DWORD dst_unused:UNUSED_PAD src0_sel:WORD_1
	v_cvt_f32_f16_e32 v51, v56
	v_cvt_f32_f16_sdwa v53, v56 dst_sel:DWORD dst_unused:UNUSED_PAD src0_sel:WORD_1
	v_cvt_f32_f16_e32 v92, v55
	v_cvt_f32_f16_sdwa v56, v55 dst_sel:DWORD dst_unused:UNUSED_PAD src0_sel:WORD_1
	v_cvt_f32_f16_e32 v55, v60
	v_cvt_f32_f16_sdwa v95, v60 dst_sel:DWORD dst_unused:UNUSED_PAD src0_sel:WORD_1
	v_cvt_f32_f16_e32 v93, v57
	v_cvt_f32_f16_e32 v97, v61
	v_cvt_f32_f16_e32 v96, v59
	v_cvt_f32_f16_sdwa v57, v57 dst_sel:DWORD dst_unused:UNUSED_PAD src0_sel:WORD_1
	v_cvt_f32_f16_sdwa v61, v61 dst_sel:DWORD dst_unused:UNUSED_PAD src0_sel:WORD_1
	;; [unrolled: 1-line block ×3, first 2 shown]
	s_waitcnt vmcnt(3)
	v_cvt_f32_f16_e32 v58, v62
	v_cvt_f32_f16_sdwa v62, v62 dst_sel:DWORD dst_unused:UNUSED_PAD src0_sel:WORD_1
	v_cvt_f32_f16_e32 v98, v63
	v_cvt_f32_f16_sdwa v100, v63 dst_sel:DWORD dst_unused:UNUSED_PAD src0_sel:WORD_1
	v_pk_fma_f32 v[32:33], v[64:65], v[58:59], v[32:33] op_sel_hi:[1,0,1]
	s_waitcnt vmcnt(2)
	v_cvt_f32_f16_e32 v64, v82
	v_pk_fma_f32 v[30:31], v[66:67], v[58:59], v[30:31] op_sel_hi:[1,0,1]
	v_cvt_f32_f16_sdwa v58, v82 dst_sel:DWORD dst_unused:UNUSED_PAD src0_sel:WORD_1
	v_pk_fma_f32 v[32:33], v[70:71], v[62:63], v[32:33] op_sel_hi:[1,0,1]
	v_pk_fma_f32 v[10:11], v[10:11], v[62:63], v[30:31] op_sel_hi:[1,0,1]
	v_cvt_f32_f16_e32 v66, v83
	v_pk_fma_f32 v[32:33], v[72:73], v[98:99], v[32:33] op_sel_hi:[1,0,1]
	v_pk_fma_f32 v[10:11], v[42:43], v[98:99], v[10:11] op_sel_hi:[1,0,1]
	v_cvt_f32_f16_sdwa v82, v83 dst_sel:DWORD dst_unused:UNUSED_PAD src0_sel:WORD_1
	v_pk_fma_f32 v[14:15], v[14:15], v[100:101], v[32:33] op_sel_hi:[1,0,1]
	v_pk_fma_f32 v[2:3], v[2:3], v[100:101], v[10:11] op_sel_hi:[1,0,1]
	s_waitcnt vmcnt(1)
	v_cvt_f32_f16_e32 v70, v84
	v_pk_fma_f32 v[10:11], v[12:13], v[64:65], v[14:15] op_sel_hi:[1,0,1]
	v_pk_fma_f32 v[0:1], v[0:1], v[64:65], v[2:3] op_sel_hi:[1,0,1]
	v_cvt_f32_f16_sdwa v30, v84 dst_sel:DWORD dst_unused:UNUSED_PAD src0_sel:WORD_1
	v_pk_fma_f32 v[2:3], v[74:75], v[58:59], v[10:11] op_sel_hi:[1,0,1]
	v_pk_fma_f32 v[0:1], v[44:45], v[58:59], v[0:1] op_sel_hi:[1,0,1]
	v_cvt_f32_f16_e32 v62, v85
	v_pk_fma_f32 v[2:3], v[76:77], v[66:67], v[2:3] op_sel_hi:[1,0,1]
	v_pk_fma_f32 v[0:1], v[46:47], v[66:67], v[0:1] op_sel_hi:[1,0,1]
	v_cvt_f32_f16_sdwa v84, v85 dst_sel:DWORD dst_unused:UNUSED_PAD src0_sel:WORD_1
	v_pk_fma_f32 v[2:3], v[18:19], v[82:83], v[2:3] op_sel_hi:[1,0,1]
	v_pk_fma_f32 v[0:1], v[6:7], v[82:83], v[0:1] op_sel_hi:[1,0,1]
	s_waitcnt vmcnt(0)
	v_cvt_f32_f16_e32 v72, v86
	v_pk_fma_f32 v[2:3], v[16:17], v[70:71], v[2:3] op_sel_hi:[1,0,1]
	v_pk_fma_f32 v[0:1], v[4:5], v[70:71], v[0:1] op_sel_hi:[1,0,1]
	v_cvt_f32_f16_sdwa v42, v86 dst_sel:DWORD dst_unused:UNUSED_PAD src0_sel:WORD_1
	v_pk_fma_f32 v[2:3], v[78:79], v[30:31], v[2:3] op_sel_hi:[1,0,1]
	v_pk_fma_f32 v[0:1], v[88:89], v[30:31], v[0:1] op_sel_hi:[1,0,1]
	v_cvt_f32_f16_e32 v86, v87
	v_pk_fma_f32 v[2:3], v[80:81], v[62:63], v[2:3] op_sel_hi:[1,0,1]
	v_pk_fma_f32 v[0:1], v[90:91], v[62:63], v[0:1] op_sel_hi:[1,0,1]
	v_cvt_f32_f16_sdwa v98, v87 dst_sel:DWORD dst_unused:UNUSED_PAD src0_sel:WORD_1
	v_pk_fma_f32 v[2:3], v[68:69], v[84:85], v[2:3] op_sel_hi:[1,0,1]
	v_pk_fma_f32 v[0:1], v[8:9], v[84:85], v[0:1] op_sel_hi:[1,0,1]
	;; [unrolled: 1-line block ×10, first 2 shown]
	s_andn2_b64 exec, exec, s[14:15]
	s_cbranch_execnz .LBB101_23
; %bb.24:
	s_or_b64 exec, exec, s[14:15]
.LBB101_25:
	s_or_b64 exec, exec, s[10:11]
.LBB101_26:
	s_or_b64 exec, exec, s[8:9]
	s_cbranch_execz .LBB101_28
	s_branch .LBB101_39
.LBB101_27:
                                        ; implicit-def: $vgpr31
                                        ; implicit-def: $vgpr33
.LBB101_28:
	v_mov_b32_e32 v31, 0
	v_mov_b32_e32 v30, 0
	v_mov_b32_e32 v33, 0
	v_mov_b32_e32 v32, 0
	s_and_saveexec_b64 s[2:3], s[0:1]
	s_cbranch_execz .LBB101_38
; %bb.29:
	v_or_b32_e32 v0, 8, v22
	v_mov_b32_e32 v1, s19
	v_subrev_co_u32_e32 v0, vcc, s22, v0
	v_subb_co_u32_e32 v1, vcc, 0, v1, vcc
	v_add_co_u32_e32 v0, vcc, v0, v34
	v_addc_co_u32_e32 v1, vcc, v1, v35, vcc
	v_cmp_gt_i64_e32 vcc, v[0:1], v[26:27]
	v_cndmask_b32_e32 v1, v27, v1, vcc
	v_cndmask_b32_e32 v0, v26, v0, vcc
	v_mov_b32_e32 v4, s19
	v_sub_co_u32_e32 v5, vcc, s22, v22
	v_not_b32_e32 v3, v34
	v_subbrev_co_u32_e32 v4, vcc, 0, v4, vcc
	v_not_b32_e32 v2, v35
	v_add_co_u32_e32 v3, vcc, v5, v3
	v_addc_co_u32_e32 v2, vcc, v4, v2, vcc
	v_add_co_u32_e32 v0, vcc, v3, v0
	v_addc_co_u32_e32 v1, vcc, v2, v1, vcc
	v_lshrrev_b32_e32 v2, 3, v0
	v_add_u32_e32 v2, 1, v2
	v_and_b32_e32 v2, 3, v2
	v_mov_b32_e32 v32, 0
	v_cmp_ne_u32_e32 vcc, 0, v2
	v_mov_b32_e32 v33, v32
	v_mov_b32_e32 v30, v32
	;; [unrolled: 1-line block ×3, first 2 shown]
	s_and_saveexec_b64 s[0:1], vcc
	s_cbranch_execz .LBB101_33
; %bb.30:
	v_lshlrev_b64 v[4:5], 3, v[24:25]
	v_mov_b32_e32 v3, 0
	v_mov_b32_e32 v6, s13
	v_add_co_u32_e32 v4, vcc, s12, v4
	v_addc_co_u32_e32 v5, vcc, v6, v5, vcc
	v_lshlrev_b32_e32 v2, 2, v2
	s_mov_b64 s[8:9], 0
	v_mov_b32_e32 v6, s19
	v_mov_b32_e32 v7, s7
	s_movk_i32 s10, 0x100
	v_mov_b32_e32 v31, v3
	v_mov_b32_e32 v30, v3
	v_mov_b32_e32 v33, v3
	v_mov_b32_e32 v32, v3
.LBB101_31:                             ; =>This Inner Loop Header: Depth=1
	global_load_dwordx2 v[12:13], v[4:5], off
	global_load_dwordx4 v[8:11], v[28:29], off
	s_waitcnt vmcnt(1)
	v_subrev_co_u32_e32 v12, vcc, s22, v12
	v_subb_co_u32_e32 v13, vcc, v13, v6, vcc
	v_lshlrev_b64 v[12:13], 3, v[12:13]
	v_add_co_u32_e32 v16, vcc, s6, v12
	v_addc_co_u32_e32 v17, vcc, v7, v13, vcc
	global_load_dwordx2 v[18:19], v[16:17], off
	global_load_dwordx4 v[12:15], v[28:29], off offset:16
	v_add_co_u32_e32 v28, vcc, s10, v28
	v_addc_co_u32_e32 v29, vcc, 0, v29, vcc
	v_add_co_u32_e32 v24, vcc, 8, v24
	s_waitcnt vmcnt(2)
	v_cvt_f32_f16_sdwa v17, v8 dst_sel:DWORD dst_unused:UNUSED_PAD src0_sel:WORD_1
	v_cvt_f32_f16_e32 v16, v8
	v_cvt_f32_f16_sdwa v35, v9 dst_sel:DWORD dst_unused:UNUSED_PAD src0_sel:WORD_1
	v_cvt_f32_f16_e32 v34, v9
	v_addc_co_u32_e32 v25, vcc, 0, v25, vcc
	v_cvt_f32_f16_sdwa v9, v10 dst_sel:DWORD dst_unused:UNUSED_PAD src0_sel:WORD_1
	v_cvt_f32_f16_e32 v8, v10
	v_cvt_f32_f16_sdwa v41, v11 dst_sel:DWORD dst_unused:UNUSED_PAD src0_sel:WORD_1
	v_cvt_f32_f16_e32 v40, v11
	v_add_co_u32_e32 v4, vcc, 64, v4
	v_addc_co_u32_e32 v5, vcc, 0, v5, vcc
	v_add_co_u32_e32 v2, vcc, -4, v2
	v_addc_co_u32_e32 v3, vcc, -1, v3, vcc
	v_cmp_eq_u64_e32 vcc, 0, v[2:3]
	s_or_b64 s[8:9], vcc, s[8:9]
	s_waitcnt vmcnt(1)
	v_cvt_f32_f16_e32 v42, v19
	s_waitcnt vmcnt(0)
	v_cvt_f32_f16_sdwa v39, v14 dst_sel:DWORD dst_unused:UNUSED_PAD src0_sel:WORD_1
	v_cvt_f32_f16_e32 v38, v14
	v_cvt_f32_f16_e32 v14, v18
	v_cvt_f32_f16_sdwa v18, v18 dst_sel:DWORD dst_unused:UNUSED_PAD src0_sel:WORD_1
	v_cvt_f32_f16_sdwa v37, v12 dst_sel:DWORD dst_unused:UNUSED_PAD src0_sel:WORD_1
	v_cvt_f32_f16_e32 v36, v12
	v_cvt_f32_f16_sdwa v11, v13 dst_sel:DWORD dst_unused:UNUSED_PAD src0_sel:WORD_1
	v_cvt_f32_f16_e32 v10, v13
	;; [unrolled: 2-line block ×3, first 2 shown]
	v_cvt_f32_f16_sdwa v44, v19 dst_sel:DWORD dst_unused:UNUSED_PAD src0_sel:WORD_1
	v_pk_fma_f32 v[16:17], v[16:17], v[14:15], v[32:33] op_sel_hi:[1,0,1]
	v_pk_fma_f32 v[14:15], v[34:35], v[14:15], v[30:31] op_sel_hi:[1,0,1]
	;; [unrolled: 1-line block ×8, first 2 shown]
	s_andn2_b64 exec, exec, s[8:9]
	s_cbranch_execnz .LBB101_31
; %bb.32:
	s_or_b64 exec, exec, s[8:9]
.LBB101_33:
	s_or_b64 exec, exec, s[0:1]
	v_cmp_lt_u64_e32 vcc, 23, v[0:1]
	s_and_saveexec_b64 s[8:9], vcc
	s_cbranch_execz .LBB101_37
; %bb.34:
	v_lshlrev_b64 v[0:1], 3, v[24:25]
	v_mov_b32_e32 v2, s13
	v_add_co_u32_e32 v0, vcc, s12, v0
	v_addc_co_u32_e32 v1, vcc, v1, v2, vcc
	v_add_co_u32_e32 v34, vcc, 0x80, v0
	v_addc_co_u32_e32 v35, vcc, 0, v1, vcc
	s_mov_b64 s[10:11], 0
	v_mov_b32_e32 v23, s19
	v_mov_b32_e32 v36, s7
.LBB101_35:                             ; =>This Inner Loop Header: Depth=1
	global_load_dwordx4 v[0:3], v[28:29], off
	global_load_dwordx4 v[4:7], v[28:29], off offset:16
	global_load_dwordx4 v[8:11], v[28:29], off offset:256
	;; [unrolled: 1-line block ×4, first 2 shown]
	global_load_dwordx2 v[50:51], v[34:35], off offset:-128
	global_load_dwordx2 v[52:53], v[34:35], off offset:-64
	global_load_dwordx2 v[54:55], v[34:35], off
	global_load_dwordx2 v[56:57], v[34:35], off offset:64
	global_load_dwordx4 v[38:41], v[28:29], off offset:528
	global_load_dwordx4 v[42:45], v[28:29], off offset:768
	;; [unrolled: 1-line block ×3, first 2 shown]
	v_add_co_u32_e32 v24, vcc, 32, v24
	v_addc_co_u32_e32 v25, vcc, 0, v25, vcc
	v_add_co_u32_e32 v34, vcc, 0x100, v34
	v_addc_co_u32_e32 v35, vcc, 0, v35, vcc
	;; [unrolled: 2-line block ×3, first 2 shown]
	v_cmp_ge_i64_e64 s[0:1], v[24:25], v[26:27]
	s_or_b64 s[10:11], s[0:1], s[10:11]
	s_waitcnt vmcnt(11)
	v_cvt_f32_f16_sdwa v59, v0 dst_sel:DWORD dst_unused:UNUSED_PAD src0_sel:WORD_1
	v_cvt_f32_f16_e32 v58, v0
	v_cvt_f32_f16_sdwa v61, v1 dst_sel:DWORD dst_unused:UNUSED_PAD src0_sel:WORD_1
	v_cvt_f32_f16_e32 v60, v1
	v_cvt_f32_f16_sdwa v1, v2 dst_sel:DWORD dst_unused:UNUSED_PAD src0_sel:WORD_1
	s_waitcnt vmcnt(6)
	v_subrev_co_u32_e32 v50, vcc, s22, v50
	v_subb_co_u32_e32 v51, vcc, v51, v23, vcc
	s_waitcnt vmcnt(5)
	v_subrev_co_u32_e32 v52, vcc, s22, v52
	v_subb_co_u32_e32 v53, vcc, v53, v23, vcc
	;; [unrolled: 3-line block ×4, first 2 shown]
	v_lshlrev_b64 v[50:51], 3, v[50:51]
	v_add_co_u32_e32 v50, vcc, s6, v50
	v_lshlrev_b64 v[52:53], 3, v[52:53]
	v_addc_co_u32_e32 v51, vcc, v36, v51, vcc
	v_add_co_u32_e32 v52, vcc, s6, v52
	v_lshlrev_b64 v[54:55], 3, v[54:55]
	v_addc_co_u32_e32 v53, vcc, v36, v53, vcc
	v_add_co_u32_e32 v54, vcc, s6, v54
	v_lshlrev_b64 v[56:57], 3, v[56:57]
	v_addc_co_u32_e32 v55, vcc, v36, v55, vcc
	v_add_co_u32_e32 v56, vcc, s6, v56
	v_addc_co_u32_e32 v57, vcc, v36, v57, vcc
	global_load_dwordx2 v[78:79], v[50:51], off
	global_load_dwordx2 v[80:81], v[52:53], off
	;; [unrolled: 1-line block ×4, first 2 shown]
	s_waitcnt vmcnt(4)
	v_cvt_f32_f16_sdwa v89, v48 dst_sel:DWORD dst_unused:UNUSED_PAD src0_sel:WORD_1
	v_cvt_f32_f16_e32 v88, v48
	v_cvt_f32_f16_e32 v0, v2
	v_cvt_f32_f16_sdwa v77, v3 dst_sel:DWORD dst_unused:UNUSED_PAD src0_sel:WORD_1
	v_cvt_f32_f16_e32 v76, v3
	v_cvt_f32_f16_sdwa v63, v4 dst_sel:DWORD dst_unused:UNUSED_PAD src0_sel:WORD_1
	;; [unrolled: 2-line block ×28, first 2 shown]
	v_cvt_f32_f16_e32 v46, v49
	s_waitcnt vmcnt(3)
	v_cvt_f32_f16_e32 v48, v78
	v_cvt_f32_f16_sdwa v78, v78 dst_sel:DWORD dst_unused:UNUSED_PAD src0_sel:WORD_1
	v_cvt_f32_f16_e32 v92, v79
	v_cvt_f32_f16_sdwa v94, v79 dst_sel:DWORD dst_unused:UNUSED_PAD src0_sel:WORD_1
	v_pk_fma_f32 v[32:33], v[58:59], v[48:49], v[32:33] op_sel_hi:[1,0,1]
	s_waitcnt vmcnt(2)
	v_cvt_f32_f16_e32 v58, v80
	v_pk_fma_f32 v[30:31], v[60:61], v[48:49], v[30:31] op_sel_hi:[1,0,1]
	v_cvt_f32_f16_sdwa v48, v80 dst_sel:DWORD dst_unused:UNUSED_PAD src0_sel:WORD_1
	v_pk_fma_f32 v[0:1], v[0:1], v[78:79], v[32:33] op_sel_hi:[1,0,1]
	v_pk_fma_f32 v[30:31], v[76:77], v[78:79], v[30:31] op_sel_hi:[1,0,1]
	v_cvt_f32_f16_e32 v60, v81
	v_pk_fma_f32 v[0:1], v[62:63], v[92:93], v[0:1] op_sel_hi:[1,0,1]
	v_pk_fma_f32 v[2:3], v[2:3], v[92:93], v[30:31] op_sel_hi:[1,0,1]
	v_cvt_f32_f16_sdwa v80, v81 dst_sel:DWORD dst_unused:UNUSED_PAD src0_sel:WORD_1
	v_pk_fma_f32 v[0:1], v[64:65], v[94:95], v[0:1] op_sel_hi:[1,0,1]
	v_pk_fma_f32 v[2:3], v[4:5], v[94:95], v[2:3] op_sel_hi:[1,0,1]
	s_waitcnt vmcnt(1)
	v_cvt_f32_f16_e32 v32, v82
	v_pk_fma_f32 v[0:1], v[66:67], v[58:59], v[0:1] op_sel_hi:[1,0,1]
	v_pk_fma_f32 v[2:3], v[6:7], v[58:59], v[2:3] op_sel_hi:[1,0,1]
	v_cvt_f32_f16_sdwa v76, v82 dst_sel:DWORD dst_unused:UNUSED_PAD src0_sel:WORD_1
	v_pk_fma_f32 v[0:1], v[68:69], v[48:49], v[0:1] op_sel_hi:[1,0,1]
	v_pk_fma_f32 v[2:3], v[8:9], v[48:49], v[2:3] op_sel_hi:[1,0,1]
	v_cvt_f32_f16_e32 v78, v83
	v_pk_fma_f32 v[0:1], v[70:71], v[60:61], v[0:1] op_sel_hi:[1,0,1]
	v_pk_fma_f32 v[2:3], v[10:11], v[60:61], v[2:3] op_sel_hi:[1,0,1]
	v_cvt_f32_f16_sdwa v82, v83 dst_sel:DWORD dst_unused:UNUSED_PAD src0_sel:WORD_1
	v_pk_fma_f32 v[0:1], v[72:73], v[80:81], v[0:1] op_sel_hi:[1,0,1]
	v_pk_fma_f32 v[2:3], v[12:13], v[80:81], v[2:3] op_sel_hi:[1,0,1]
	s_waitcnt vmcnt(0)
	v_cvt_f32_f16_e32 v62, v84
	v_pk_fma_f32 v[0:1], v[74:75], v[32:33], v[0:1] op_sel_hi:[1,0,1]
	v_pk_fma_f32 v[2:3], v[50:51], v[32:33], v[2:3] op_sel_hi:[1,0,1]
	v_cvt_f32_f16_sdwa v30, v84 dst_sel:DWORD dst_unused:UNUSED_PAD src0_sel:WORD_1
	v_pk_fma_f32 v[0:1], v[14:15], v[76:77], v[0:1] op_sel_hi:[1,0,1]
	v_pk_fma_f32 v[2:3], v[16:17], v[76:77], v[2:3] op_sel_hi:[1,0,1]
	v_cvt_f32_f16_e32 v84, v85
	v_pk_fma_f32 v[0:1], v[18:19], v[78:79], v[0:1] op_sel_hi:[1,0,1]
	v_pk_fma_f32 v[2:3], v[52:53], v[78:79], v[2:3] op_sel_hi:[1,0,1]
	v_cvt_f32_f16_sdwa v92, v85 dst_sel:DWORD dst_unused:UNUSED_PAD src0_sel:WORD_1
	v_pk_fma_f32 v[0:1], v[38:39], v[82:83], v[0:1] op_sel_hi:[1,0,1]
	v_pk_fma_f32 v[2:3], v[54:55], v[82:83], v[2:3] op_sel_hi:[1,0,1]
	;; [unrolled: 1-line block ×10, first 2 shown]
	s_andn2_b64 exec, exec, s[10:11]
	s_cbranch_execnz .LBB101_35
; %bb.36:
	s_or_b64 exec, exec, s[10:11]
.LBB101_37:
	s_or_b64 exec, exec, s[8:9]
.LBB101_38:
	s_or_b64 exec, exec, s[2:3]
.LBB101_39:
	v_mov_b32_dpp v0, v32 row_shr:1 row_mask:0xf bank_mask:0xf
	v_mov_b32_dpp v1, v33 row_shr:1 row_mask:0xf bank_mask:0xf
	;; [unrolled: 1-line block ×4, first 2 shown]
	v_pk_add_f32 v[0:1], v[32:33], v[0:1]
	v_pk_add_f32 v[4:5], v[30:31], v[4:5]
	v_cmp_eq_u32_e32 vcc, 7, v22
	v_mov_b32_dpp v2, v0 row_shr:2 row_mask:0xf bank_mask:0xf
	v_mov_b32_dpp v3, v1 row_shr:2 row_mask:0xf bank_mask:0xf
	;; [unrolled: 1-line block ×4, first 2 shown]
	v_pk_add_f32 v[0:1], v[0:1], v[2:3]
	v_pk_add_f32 v[4:5], v[4:5], v[6:7]
	s_nop 0
	v_mov_b32_dpp v2, v0 row_shr:4 row_mask:0xf bank_mask:0xe
	v_mov_b32_dpp v3, v1 row_shr:4 row_mask:0xf bank_mask:0xe
	;; [unrolled: 1-line block ×4, first 2 shown]
	s_and_b64 exec, exec, vcc
	s_cbranch_execz .LBB101_10
; %bb.40:
	s_load_dwordx2 s[0:1], s[4:5], 0x58
	v_cmp_eq_f32_e64 s[2:3], s20, 0
	v_pk_add_f32 v[2:3], v[0:1], v[2:3]
	v_pk_add_f32 v[0:1], v[4:5], v[6:7]
	s_and_b64 vcc, exec, s[2:3]
	v_lshlrev_b64 v[4:5], 4, v[20:21]
	s_cbranch_vccz .LBB101_42
; %bb.41:
	s_waitcnt lgkmcnt(0)
	v_mov_b32_e32 v6, s1
	v_add_co_u32_e32 v10, vcc, s0, v4
	v_addc_co_u32_e32 v11, vcc, v6, v5, vcc
	v_pk_mul_f32 v[6:7], s[16:17], v[2:3] op_sel_hi:[0,1]
	v_pk_mul_f32 v[8:9], s[16:17], v[0:1] op_sel_hi:[0,1]
	global_store_dwordx4 v[10:11], v[6:9], off
	s_cbranch_execnz .LBB101_10
	s_branch .LBB101_43
.LBB101_42:
.LBB101_43:
	s_waitcnt lgkmcnt(0)
	v_mov_b32_e32 v6, s1
	v_add_co_u32_e32 v8, vcc, s0, v4
	v_addc_co_u32_e32 v9, vcc, v6, v5, vcc
	global_load_dwordx4 v[4:7], v[8:9], off
	v_pk_mul_f32 v[2:3], s[16:17], v[2:3] op_sel_hi:[0,1]
	v_pk_mul_f32 v[10:11], s[16:17], v[0:1] op_sel_hi:[0,1]
	s_waitcnt vmcnt(0)
	v_pk_fma_f32 v[0:1], s[20:21], v[4:5], v[2:3] op_sel_hi:[0,1,1]
	v_pk_fma_f32 v[2:3], s[20:21], v[6:7], v[10:11] op_sel_hi:[0,1,1]
	global_store_dwordx4 v[8:9], v[0:3], off
	s_endpgm
	.section	.rodata,"a",@progbits
	.p2align	6, 0x0
	.amdhsa_kernel _ZN9rocsparseL18bsrxmvn_4x4_kernelILj128ELj8EfllDF16_DF16_fEEvT3_20rocsparse_direction_NS_24const_host_device_scalarIT1_EES1_PKS1_PKT2_SA_S7_PKT4_PKT5_S5_PT6_21rocsparse_index_base_b
		.amdhsa_group_segment_fixed_size 0
		.amdhsa_private_segment_fixed_size 0
		.amdhsa_kernarg_size 104
		.amdhsa_user_sgpr_count 6
		.amdhsa_user_sgpr_private_segment_buffer 1
		.amdhsa_user_sgpr_dispatch_ptr 0
		.amdhsa_user_sgpr_queue_ptr 0
		.amdhsa_user_sgpr_kernarg_segment_ptr 1
		.amdhsa_user_sgpr_dispatch_id 0
		.amdhsa_user_sgpr_flat_scratch_init 0
		.amdhsa_user_sgpr_kernarg_preload_length 0
		.amdhsa_user_sgpr_kernarg_preload_offset 0
		.amdhsa_user_sgpr_private_segment_size 0
		.amdhsa_uses_dynamic_stack 0
		.amdhsa_system_sgpr_private_segment_wavefront_offset 0
		.amdhsa_system_sgpr_workgroup_id_x 1
		.amdhsa_system_sgpr_workgroup_id_y 0
		.amdhsa_system_sgpr_workgroup_id_z 0
		.amdhsa_system_sgpr_workgroup_info 0
		.amdhsa_system_vgpr_workitem_id 0
		.amdhsa_next_free_vgpr 102
		.amdhsa_next_free_sgpr 24
		.amdhsa_accum_offset 104
		.amdhsa_reserve_vcc 1
		.amdhsa_reserve_flat_scratch 0
		.amdhsa_float_round_mode_32 0
		.amdhsa_float_round_mode_16_64 0
		.amdhsa_float_denorm_mode_32 3
		.amdhsa_float_denorm_mode_16_64 3
		.amdhsa_dx10_clamp 1
		.amdhsa_ieee_mode 1
		.amdhsa_fp16_overflow 0
		.amdhsa_tg_split 0
		.amdhsa_exception_fp_ieee_invalid_op 0
		.amdhsa_exception_fp_denorm_src 0
		.amdhsa_exception_fp_ieee_div_zero 0
		.amdhsa_exception_fp_ieee_overflow 0
		.amdhsa_exception_fp_ieee_underflow 0
		.amdhsa_exception_fp_ieee_inexact 0
		.amdhsa_exception_int_div_zero 0
	.end_amdhsa_kernel
	.section	.text._ZN9rocsparseL18bsrxmvn_4x4_kernelILj128ELj8EfllDF16_DF16_fEEvT3_20rocsparse_direction_NS_24const_host_device_scalarIT1_EES1_PKS1_PKT2_SA_S7_PKT4_PKT5_S5_PT6_21rocsparse_index_base_b,"axG",@progbits,_ZN9rocsparseL18bsrxmvn_4x4_kernelILj128ELj8EfllDF16_DF16_fEEvT3_20rocsparse_direction_NS_24const_host_device_scalarIT1_EES1_PKS1_PKT2_SA_S7_PKT4_PKT5_S5_PT6_21rocsparse_index_base_b,comdat
.Lfunc_end101:
	.size	_ZN9rocsparseL18bsrxmvn_4x4_kernelILj128ELj8EfllDF16_DF16_fEEvT3_20rocsparse_direction_NS_24const_host_device_scalarIT1_EES1_PKS1_PKT2_SA_S7_PKT4_PKT5_S5_PT6_21rocsparse_index_base_b, .Lfunc_end101-_ZN9rocsparseL18bsrxmvn_4x4_kernelILj128ELj8EfllDF16_DF16_fEEvT3_20rocsparse_direction_NS_24const_host_device_scalarIT1_EES1_PKS1_PKT2_SA_S7_PKT4_PKT5_S5_PT6_21rocsparse_index_base_b
                                        ; -- End function
	.section	.AMDGPU.csdata,"",@progbits
; Kernel info:
; codeLenInByte = 4076
; NumSgprs: 28
; NumVgprs: 102
; NumAgprs: 0
; TotalNumVgprs: 102
; ScratchSize: 0
; MemoryBound: 0
; FloatMode: 240
; IeeeMode: 1
; LDSByteSize: 0 bytes/workgroup (compile time only)
; SGPRBlocks: 3
; VGPRBlocks: 12
; NumSGPRsForWavesPerEU: 28
; NumVGPRsForWavesPerEU: 102
; AccumOffset: 104
; Occupancy: 4
; WaveLimiterHint : 1
; COMPUTE_PGM_RSRC2:SCRATCH_EN: 0
; COMPUTE_PGM_RSRC2:USER_SGPR: 6
; COMPUTE_PGM_RSRC2:TRAP_HANDLER: 0
; COMPUTE_PGM_RSRC2:TGID_X_EN: 1
; COMPUTE_PGM_RSRC2:TGID_Y_EN: 0
; COMPUTE_PGM_RSRC2:TGID_Z_EN: 0
; COMPUTE_PGM_RSRC2:TIDIG_COMP_CNT: 0
; COMPUTE_PGM_RSRC3_GFX90A:ACCUM_OFFSET: 25
; COMPUTE_PGM_RSRC3_GFX90A:TG_SPLIT: 0
	.section	.text._ZN9rocsparseL18bsrxmvn_4x4_kernelILj128ELj16EfllDF16_DF16_fEEvT3_20rocsparse_direction_NS_24const_host_device_scalarIT1_EES1_PKS1_PKT2_SA_S7_PKT4_PKT5_S5_PT6_21rocsparse_index_base_b,"axG",@progbits,_ZN9rocsparseL18bsrxmvn_4x4_kernelILj128ELj16EfllDF16_DF16_fEEvT3_20rocsparse_direction_NS_24const_host_device_scalarIT1_EES1_PKS1_PKT2_SA_S7_PKT4_PKT5_S5_PT6_21rocsparse_index_base_b,comdat
	.globl	_ZN9rocsparseL18bsrxmvn_4x4_kernelILj128ELj16EfllDF16_DF16_fEEvT3_20rocsparse_direction_NS_24const_host_device_scalarIT1_EES1_PKS1_PKT2_SA_S7_PKT4_PKT5_S5_PT6_21rocsparse_index_base_b ; -- Begin function _ZN9rocsparseL18bsrxmvn_4x4_kernelILj128ELj16EfllDF16_DF16_fEEvT3_20rocsparse_direction_NS_24const_host_device_scalarIT1_EES1_PKS1_PKT2_SA_S7_PKT4_PKT5_S5_PT6_21rocsparse_index_base_b
	.p2align	8
	.type	_ZN9rocsparseL18bsrxmvn_4x4_kernelILj128ELj16EfllDF16_DF16_fEEvT3_20rocsparse_direction_NS_24const_host_device_scalarIT1_EES1_PKS1_PKT2_SA_S7_PKT4_PKT5_S5_PT6_21rocsparse_index_base_b,@function
_ZN9rocsparseL18bsrxmvn_4x4_kernelILj128ELj16EfllDF16_DF16_fEEvT3_20rocsparse_direction_NS_24const_host_device_scalarIT1_EES1_PKS1_PKT2_SA_S7_PKT4_PKT5_S5_PT6_21rocsparse_index_base_b: ; @_ZN9rocsparseL18bsrxmvn_4x4_kernelILj128ELj16EfllDF16_DF16_fEEvT3_20rocsparse_direction_NS_24const_host_device_scalarIT1_EES1_PKS1_PKT2_SA_S7_PKT4_PKT5_S5_PT6_21rocsparse_index_base_b
; %bb.0:
	s_load_dwordx2 s[22:23], s[4:5], 0x60
	s_load_dwordx4 s[16:19], s[4:5], 0x10
	s_load_dwordx2 s[20:21], s[4:5], 0x50
	s_waitcnt lgkmcnt(0)
	s_bitcmp1_b32 s23, 0
	s_cselect_b64 s[2:3], -1, 0
	s_xor_b64 s[0:1], s[2:3], -1
	s_and_b64 vcc, exec, s[2:3]
	s_cbranch_vccnz .LBB102_2
; %bb.1:
	s_load_dword s16, s[16:17], 0x0
.LBB102_2:
	s_andn2_b64 vcc, exec, s[0:1]
	s_cbranch_vccnz .LBB102_4
; %bb.3:
	s_load_dword s20, s[20:21], 0x0
.LBB102_4:
	s_waitcnt lgkmcnt(0)
	v_cmp_neq_f32_e64 s[0:1], s16, 0
	v_cmp_neq_f32_e64 s[2:3], s20, 1.0
	s_or_b64 s[0:1], s[0:1], s[2:3]
	s_andn2_b64 vcc, exec, s[0:1]
	s_cbranch_vccnz .LBB102_10
; %bb.5:
	s_load_dwordx2 s[2:3], s[4:5], 0x20
	v_lshrrev_b32_e32 v1, 4, v0
	v_lshl_or_b32 v2, s6, 3, v1
	v_mov_b32_e32 v3, 0
	s_mov_b64 s[0:1], 0
	s_waitcnt lgkmcnt(0)
	s_cmp_lg_u64 s[2:3], 0
	s_cbranch_scc0 .LBB102_11
; %bb.6:
	v_cmp_gt_i64_e32 vcc, s[18:19], v[2:3]
                                        ; implicit-def: $vgpr20_vgpr21
	s_and_saveexec_b64 s[6:7], vcc
	s_xor_b64 s[6:7], exec, s[6:7]
                                        ; implicit-def: $sgpr18_sgpr19
	s_cbranch_execz .LBB102_8
; %bb.7:
	v_lshlrev_b64 v[4:5], 3, v[2:3]
	v_mov_b32_e32 v1, s3
	v_add_co_u32_e32 v4, vcc, s2, v4
	v_addc_co_u32_e32 v5, vcc, v1, v5, vcc
	global_load_dwordx2 v[4:5], v[4:5], off
	s_mov_b64 s[0:1], exec
	s_mov_b32 s19, 0
	s_waitcnt vmcnt(0)
	v_subrev_co_u32_e32 v20, vcc, s22, v4
	v_subbrev_co_u32_e32 v21, vcc, 0, v5, vcc
.LBB102_8:
	s_or_b64 exec, exec, s[6:7]
.LBB102_9:
	s_and_saveexec_b64 s[2:3], s[0:1]
	s_cbranch_execnz .LBB102_15
.LBB102_10:
	s_endpgm
.LBB102_11:
                                        ; implicit-def: $vgpr20_vgpr21
                                        ; implicit-def: $sgpr18_sgpr19
	s_cbranch_execz .LBB102_9
; %bb.12:
	s_load_dwordx2 s[2:3], s[4:5], 0x0
                                        ; implicit-def: $vgpr20_vgpr21
	s_waitcnt lgkmcnt(0)
	v_cmp_gt_i64_e32 vcc, s[2:3], v[2:3]
	s_and_saveexec_b64 s[2:3], vcc
                                        ; implicit-def: $sgpr18_sgpr19
; %bb.13:
	s_mov_b32 s19, 0
	s_or_b64 s[0:1], s[0:1], exec
	v_pk_mov_b32 v[20:21], v[2:3], v[2:3] op_sel:[0,1]
; %bb.14:
	s_or_b64 exec, exec, s[2:3]
	s_and_saveexec_b64 s[2:3], s[0:1]
	s_cbranch_execz .LBB102_10
.LBB102_15:
	s_load_dwordx8 s[8:15], s[4:5], 0x28
	v_lshlrev_b64 v[2:3], 3, v[20:21]
	v_and_b32_e32 v22, 15, v0
	v_mov_b32_e32 v0, s19
	v_mov_b32_e32 v31, 0
	s_waitcnt lgkmcnt(0)
	v_mov_b32_e32 v1, s9
	v_add_co_u32_e32 v4, vcc, s8, v2
	v_addc_co_u32_e32 v5, vcc, v1, v3, vcc
	v_add_co_u32_e32 v1, vcc, 8, v4
	global_load_dwordx2 v[16:17], v[4:5], off
	v_addc_co_u32_e32 v4, vcc, 0, v5, vcc
	v_mov_b32_e32 v5, s11
	v_add_co_u32_e32 v2, vcc, s10, v2
	s_cmp_eq_u64 s[10:11], 0
	v_addc_co_u32_e32 v3, vcc, v5, v3, vcc
	s_cselect_b64 vcc, -1, 0
	v_cndmask_b32_e32 v3, v3, v4, vcc
	v_cndmask_b32_e32 v2, v2, v1, vcc
	global_load_dwordx2 v[2:3], v[2:3], off
	s_load_dwordx2 s[6:7], s[4:5], 0x48
	s_load_dword s0, s[4:5], 0x8
	v_mov_b32_e32 v4, s15
	s_waitcnt lgkmcnt(0)
	s_cmp_eq_u32 s0, 1
	s_waitcnt vmcnt(1)
	v_subrev_co_u32_e32 v1, vcc, s22, v16
	v_subb_co_u32_e32 v5, vcc, v17, v0, vcc
	v_add_co_u32_e32 v24, vcc, v1, v22
	v_addc_co_u32_e32 v25, vcc, 0, v5, vcc
	s_waitcnt vmcnt(0)
	v_subrev_co_u32_e32 v26, vcc, s22, v2
	v_subb_co_u32_e32 v27, vcc, v3, v0, vcc
	v_lshlrev_b64 v[0:1], 5, v[24:25]
	v_add_co_u32_e32 v28, vcc, s14, v0
	v_addc_co_u32_e32 v29, vcc, v4, v1, vcc
	v_cmp_lt_i64_e64 s[0:1], v[24:25], v[26:27]
	s_cbranch_scc1 .LBB102_27
; %bb.16:
	s_mov_b32 s2, 0
	v_mov_b32_e32 v30, 0
	v_mov_b32_e32 v33, 0
	v_mov_b32_e32 v32, 0
	s_and_saveexec_b64 s[8:9], s[0:1]
	s_cbranch_execz .LBB102_26
; %bb.17:
	v_or_b32_e32 v0, 16, v22
	v_mov_b32_e32 v1, s19
	v_subrev_co_u32_e32 v0, vcc, s22, v0
	v_subb_co_u32_e32 v1, vcc, 0, v1, vcc
	v_add_co_u32_e32 v0, vcc, v0, v16
	v_addc_co_u32_e32 v1, vcc, v1, v17, vcc
	v_cmp_gt_i64_e32 vcc, v[0:1], v[26:27]
	v_cndmask_b32_e32 v1, v27, v1, vcc
	v_cndmask_b32_e32 v0, v26, v0, vcc
	v_mov_b32_e32 v4, s19
	v_sub_co_u32_e32 v5, vcc, s22, v22
	v_not_b32_e32 v3, v16
	v_subbrev_co_u32_e32 v4, vcc, 0, v4, vcc
	v_not_b32_e32 v2, v17
	v_add_co_u32_e32 v3, vcc, v5, v3
	v_addc_co_u32_e32 v2, vcc, v4, v2, vcc
	v_add_co_u32_e32 v0, vcc, v3, v0
	v_addc_co_u32_e32 v1, vcc, v2, v1, vcc
	v_lshrrev_b32_e32 v2, 4, v0
	v_add_u32_e32 v2, 1, v2
	v_and_b32_e32 v2, 3, v2
	s_mov_b32 s3, s2
	v_cmp_ne_u32_e32 vcc, 0, v2
	v_pk_mov_b32 v[32:33], s[2:3], s[2:3] op_sel:[0,1]
	v_pk_mov_b32 v[30:31], s[2:3], s[2:3] op_sel:[0,1]
	;; [unrolled: 1-line block ×4, first 2 shown]
	s_and_saveexec_b64 s[10:11], vcc
	s_cbranch_execz .LBB102_21
; %bb.18:
	v_lshlrev_b64 v[4:5], 3, v[24:25]
	v_mov_b32_e32 v3, 0
	v_mov_b32_e32 v6, s13
	v_add_co_u32_e32 v4, vcc, s12, v4
	v_addc_co_u32_e32 v5, vcc, v6, v5, vcc
	v_lshlrev_b32_e32 v2, 2, v2
	s_mov_b64 s[14:15], 0
	v_mov_b32_e32 v6, s19
	v_mov_b32_e32 v7, s7
	s_movk_i32 s17, 0x200
	v_pk_mov_b32 v[34:35], v[28:29], v[28:29] op_sel:[0,1]
	v_pk_mov_b32 v[18:19], v[24:25], v[24:25] op_sel:[0,1]
	v_mov_b32_e32 v30, v3
	v_mov_b32_e32 v31, v3
	;; [unrolled: 1-line block ×4, first 2 shown]
.LBB102_19:                             ; =>This Inner Loop Header: Depth=1
	global_load_dwordx2 v[36:37], v[4:5], off
	global_load_dwordx4 v[8:11], v[34:35], off
	global_load_dwordx4 v[12:15], v[34:35], off offset:16
	v_add_co_u32_e64 v18, s[2:3], 16, v18
	v_addc_co_u32_e64 v19, s[2:3], 0, v19, s[2:3]
	v_add_co_u32_e64 v2, s[2:3], -4, v2
	v_addc_co_u32_e64 v3, s[2:3], -1, v3, s[2:3]
	v_cmp_eq_u64_e64 s[2:3], 0, v[2:3]
	s_or_b64 s[14:15], s[2:3], s[14:15]
	s_waitcnt vmcnt(2)
	v_subrev_co_u32_e32 v36, vcc, s22, v36
	v_subb_co_u32_e32 v37, vcc, v37, v6, vcc
	v_lshlrev_b64 v[36:37], 3, v[36:37]
	v_add_co_u32_e32 v36, vcc, s6, v36
	v_addc_co_u32_e32 v37, vcc, v7, v37, vcc
	global_load_dwordx2 v[36:37], v[36:37], off
	s_waitcnt vmcnt(2)
	v_cvt_f32_f16_sdwa v38, v8 dst_sel:DWORD dst_unused:UNUSED_PAD src0_sel:WORD_1
	v_cvt_f32_f16_e32 v41, v10
	v_cvt_f32_f16_e32 v40, v8
	s_waitcnt vmcnt(1)
	v_cvt_f32_f16_sdwa v8, v12 dst_sel:DWORD dst_unused:UNUSED_PAD src0_sel:WORD_1
	v_cvt_f32_f16_e32 v45, v14
	v_cvt_f32_f16_e32 v44, v12
	v_cvt_f32_f16_sdwa v39, v10 dst_sel:DWORD dst_unused:UNUSED_PAD src0_sel:WORD_1
	v_cvt_f32_f16_e32 v42, v9
	v_cvt_f32_f16_sdwa v10, v9 dst_sel:DWORD dst_unused:UNUSED_PAD src0_sel:WORD_1
	v_cvt_f32_f16_sdwa v9, v14 dst_sel:DWORD dst_unused:UNUSED_PAD src0_sel:WORD_1
	v_cvt_f32_f16_e32 v43, v11
	v_cvt_f32_f16_e32 v47, v15
	;; [unrolled: 1-line block ×3, first 2 shown]
	v_cvt_f32_f16_sdwa v11, v11 dst_sel:DWORD dst_unused:UNUSED_PAD src0_sel:WORD_1
	v_cvt_f32_f16_sdwa v15, v15 dst_sel:DWORD dst_unused:UNUSED_PAD src0_sel:WORD_1
	;; [unrolled: 1-line block ×3, first 2 shown]
	v_add_co_u32_e32 v34, vcc, s17, v34
	v_addc_co_u32_e32 v35, vcc, 0, v35, vcc
	v_add_co_u32_e32 v4, vcc, 0x80, v4
	v_addc_co_u32_e32 v5, vcc, 0, v5, vcc
	s_waitcnt vmcnt(0)
	v_cvt_f32_f16_e32 v12, v36
	v_cvt_f32_f16_sdwa v36, v36 dst_sel:DWORD dst_unused:UNUSED_PAD src0_sel:WORD_1
	v_cvt_f32_f16_e32 v48, v37
	v_cvt_f32_f16_sdwa v50, v37 dst_sel:DWORD dst_unused:UNUSED_PAD src0_sel:WORD_1
	v_pk_fma_f32 v[32:33], v[40:41], v[12:13], v[32:33] op_sel_hi:[1,0,1]
	v_pk_fma_f32 v[12:13], v[44:45], v[12:13], v[30:31] op_sel_hi:[1,0,1]
	;; [unrolled: 1-line block ×8, first 2 shown]
	s_andn2_b64 exec, exec, s[14:15]
	s_cbranch_execnz .LBB102_19
; %bb.20:
	s_or_b64 exec, exec, s[14:15]
.LBB102_21:
	s_or_b64 exec, exec, s[10:11]
	v_cmp_lt_u64_e32 vcc, 47, v[0:1]
	s_and_saveexec_b64 s[10:11], vcc
	s_cbranch_execz .LBB102_25
; %bb.22:
	v_lshlrev_b64 v[0:1], 3, v[18:19]
	v_mov_b32_e32 v2, s13
	v_add_co_u32_e32 v0, vcc, s12, v0
	v_addc_co_u32_e32 v1, vcc, v1, v2, vcc
	v_add_co_u32_e32 v36, vcc, 0x100, v0
	v_addc_co_u32_e32 v37, vcc, 0, v1, vcc
	s_mov_b64 s[14:15], 0
	v_mov_b32_e32 v23, s19
	v_mov_b32_e32 v44, s7
	s_movk_i32 s17, 0x800
.LBB102_23:                             ; =>This Inner Loop Header: Depth=1
	global_load_dwordx2 v[62:63], v[36:37], off offset:-256
	global_load_dwordx4 v[8:11], v[34:35], off
	global_load_dwordx4 v[0:3], v[34:35], off offset:16
	global_load_dwordx2 v[40:41], v[36:37], off offset:-128
	global_load_dwordx2 v[38:39], v[36:37], off
	global_load_dwordx4 v[12:15], v[34:35], off offset:512
	global_load_dwordx4 v[4:7], v[34:35], off offset:1024
	global_load_dwordx2 v[42:43], v[36:37], off offset:128
	global_load_dwordx4 v[46:49], v[34:35], off offset:528
	global_load_dwordx4 v[50:53], v[34:35], off offset:1040
	;; [unrolled: 1-line block ×4, first 2 shown]
	v_add_co_u32_e32 v34, vcc, s17, v34
	v_addc_co_u32_e32 v35, vcc, 0, v35, vcc
	v_add_co_u32_e32 v36, vcc, 0x200, v36
	v_addc_co_u32_e32 v37, vcc, 0, v37, vcc
	v_add_co_u32_e64 v18, s[2:3], 64, v18
	v_addc_co_u32_e64 v19, s[2:3], 0, v19, s[2:3]
	v_cmp_ge_i64_e64 s[2:3], v[18:19], v[26:27]
	s_or_b64 s[14:15], s[2:3], s[14:15]
	s_waitcnt vmcnt(11)
	v_subrev_co_u32_e32 v62, vcc, s22, v62
	v_subb_co_u32_e32 v63, vcc, v63, v23, vcc
	s_waitcnt vmcnt(8)
	v_subrev_co_u32_e32 v40, vcc, s22, v40
	v_subb_co_u32_e32 v41, vcc, v41, v23, vcc
	;; [unrolled: 3-line block ×4, first 2 shown]
	v_lshlrev_b64 v[62:63], 3, v[62:63]
	v_add_co_u32_e32 v62, vcc, s6, v62
	v_lshlrev_b64 v[40:41], 3, v[40:41]
	v_addc_co_u32_e32 v63, vcc, v44, v63, vcc
	v_add_co_u32_e32 v40, vcc, s6, v40
	v_lshlrev_b64 v[38:39], 3, v[38:39]
	v_addc_co_u32_e32 v41, vcc, v44, v41, vcc
	;; [unrolled: 3-line block ×3, first 2 shown]
	v_add_co_u32_e32 v42, vcc, s6, v42
	v_addc_co_u32_e32 v43, vcc, v44, v43, vcc
	global_load_dwordx2 v[82:83], v[62:63], off
	global_load_dwordx2 v[84:85], v[40:41], off
	;; [unrolled: 1-line block ×4, first 2 shown]
	v_cvt_f32_f16_sdwa v64, v8 dst_sel:DWORD dst_unused:UNUSED_PAD src0_sel:WORD_1
	v_cvt_f32_f16_e32 v67, v10
	v_cvt_f32_f16_e32 v66, v8
	v_cvt_f32_f16_sdwa v68, v0 dst_sel:DWORD dst_unused:UNUSED_PAD src0_sel:WORD_1
	v_cvt_f32_f16_e32 v71, v2
	v_cvt_f32_f16_e32 v70, v0
	v_cvt_f32_f16_sdwa v69, v2 dst_sel:DWORD dst_unused:UNUSED_PAD src0_sel:WORD_1
	v_cvt_f32_f16_e32 v8, v12
	v_cvt_f32_f16_sdwa v74, v12 dst_sel:DWORD dst_unused:UNUSED_PAD src0_sel:WORD_1
	;; [unrolled: 2-line block ×4, first 2 shown]
	s_waitcnt vmcnt(7)
	v_cvt_f32_f16_e32 v1, v48
	v_cvt_f32_f16_e32 v0, v46
	v_cvt_f32_f16_sdwa v39, v48 dst_sel:DWORD dst_unused:UNUSED_PAD src0_sel:WORD_1
	v_cvt_f32_f16_sdwa v38, v46 dst_sel:DWORD dst_unused:UNUSED_PAD src0_sel:WORD_1
	s_waitcnt vmcnt(6)
	v_cvt_f32_f16_e32 v46, v50
	v_cvt_f32_f16_sdwa v48, v50 dst_sel:DWORD dst_unused:UNUSED_PAD src0_sel:WORD_1
	s_waitcnt vmcnt(5)
	v_cvt_f32_f16_e32 v50, v54
	v_cvt_f32_f16_sdwa v90, v54 dst_sel:DWORD dst_unused:UNUSED_PAD src0_sel:WORD_1
	s_waitcnt vmcnt(4)
	v_cvt_f32_f16_e32 v54, v58
	v_cvt_f32_f16_sdwa v94, v58 dst_sel:DWORD dst_unused:UNUSED_PAD src0_sel:WORD_1
	v_cvt_f32_f16_sdwa v65, v10 dst_sel:DWORD dst_unused:UNUSED_PAD src0_sel:WORD_1
	v_cvt_f32_f16_e32 v73, v11
	v_cvt_f32_f16_e32 v72, v9
	v_cvt_f32_f16_sdwa v10, v9 dst_sel:DWORD dst_unused:UNUSED_PAD src0_sel:WORD_1
	v_cvt_f32_f16_e32 v9, v14
	v_cvt_f32_f16_sdwa v75, v14 dst_sel:DWORD dst_unused:UNUSED_PAD src0_sel:WORD_1
	;; [unrolled: 2-line block ×6, first 2 shown]
	v_cvt_f32_f16_sdwa v3, v3 dst_sel:DWORD dst_unused:UNUSED_PAD src0_sel:WORD_1
	v_cvt_f32_f16_e32 v77, v15
	v_cvt_f32_f16_e32 v41, v49
	;; [unrolled: 1-line block ×3, first 2 shown]
	v_cvt_f32_f16_sdwa v15, v15 dst_sel:DWORD dst_unused:UNUSED_PAD src0_sel:WORD_1
	v_cvt_f32_f16_sdwa v43, v49 dst_sel:DWORD dst_unused:UNUSED_PAD src0_sel:WORD_1
	;; [unrolled: 1-line block ×3, first 2 shown]
	v_cvt_f32_f16_e32 v47, v52
	v_cvt_f32_f16_sdwa v49, v52 dst_sel:DWORD dst_unused:UNUSED_PAD src0_sel:WORD_1
	v_cvt_f32_f16_e32 v81, v7
	v_cvt_f32_f16_e32 v63, v53
	;; [unrolled: 1-line block ×3, first 2 shown]
	v_cvt_f32_f16_sdwa v7, v7 dst_sel:DWORD dst_unused:UNUSED_PAD src0_sel:WORD_1
	v_cvt_f32_f16_sdwa v53, v53 dst_sel:DWORD dst_unused:UNUSED_PAD src0_sel:WORD_1
	;; [unrolled: 1-line block ×3, first 2 shown]
	v_cvt_f32_f16_e32 v51, v56
	v_cvt_f32_f16_sdwa v91, v56 dst_sel:DWORD dst_unused:UNUSED_PAD src0_sel:WORD_1
	v_cvt_f32_f16_e32 v92, v55
	v_cvt_f32_f16_sdwa v56, v55 dst_sel:DWORD dst_unused:UNUSED_PAD src0_sel:WORD_1
	;; [unrolled: 2-line block ×3, first 2 shown]
	v_cvt_f32_f16_e32 v93, v57
	v_cvt_f32_f16_e32 v97, v61
	;; [unrolled: 1-line block ×3, first 2 shown]
	v_cvt_f32_f16_sdwa v57, v57 dst_sel:DWORD dst_unused:UNUSED_PAD src0_sel:WORD_1
	v_cvt_f32_f16_sdwa v61, v61 dst_sel:DWORD dst_unused:UNUSED_PAD src0_sel:WORD_1
	;; [unrolled: 1-line block ×3, first 2 shown]
	s_waitcnt vmcnt(3)
	v_cvt_f32_f16_e32 v58, v82
	v_cvt_f32_f16_sdwa v82, v82 dst_sel:DWORD dst_unused:UNUSED_PAD src0_sel:WORD_1
	v_cvt_f32_f16_e32 v98, v83
	v_cvt_f32_f16_sdwa v100, v83 dst_sel:DWORD dst_unused:UNUSED_PAD src0_sel:WORD_1
	v_pk_fma_f32 v[32:33], v[66:67], v[58:59], v[32:33] op_sel_hi:[1,0,1]
	s_waitcnt vmcnt(2)
	v_cvt_f32_f16_e32 v66, v84
	v_pk_fma_f32 v[30:31], v[70:71], v[58:59], v[30:31] op_sel_hi:[1,0,1]
	v_cvt_f32_f16_sdwa v58, v84 dst_sel:DWORD dst_unused:UNUSED_PAD src0_sel:WORD_1
	v_pk_fma_f32 v[32:33], v[64:65], v[82:83], v[32:33] op_sel_hi:[1,0,1]
	v_pk_fma_f32 v[30:31], v[68:69], v[82:83], v[30:31] op_sel_hi:[1,0,1]
	v_cvt_f32_f16_e32 v70, v85
	v_pk_fma_f32 v[32:33], v[72:73], v[98:99], v[32:33] op_sel_hi:[1,0,1]
	v_pk_fma_f32 v[4:5], v[4:5], v[98:99], v[30:31] op_sel_hi:[1,0,1]
	v_cvt_f32_f16_sdwa v84, v85 dst_sel:DWORD dst_unused:UNUSED_PAD src0_sel:WORD_1
	v_pk_fma_f32 v[10:11], v[10:11], v[100:101], v[32:33] op_sel_hi:[1,0,1]
	v_pk_fma_f32 v[2:3], v[2:3], v[100:101], v[4:5] op_sel_hi:[1,0,1]
	s_waitcnt vmcnt(1)
	v_cvt_f32_f16_e32 v64, v86
	v_pk_fma_f32 v[4:5], v[8:9], v[66:67], v[10:11] op_sel_hi:[1,0,1]
	v_pk_fma_f32 v[0:1], v[0:1], v[66:67], v[2:3] op_sel_hi:[1,0,1]
	v_cvt_f32_f16_sdwa v68, v86 dst_sel:DWORD dst_unused:UNUSED_PAD src0_sel:WORD_1
	v_pk_fma_f32 v[2:3], v[74:75], v[58:59], v[4:5] op_sel_hi:[1,0,1]
	v_pk_fma_f32 v[0:1], v[38:39], v[58:59], v[0:1] op_sel_hi:[1,0,1]
	v_cvt_f32_f16_e32 v82, v87
	v_pk_fma_f32 v[2:3], v[76:77], v[70:71], v[2:3] op_sel_hi:[1,0,1]
	v_pk_fma_f32 v[0:1], v[40:41], v[70:71], v[0:1] op_sel_hi:[1,0,1]
	v_cvt_f32_f16_sdwa v86, v87 dst_sel:DWORD dst_unused:UNUSED_PAD src0_sel:WORD_1
	v_pk_fma_f32 v[2:3], v[14:15], v[84:85], v[2:3] op_sel_hi:[1,0,1]
	v_pk_fma_f32 v[0:1], v[42:43], v[84:85], v[0:1] op_sel_hi:[1,0,1]
	s_waitcnt vmcnt(0)
	v_cvt_f32_f16_e32 v72, v88
	v_pk_fma_f32 v[2:3], v[12:13], v[64:65], v[2:3] op_sel_hi:[1,0,1]
	v_pk_fma_f32 v[0:1], v[46:47], v[64:65], v[0:1] op_sel_hi:[1,0,1]
	v_cvt_f32_f16_sdwa v30, v88 dst_sel:DWORD dst_unused:UNUSED_PAD src0_sel:WORD_1
	v_pk_fma_f32 v[2:3], v[78:79], v[68:69], v[2:3] op_sel_hi:[1,0,1]
	v_pk_fma_f32 v[0:1], v[48:49], v[68:69], v[0:1] op_sel_hi:[1,0,1]
	v_cvt_f32_f16_e32 v88, v89
	v_pk_fma_f32 v[2:3], v[80:81], v[82:83], v[2:3] op_sel_hi:[1,0,1]
	v_pk_fma_f32 v[0:1], v[62:63], v[82:83], v[0:1] op_sel_hi:[1,0,1]
	v_cvt_f32_f16_sdwa v98, v89 dst_sel:DWORD dst_unused:UNUSED_PAD src0_sel:WORD_1
	v_pk_fma_f32 v[2:3], v[6:7], v[86:87], v[2:3] op_sel_hi:[1,0,1]
	v_pk_fma_f32 v[0:1], v[52:53], v[86:87], v[0:1] op_sel_hi:[1,0,1]
	;; [unrolled: 1-line block ×10, first 2 shown]
	s_andn2_b64 exec, exec, s[14:15]
	s_cbranch_execnz .LBB102_23
; %bb.24:
	s_or_b64 exec, exec, s[14:15]
.LBB102_25:
	s_or_b64 exec, exec, s[10:11]
.LBB102_26:
	s_or_b64 exec, exec, s[8:9]
	s_cbranch_execz .LBB102_28
	s_branch .LBB102_39
.LBB102_27:
                                        ; implicit-def: $vgpr31
                                        ; implicit-def: $vgpr33
.LBB102_28:
	s_mov_b32 s8, 0
	v_mov_b32_e32 v31, 0
	v_mov_b32_e32 v30, 0
	;; [unrolled: 1-line block ×4, first 2 shown]
	s_and_saveexec_b64 s[2:3], s[0:1]
	s_cbranch_execz .LBB102_38
; %bb.29:
	v_or_b32_e32 v0, 16, v22
	v_mov_b32_e32 v1, s19
	v_subrev_co_u32_e32 v0, vcc, s22, v0
	v_subb_co_u32_e32 v1, vcc, 0, v1, vcc
	v_add_co_u32_e32 v0, vcc, v0, v16
	v_addc_co_u32_e32 v1, vcc, v1, v17, vcc
	v_cmp_gt_i64_e32 vcc, v[0:1], v[26:27]
	v_cndmask_b32_e32 v1, v27, v1, vcc
	v_cndmask_b32_e32 v0, v26, v0, vcc
	v_mov_b32_e32 v4, s19
	v_sub_co_u32_e32 v5, vcc, s22, v22
	v_not_b32_e32 v3, v16
	v_subbrev_co_u32_e32 v4, vcc, 0, v4, vcc
	v_not_b32_e32 v2, v17
	v_add_co_u32_e32 v3, vcc, v5, v3
	v_addc_co_u32_e32 v2, vcc, v4, v2, vcc
	v_add_co_u32_e32 v0, vcc, v3, v0
	v_addc_co_u32_e32 v1, vcc, v2, v1, vcc
	v_lshrrev_b32_e32 v2, 4, v0
	v_add_u32_e32 v2, 1, v2
	v_and_b32_e32 v2, 3, v2
	s_mov_b32 s9, s8
	v_cmp_ne_u32_e32 vcc, 0, v2
	v_pk_mov_b32 v[32:33], s[8:9], s[8:9] op_sel:[0,1]
	v_pk_mov_b32 v[30:31], s[8:9], s[8:9] op_sel:[0,1]
	s_and_saveexec_b64 s[8:9], vcc
	s_cbranch_execz .LBB102_33
; %bb.30:
	v_lshlrev_b64 v[4:5], 3, v[24:25]
	v_mov_b32_e32 v3, 0
	v_mov_b32_e32 v6, s13
	v_add_co_u32_e32 v4, vcc, s12, v4
	v_addc_co_u32_e32 v5, vcc, v6, v5, vcc
	v_lshlrev_b32_e32 v2, 2, v2
	s_mov_b64 s[10:11], 0
	v_mov_b32_e32 v6, s19
	v_mov_b32_e32 v7, s7
	s_movk_i32 s14, 0x200
	v_mov_b32_e32 v30, v3
	v_mov_b32_e32 v31, v3
	;; [unrolled: 1-line block ×4, first 2 shown]
.LBB102_31:                             ; =>This Inner Loop Header: Depth=1
	global_load_dwordx2 v[12:13], v[4:5], off
	global_load_dwordx4 v[8:11], v[28:29], off
	v_add_co_u32_e64 v24, s[0:1], 16, v24
	v_addc_co_u32_e64 v25, s[0:1], 0, v25, s[0:1]
	v_add_co_u32_e64 v2, s[0:1], -4, v2
	v_addc_co_u32_e64 v3, s[0:1], -1, v3, s[0:1]
	v_cmp_eq_u64_e64 s[0:1], 0, v[2:3]
	s_or_b64 s[10:11], s[0:1], s[10:11]
	s_waitcnt vmcnt(1)
	v_subrev_co_u32_e32 v12, vcc, s22, v12
	v_subb_co_u32_e32 v13, vcc, v13, v6, vcc
	v_lshlrev_b64 v[12:13], 3, v[12:13]
	v_add_co_u32_e32 v16, vcc, s6, v12
	v_addc_co_u32_e32 v17, vcc, v7, v13, vcc
	global_load_dwordx2 v[18:19], v[16:17], off
	global_load_dwordx4 v[12:15], v[28:29], off offset:16
	s_waitcnt vmcnt(2)
	v_cvt_f32_f16_sdwa v17, v8 dst_sel:DWORD dst_unused:UNUSED_PAD src0_sel:WORD_1
	v_cvt_f32_f16_e32 v16, v8
	v_cvt_f32_f16_sdwa v35, v9 dst_sel:DWORD dst_unused:UNUSED_PAD src0_sel:WORD_1
	v_cvt_f32_f16_e32 v34, v9
	;; [unrolled: 2-line block ×4, first 2 shown]
	v_add_co_u32_e32 v28, vcc, s14, v28
	v_addc_co_u32_e32 v29, vcc, 0, v29, vcc
	v_add_co_u32_e32 v4, vcc, 0x80, v4
	v_addc_co_u32_e32 v5, vcc, 0, v5, vcc
	s_waitcnt vmcnt(1)
	v_cvt_f32_f16_e32 v42, v19
	s_waitcnt vmcnt(0)
	v_cvt_f32_f16_sdwa v39, v14 dst_sel:DWORD dst_unused:UNUSED_PAD src0_sel:WORD_1
	v_cvt_f32_f16_e32 v38, v14
	v_cvt_f32_f16_e32 v14, v18
	v_cvt_f32_f16_sdwa v18, v18 dst_sel:DWORD dst_unused:UNUSED_PAD src0_sel:WORD_1
	v_cvt_f32_f16_sdwa v11, v12 dst_sel:DWORD dst_unused:UNUSED_PAD src0_sel:WORD_1
	v_cvt_f32_f16_e32 v10, v12
	v_cvt_f32_f16_sdwa v41, v13 dst_sel:DWORD dst_unused:UNUSED_PAD src0_sel:WORD_1
	v_cvt_f32_f16_e32 v40, v13
	;; [unrolled: 2-line block ×3, first 2 shown]
	v_cvt_f32_f16_sdwa v44, v19 dst_sel:DWORD dst_unused:UNUSED_PAD src0_sel:WORD_1
	v_pk_fma_f32 v[16:17], v[16:17], v[14:15], v[32:33] op_sel_hi:[1,0,1]
	v_pk_fma_f32 v[14:15], v[34:35], v[14:15], v[30:31] op_sel_hi:[1,0,1]
	;; [unrolled: 1-line block ×8, first 2 shown]
	s_andn2_b64 exec, exec, s[10:11]
	s_cbranch_execnz .LBB102_31
; %bb.32:
	s_or_b64 exec, exec, s[10:11]
.LBB102_33:
	s_or_b64 exec, exec, s[8:9]
	v_cmp_lt_u64_e32 vcc, 47, v[0:1]
	s_and_saveexec_b64 s[8:9], vcc
	s_cbranch_execz .LBB102_37
; %bb.34:
	v_lshlrev_b64 v[0:1], 3, v[24:25]
	v_mov_b32_e32 v2, s13
	v_add_co_u32_e32 v0, vcc, s12, v0
	v_addc_co_u32_e32 v1, vcc, v1, v2, vcc
	v_add_co_u32_e32 v34, vcc, 0x100, v0
	v_addc_co_u32_e32 v35, vcc, 0, v1, vcc
	s_mov_b64 s[10:11], 0
	v_mov_b32_e32 v23, s19
	v_mov_b32_e32 v36, s7
	s_movk_i32 s7, 0x800
.LBB102_35:                             ; =>This Inner Loop Header: Depth=1
	global_load_dwordx4 v[4:7], v[28:29], off
	global_load_dwordx4 v[0:3], v[28:29], off offset:16
	global_load_dwordx4 v[8:11], v[28:29], off offset:512
	global_load_dwordx4 v[12:15], v[28:29], off offset:528
	global_load_dwordx4 v[16:19], v[28:29], off offset:1024
	global_load_dwordx2 v[50:51], v[34:35], off offset:-256
	global_load_dwordx2 v[52:53], v[34:35], off offset:-128
	global_load_dwordx2 v[54:55], v[34:35], off
	global_load_dwordx2 v[56:57], v[34:35], off offset:128
	global_load_dwordx4 v[38:41], v[28:29], off offset:1040
	global_load_dwordx4 v[42:45], v[28:29], off offset:1536
	;; [unrolled: 1-line block ×3, first 2 shown]
	v_add_co_u32_e32 v28, vcc, s7, v28
	v_addc_co_u32_e32 v29, vcc, 0, v29, vcc
	v_add_co_u32_e32 v34, vcc, 0x200, v34
	v_addc_co_u32_e32 v35, vcc, 0, v35, vcc
	v_add_co_u32_e64 v24, s[0:1], 64, v24
	v_addc_co_u32_e64 v25, s[0:1], 0, v25, s[0:1]
	v_cmp_ge_i64_e64 s[0:1], v[24:25], v[26:27]
	s_or_b64 s[10:11], s[0:1], s[10:11]
	s_waitcnt vmcnt(11)
	v_cvt_f32_f16_sdwa v59, v4 dst_sel:DWORD dst_unused:UNUSED_PAD src0_sel:WORD_1
	v_cvt_f32_f16_e32 v58, v4
	v_cvt_f32_f16_sdwa v61, v5 dst_sel:DWORD dst_unused:UNUSED_PAD src0_sel:WORD_1
	v_cvt_f32_f16_e32 v60, v5
	v_cvt_f32_f16_sdwa v5, v6 dst_sel:DWORD dst_unused:UNUSED_PAD src0_sel:WORD_1
	s_waitcnt vmcnt(6)
	v_subrev_co_u32_e32 v50, vcc, s22, v50
	v_subb_co_u32_e32 v51, vcc, v51, v23, vcc
	s_waitcnt vmcnt(5)
	v_subrev_co_u32_e32 v52, vcc, s22, v52
	v_subb_co_u32_e32 v53, vcc, v53, v23, vcc
	;; [unrolled: 3-line block ×4, first 2 shown]
	v_lshlrev_b64 v[50:51], 3, v[50:51]
	v_add_co_u32_e32 v50, vcc, s6, v50
	v_lshlrev_b64 v[52:53], 3, v[52:53]
	v_addc_co_u32_e32 v51, vcc, v36, v51, vcc
	v_add_co_u32_e32 v52, vcc, s6, v52
	v_lshlrev_b64 v[54:55], 3, v[54:55]
	v_addc_co_u32_e32 v53, vcc, v36, v53, vcc
	v_add_co_u32_e32 v54, vcc, s6, v54
	v_lshlrev_b64 v[56:57], 3, v[56:57]
	v_addc_co_u32_e32 v55, vcc, v36, v55, vcc
	v_add_co_u32_e32 v56, vcc, s6, v56
	v_addc_co_u32_e32 v57, vcc, v36, v57, vcc
	global_load_dwordx2 v[78:79], v[50:51], off
	global_load_dwordx2 v[80:81], v[52:53], off
	global_load_dwordx2 v[82:83], v[54:55], off
	global_load_dwordx2 v[84:85], v[56:57], off
	s_waitcnt vmcnt(4)
	v_cvt_f32_f16_sdwa v89, v48 dst_sel:DWORD dst_unused:UNUSED_PAD src0_sel:WORD_1
	v_cvt_f32_f16_e32 v88, v48
	v_cvt_f32_f16_e32 v4, v6
	v_cvt_f32_f16_sdwa v63, v7 dst_sel:DWORD dst_unused:UNUSED_PAD src0_sel:WORD_1
	v_cvt_f32_f16_e32 v62, v7
	v_cvt_f32_f16_sdwa v7, v0 dst_sel:DWORD dst_unused:UNUSED_PAD src0_sel:WORD_1
	;; [unrolled: 2-line block ×28, first 2 shown]
	v_cvt_f32_f16_e32 v46, v49
	s_waitcnt vmcnt(3)
	v_cvt_f32_f16_e32 v48, v78
	v_cvt_f32_f16_sdwa v78, v78 dst_sel:DWORD dst_unused:UNUSED_PAD src0_sel:WORD_1
	v_cvt_f32_f16_e32 v92, v79
	v_cvt_f32_f16_sdwa v94, v79 dst_sel:DWORD dst_unused:UNUSED_PAD src0_sel:WORD_1
	v_pk_fma_f32 v[32:33], v[58:59], v[48:49], v[32:33] op_sel_hi:[1,0,1]
	s_waitcnt vmcnt(2)
	v_cvt_f32_f16_e32 v58, v80
	v_pk_fma_f32 v[30:31], v[60:61], v[48:49], v[30:31] op_sel_hi:[1,0,1]
	v_cvt_f32_f16_sdwa v48, v80 dst_sel:DWORD dst_unused:UNUSED_PAD src0_sel:WORD_1
	v_pk_fma_f32 v[4:5], v[4:5], v[78:79], v[32:33] op_sel_hi:[1,0,1]
	v_pk_fma_f32 v[30:31], v[62:63], v[78:79], v[30:31] op_sel_hi:[1,0,1]
	v_cvt_f32_f16_e32 v60, v81
	v_pk_fma_f32 v[4:5], v[6:7], v[92:93], v[4:5] op_sel_hi:[1,0,1]
	v_pk_fma_f32 v[30:31], v[76:77], v[92:93], v[30:31] op_sel_hi:[1,0,1]
	v_cvt_f32_f16_sdwa v80, v81 dst_sel:DWORD dst_unused:UNUSED_PAD src0_sel:WORD_1
	v_pk_fma_f32 v[4:5], v[64:65], v[94:95], v[4:5] op_sel_hi:[1,0,1]
	v_pk_fma_f32 v[0:1], v[0:1], v[94:95], v[30:31] op_sel_hi:[1,0,1]
	s_waitcnt vmcnt(1)
	v_cvt_f32_f16_e32 v32, v82
	v_pk_fma_f32 v[4:5], v[66:67], v[58:59], v[4:5] op_sel_hi:[1,0,1]
	v_pk_fma_f32 v[0:1], v[2:3], v[58:59], v[0:1] op_sel_hi:[1,0,1]
	v_cvt_f32_f16_sdwa v62, v82 dst_sel:DWORD dst_unused:UNUSED_PAD src0_sel:WORD_1
	v_pk_fma_f32 v[2:3], v[68:69], v[48:49], v[4:5] op_sel_hi:[1,0,1]
	v_pk_fma_f32 v[0:1], v[8:9], v[48:49], v[0:1] op_sel_hi:[1,0,1]
	v_cvt_f32_f16_e32 v78, v83
	v_pk_fma_f32 v[2:3], v[70:71], v[60:61], v[2:3] op_sel_hi:[1,0,1]
	v_pk_fma_f32 v[0:1], v[10:11], v[60:61], v[0:1] op_sel_hi:[1,0,1]
	v_cvt_f32_f16_sdwa v82, v83 dst_sel:DWORD dst_unused:UNUSED_PAD src0_sel:WORD_1
	v_pk_fma_f32 v[2:3], v[72:73], v[80:81], v[2:3] op_sel_hi:[1,0,1]
	v_pk_fma_f32 v[0:1], v[12:13], v[80:81], v[0:1] op_sel_hi:[1,0,1]
	s_waitcnt vmcnt(0)
	v_cvt_f32_f16_e32 v6, v84
	v_pk_fma_f32 v[2:3], v[74:75], v[32:33], v[2:3] op_sel_hi:[1,0,1]
	v_pk_fma_f32 v[0:1], v[50:51], v[32:33], v[0:1] op_sel_hi:[1,0,1]
	v_cvt_f32_f16_sdwa v76, v84 dst_sel:DWORD dst_unused:UNUSED_PAD src0_sel:WORD_1
	v_pk_fma_f32 v[2:3], v[14:15], v[62:63], v[2:3] op_sel_hi:[1,0,1]
	v_pk_fma_f32 v[0:1], v[16:17], v[62:63], v[0:1] op_sel_hi:[1,0,1]
	v_cvt_f32_f16_e32 v84, v85
	v_pk_fma_f32 v[2:3], v[18:19], v[78:79], v[2:3] op_sel_hi:[1,0,1]
	v_pk_fma_f32 v[0:1], v[54:55], v[78:79], v[0:1] op_sel_hi:[1,0,1]
	v_cvt_f32_f16_sdwa v92, v85 dst_sel:DWORD dst_unused:UNUSED_PAD src0_sel:WORD_1
	v_pk_fma_f32 v[2:3], v[52:53], v[82:83], v[2:3] op_sel_hi:[1,0,1]
	v_pk_fma_f32 v[0:1], v[38:39], v[82:83], v[0:1] op_sel_hi:[1,0,1]
	;; [unrolled: 1-line block ×10, first 2 shown]
	s_andn2_b64 exec, exec, s[10:11]
	s_cbranch_execnz .LBB102_35
; %bb.36:
	s_or_b64 exec, exec, s[10:11]
.LBB102_37:
	s_or_b64 exec, exec, s[8:9]
.LBB102_38:
	s_or_b64 exec, exec, s[2:3]
.LBB102_39:
	v_mov_b32_dpp v0, v32 row_shr:1 row_mask:0xf bank_mask:0xf
	v_mov_b32_dpp v1, v33 row_shr:1 row_mask:0xf bank_mask:0xf
	;; [unrolled: 1-line block ×4, first 2 shown]
	v_pk_add_f32 v[0:1], v[32:33], v[0:1]
	v_pk_add_f32 v[4:5], v[30:31], v[4:5]
	v_cmp_eq_u32_e32 vcc, 15, v22
	v_mov_b32_dpp v2, v0 row_shr:2 row_mask:0xf bank_mask:0xf
	v_mov_b32_dpp v3, v1 row_shr:2 row_mask:0xf bank_mask:0xf
	;; [unrolled: 1-line block ×4, first 2 shown]
	v_pk_add_f32 v[0:1], v[0:1], v[2:3]
	v_pk_add_f32 v[4:5], v[4:5], v[6:7]
	s_nop 0
	v_mov_b32_dpp v2, v0 row_shr:4 row_mask:0xf bank_mask:0xe
	v_mov_b32_dpp v3, v1 row_shr:4 row_mask:0xf bank_mask:0xe
	;; [unrolled: 1-line block ×4, first 2 shown]
	v_pk_add_f32 v[0:1], v[0:1], v[2:3]
	v_pk_add_f32 v[4:5], v[4:5], v[6:7]
	s_nop 0
	v_mov_b32_dpp v2, v0 row_shr:8 row_mask:0xf bank_mask:0xc
	v_mov_b32_dpp v3, v1 row_shr:8 row_mask:0xf bank_mask:0xc
	;; [unrolled: 1-line block ×4, first 2 shown]
	s_and_b64 exec, exec, vcc
	s_cbranch_execz .LBB102_10
; %bb.40:
	s_load_dwordx2 s[0:1], s[4:5], 0x58
	v_cmp_eq_f32_e64 s[2:3], s20, 0
	v_pk_add_f32 v[2:3], v[0:1], v[2:3]
	v_pk_add_f32 v[0:1], v[4:5], v[6:7]
	s_and_b64 vcc, exec, s[2:3]
	v_lshlrev_b64 v[4:5], 4, v[20:21]
	s_cbranch_vccz .LBB102_42
; %bb.41:
	s_waitcnt lgkmcnt(0)
	v_mov_b32_e32 v6, s1
	v_add_co_u32_e32 v10, vcc, s0, v4
	v_addc_co_u32_e32 v11, vcc, v6, v5, vcc
	v_pk_mul_f32 v[6:7], s[16:17], v[2:3] op_sel_hi:[0,1]
	v_pk_mul_f32 v[8:9], s[16:17], v[0:1] op_sel_hi:[0,1]
	global_store_dwordx4 v[10:11], v[6:9], off
	s_cbranch_execnz .LBB102_10
	s_branch .LBB102_43
.LBB102_42:
.LBB102_43:
	s_waitcnt lgkmcnt(0)
	v_mov_b32_e32 v6, s1
	v_add_co_u32_e32 v8, vcc, s0, v4
	v_addc_co_u32_e32 v9, vcc, v6, v5, vcc
	global_load_dwordx4 v[4:7], v[8:9], off
	v_pk_mul_f32 v[2:3], s[16:17], v[2:3] op_sel_hi:[0,1]
	v_pk_mul_f32 v[10:11], s[16:17], v[0:1] op_sel_hi:[0,1]
	s_waitcnt vmcnt(0)
	v_pk_fma_f32 v[0:1], s[20:21], v[4:5], v[2:3] op_sel_hi:[0,1,1]
	v_pk_fma_f32 v[2:3], s[20:21], v[6:7], v[10:11] op_sel_hi:[0,1,1]
	global_store_dwordx4 v[8:9], v[0:3], off
	s_endpgm
	.section	.rodata,"a",@progbits
	.p2align	6, 0x0
	.amdhsa_kernel _ZN9rocsparseL18bsrxmvn_4x4_kernelILj128ELj16EfllDF16_DF16_fEEvT3_20rocsparse_direction_NS_24const_host_device_scalarIT1_EES1_PKS1_PKT2_SA_S7_PKT4_PKT5_S5_PT6_21rocsparse_index_base_b
		.amdhsa_group_segment_fixed_size 0
		.amdhsa_private_segment_fixed_size 0
		.amdhsa_kernarg_size 104
		.amdhsa_user_sgpr_count 6
		.amdhsa_user_sgpr_private_segment_buffer 1
		.amdhsa_user_sgpr_dispatch_ptr 0
		.amdhsa_user_sgpr_queue_ptr 0
		.amdhsa_user_sgpr_kernarg_segment_ptr 1
		.amdhsa_user_sgpr_dispatch_id 0
		.amdhsa_user_sgpr_flat_scratch_init 0
		.amdhsa_user_sgpr_kernarg_preload_length 0
		.amdhsa_user_sgpr_kernarg_preload_offset 0
		.amdhsa_user_sgpr_private_segment_size 0
		.amdhsa_uses_dynamic_stack 0
		.amdhsa_system_sgpr_private_segment_wavefront_offset 0
		.amdhsa_system_sgpr_workgroup_id_x 1
		.amdhsa_system_sgpr_workgroup_id_y 0
		.amdhsa_system_sgpr_workgroup_id_z 0
		.amdhsa_system_sgpr_workgroup_info 0
		.amdhsa_system_vgpr_workitem_id 0
		.amdhsa_next_free_vgpr 102
		.amdhsa_next_free_sgpr 24
		.amdhsa_accum_offset 104
		.amdhsa_reserve_vcc 1
		.amdhsa_reserve_flat_scratch 0
		.amdhsa_float_round_mode_32 0
		.amdhsa_float_round_mode_16_64 0
		.amdhsa_float_denorm_mode_32 3
		.amdhsa_float_denorm_mode_16_64 3
		.amdhsa_dx10_clamp 1
		.amdhsa_ieee_mode 1
		.amdhsa_fp16_overflow 0
		.amdhsa_tg_split 0
		.amdhsa_exception_fp_ieee_invalid_op 0
		.amdhsa_exception_fp_denorm_src 0
		.amdhsa_exception_fp_ieee_div_zero 0
		.amdhsa_exception_fp_ieee_overflow 0
		.amdhsa_exception_fp_ieee_underflow 0
		.amdhsa_exception_fp_ieee_inexact 0
		.amdhsa_exception_int_div_zero 0
	.end_amdhsa_kernel
	.section	.text._ZN9rocsparseL18bsrxmvn_4x4_kernelILj128ELj16EfllDF16_DF16_fEEvT3_20rocsparse_direction_NS_24const_host_device_scalarIT1_EES1_PKS1_PKT2_SA_S7_PKT4_PKT5_S5_PT6_21rocsparse_index_base_b,"axG",@progbits,_ZN9rocsparseL18bsrxmvn_4x4_kernelILj128ELj16EfllDF16_DF16_fEEvT3_20rocsparse_direction_NS_24const_host_device_scalarIT1_EES1_PKS1_PKT2_SA_S7_PKT4_PKT5_S5_PT6_21rocsparse_index_base_b,comdat
.Lfunc_end102:
	.size	_ZN9rocsparseL18bsrxmvn_4x4_kernelILj128ELj16EfllDF16_DF16_fEEvT3_20rocsparse_direction_NS_24const_host_device_scalarIT1_EES1_PKS1_PKT2_SA_S7_PKT4_PKT5_S5_PT6_21rocsparse_index_base_b, .Lfunc_end102-_ZN9rocsparseL18bsrxmvn_4x4_kernelILj128ELj16EfllDF16_DF16_fEEvT3_20rocsparse_direction_NS_24const_host_device_scalarIT1_EES1_PKS1_PKT2_SA_S7_PKT4_PKT5_S5_PT6_21rocsparse_index_base_b
                                        ; -- End function
	.section	.AMDGPU.csdata,"",@progbits
; Kernel info:
; codeLenInByte = 4204
; NumSgprs: 28
; NumVgprs: 102
; NumAgprs: 0
; TotalNumVgprs: 102
; ScratchSize: 0
; MemoryBound: 0
; FloatMode: 240
; IeeeMode: 1
; LDSByteSize: 0 bytes/workgroup (compile time only)
; SGPRBlocks: 3
; VGPRBlocks: 12
; NumSGPRsForWavesPerEU: 28
; NumVGPRsForWavesPerEU: 102
; AccumOffset: 104
; Occupancy: 4
; WaveLimiterHint : 1
; COMPUTE_PGM_RSRC2:SCRATCH_EN: 0
; COMPUTE_PGM_RSRC2:USER_SGPR: 6
; COMPUTE_PGM_RSRC2:TRAP_HANDLER: 0
; COMPUTE_PGM_RSRC2:TGID_X_EN: 1
; COMPUTE_PGM_RSRC2:TGID_Y_EN: 0
; COMPUTE_PGM_RSRC2:TGID_Z_EN: 0
; COMPUTE_PGM_RSRC2:TIDIG_COMP_CNT: 0
; COMPUTE_PGM_RSRC3_GFX90A:ACCUM_OFFSET: 25
; COMPUTE_PGM_RSRC3_GFX90A:TG_SPLIT: 0
	.section	.text._ZN9rocsparseL18bsrxmvn_4x4_kernelILj128ELj32EfllDF16_DF16_fEEvT3_20rocsparse_direction_NS_24const_host_device_scalarIT1_EES1_PKS1_PKT2_SA_S7_PKT4_PKT5_S5_PT6_21rocsparse_index_base_b,"axG",@progbits,_ZN9rocsparseL18bsrxmvn_4x4_kernelILj128ELj32EfllDF16_DF16_fEEvT3_20rocsparse_direction_NS_24const_host_device_scalarIT1_EES1_PKS1_PKT2_SA_S7_PKT4_PKT5_S5_PT6_21rocsparse_index_base_b,comdat
	.globl	_ZN9rocsparseL18bsrxmvn_4x4_kernelILj128ELj32EfllDF16_DF16_fEEvT3_20rocsparse_direction_NS_24const_host_device_scalarIT1_EES1_PKS1_PKT2_SA_S7_PKT4_PKT5_S5_PT6_21rocsparse_index_base_b ; -- Begin function _ZN9rocsparseL18bsrxmvn_4x4_kernelILj128ELj32EfllDF16_DF16_fEEvT3_20rocsparse_direction_NS_24const_host_device_scalarIT1_EES1_PKS1_PKT2_SA_S7_PKT4_PKT5_S5_PT6_21rocsparse_index_base_b
	.p2align	8
	.type	_ZN9rocsparseL18bsrxmvn_4x4_kernelILj128ELj32EfllDF16_DF16_fEEvT3_20rocsparse_direction_NS_24const_host_device_scalarIT1_EES1_PKS1_PKT2_SA_S7_PKT4_PKT5_S5_PT6_21rocsparse_index_base_b,@function
_ZN9rocsparseL18bsrxmvn_4x4_kernelILj128ELj32EfllDF16_DF16_fEEvT3_20rocsparse_direction_NS_24const_host_device_scalarIT1_EES1_PKS1_PKT2_SA_S7_PKT4_PKT5_S5_PT6_21rocsparse_index_base_b: ; @_ZN9rocsparseL18bsrxmvn_4x4_kernelILj128ELj32EfllDF16_DF16_fEEvT3_20rocsparse_direction_NS_24const_host_device_scalarIT1_EES1_PKS1_PKT2_SA_S7_PKT4_PKT5_S5_PT6_21rocsparse_index_base_b
; %bb.0:
	s_load_dwordx2 s[22:23], s[4:5], 0x60
	s_load_dwordx4 s[16:19], s[4:5], 0x10
	s_load_dwordx2 s[20:21], s[4:5], 0x50
	s_waitcnt lgkmcnt(0)
	s_bitcmp1_b32 s23, 0
	s_cselect_b64 s[2:3], -1, 0
	s_xor_b64 s[0:1], s[2:3], -1
	s_and_b64 vcc, exec, s[2:3]
	s_cbranch_vccnz .LBB103_2
; %bb.1:
	s_load_dword s16, s[16:17], 0x0
.LBB103_2:
	s_andn2_b64 vcc, exec, s[0:1]
	s_cbranch_vccnz .LBB103_4
; %bb.3:
	s_load_dword s20, s[20:21], 0x0
.LBB103_4:
	s_waitcnt lgkmcnt(0)
	v_cmp_neq_f32_e64 s[0:1], s16, 0
	v_cmp_neq_f32_e64 s[2:3], s20, 1.0
	s_or_b64 s[0:1], s[0:1], s[2:3]
	s_andn2_b64 vcc, exec, s[0:1]
	s_cbranch_vccnz .LBB103_10
; %bb.5:
	s_load_dwordx2 s[2:3], s[4:5], 0x20
	v_lshrrev_b32_e32 v1, 5, v0
	v_lshl_or_b32 v2, s6, 2, v1
	v_mov_b32_e32 v3, 0
	s_mov_b64 s[0:1], 0
	s_waitcnt lgkmcnt(0)
	s_cmp_lg_u64 s[2:3], 0
	s_cbranch_scc0 .LBB103_11
; %bb.6:
	v_cmp_gt_i64_e32 vcc, s[18:19], v[2:3]
                                        ; implicit-def: $vgpr24_vgpr25
	s_and_saveexec_b64 s[6:7], vcc
	s_xor_b64 s[6:7], exec, s[6:7]
                                        ; implicit-def: $sgpr18_sgpr19
	s_cbranch_execz .LBB103_8
; %bb.7:
	v_lshlrev_b64 v[4:5], 3, v[2:3]
	v_mov_b32_e32 v1, s3
	v_add_co_u32_e32 v4, vcc, s2, v4
	v_addc_co_u32_e32 v5, vcc, v1, v5, vcc
	global_load_dwordx2 v[4:5], v[4:5], off
	s_mov_b64 s[0:1], exec
	s_mov_b32 s19, 0
	s_waitcnt vmcnt(0)
	v_subrev_co_u32_e32 v24, vcc, s22, v4
	v_subbrev_co_u32_e32 v25, vcc, 0, v5, vcc
.LBB103_8:
	s_or_b64 exec, exec, s[6:7]
.LBB103_9:
	s_and_saveexec_b64 s[2:3], s[0:1]
	s_cbranch_execnz .LBB103_15
.LBB103_10:
	s_endpgm
.LBB103_11:
                                        ; implicit-def: $vgpr24_vgpr25
                                        ; implicit-def: $sgpr18_sgpr19
	s_cbranch_execz .LBB103_9
; %bb.12:
	s_load_dwordx2 s[2:3], s[4:5], 0x0
                                        ; implicit-def: $vgpr24_vgpr25
	s_waitcnt lgkmcnt(0)
	v_cmp_gt_i64_e32 vcc, s[2:3], v[2:3]
	s_and_saveexec_b64 s[2:3], vcc
                                        ; implicit-def: $sgpr18_sgpr19
; %bb.13:
	s_mov_b32 s19, 0
	s_or_b64 s[0:1], s[0:1], exec
	v_pk_mov_b32 v[24:25], v[2:3], v[2:3] op_sel:[0,1]
; %bb.14:
	s_or_b64 exec, exec, s[2:3]
	s_and_saveexec_b64 s[2:3], s[0:1]
	s_cbranch_execz .LBB103_10
.LBB103_15:
	s_load_dwordx8 s[8:15], s[4:5], 0x28
	v_lshlrev_b64 v[2:3], 3, v[24:25]
	v_and_b32_e32 v26, 31, v0
	v_mov_b32_e32 v0, s19
	v_mov_b32_e32 v35, 0
	s_waitcnt lgkmcnt(0)
	v_mov_b32_e32 v1, s9
	v_add_co_u32_e32 v4, vcc, s8, v2
	v_addc_co_u32_e32 v5, vcc, v1, v3, vcc
	v_add_co_u32_e32 v1, vcc, 8, v4
	global_load_dwordx2 v[38:39], v[4:5], off
	v_addc_co_u32_e32 v4, vcc, 0, v5, vcc
	v_mov_b32_e32 v5, s11
	v_add_co_u32_e32 v2, vcc, s10, v2
	s_cmp_eq_u64 s[10:11], 0
	v_addc_co_u32_e32 v3, vcc, v5, v3, vcc
	s_cselect_b64 vcc, -1, 0
	v_cndmask_b32_e32 v3, v3, v4, vcc
	v_cndmask_b32_e32 v2, v2, v1, vcc
	global_load_dwordx2 v[2:3], v[2:3], off
	s_load_dwordx2 s[6:7], s[4:5], 0x48
	s_load_dword s0, s[4:5], 0x8
	v_mov_b32_e32 v4, s15
	s_waitcnt lgkmcnt(0)
	s_cmp_eq_u32 s0, 1
	s_waitcnt vmcnt(1)
	v_subrev_co_u32_e32 v1, vcc, s22, v38
	v_subb_co_u32_e32 v5, vcc, v39, v0, vcc
	v_add_co_u32_e32 v28, vcc, v1, v26
	v_addc_co_u32_e32 v29, vcc, 0, v5, vcc
	s_waitcnt vmcnt(0)
	v_subrev_co_u32_e32 v30, vcc, s22, v2
	v_subb_co_u32_e32 v31, vcc, v3, v0, vcc
	v_lshlrev_b64 v[0:1], 5, v[28:29]
	v_add_co_u32_e32 v32, vcc, s14, v0
	v_addc_co_u32_e32 v33, vcc, v4, v1, vcc
	v_cmp_lt_i64_e64 s[0:1], v[28:29], v[30:31]
	s_cbranch_scc1 .LBB103_27
; %bb.16:
	s_mov_b32 s2, 0
	v_mov_b32_e32 v34, 0
	v_mov_b32_e32 v37, 0
	;; [unrolled: 1-line block ×3, first 2 shown]
	s_and_saveexec_b64 s[8:9], s[0:1]
	s_cbranch_execz .LBB103_26
; %bb.17:
	v_or_b32_e32 v0, 32, v26
	v_mov_b32_e32 v1, s19
	v_subrev_co_u32_e32 v0, vcc, s22, v0
	v_subb_co_u32_e32 v1, vcc, 0, v1, vcc
	v_add_co_u32_e32 v0, vcc, v0, v38
	v_addc_co_u32_e32 v1, vcc, v1, v39, vcc
	v_cmp_gt_i64_e32 vcc, v[0:1], v[30:31]
	v_cndmask_b32_e32 v1, v31, v1, vcc
	v_cndmask_b32_e32 v0, v30, v0, vcc
	v_mov_b32_e32 v4, s19
	v_sub_co_u32_e32 v5, vcc, s22, v26
	v_not_b32_e32 v3, v38
	v_subbrev_co_u32_e32 v4, vcc, 0, v4, vcc
	v_not_b32_e32 v2, v39
	v_add_co_u32_e32 v3, vcc, v5, v3
	v_addc_co_u32_e32 v2, vcc, v4, v2, vcc
	v_add_co_u32_e32 v0, vcc, v3, v0
	v_addc_co_u32_e32 v1, vcc, v2, v1, vcc
	v_lshrrev_b32_e32 v2, 5, v0
	v_add_u32_e32 v2, 1, v2
	v_and_b32_e32 v2, 3, v2
	s_mov_b32 s3, s2
	v_cmp_ne_u32_e32 vcc, 0, v2
	v_pk_mov_b32 v[36:37], s[2:3], s[2:3] op_sel:[0,1]
	v_pk_mov_b32 v[34:35], s[2:3], s[2:3] op_sel:[0,1]
	;; [unrolled: 1-line block ×4, first 2 shown]
	s_and_saveexec_b64 s[10:11], vcc
	s_cbranch_execz .LBB103_21
; %bb.18:
	v_lshlrev_b64 v[4:5], 3, v[28:29]
	v_mov_b32_e32 v3, 0
	v_mov_b32_e32 v6, s13
	v_add_co_u32_e32 v4, vcc, s12, v4
	v_addc_co_u32_e32 v5, vcc, v6, v5, vcc
	v_lshlrev_b32_e32 v2, 2, v2
	s_mov_b64 s[14:15], 0
	v_mov_b32_e32 v6, s19
	v_mov_b32_e32 v7, s7
	s_movk_i32 s17, 0x400
	v_pk_mov_b32 v[42:43], v[32:33], v[32:33] op_sel:[0,1]
	v_pk_mov_b32 v[40:41], v[28:29], v[28:29] op_sel:[0,1]
	v_mov_b32_e32 v34, v3
	v_mov_b32_e32 v35, v3
	;; [unrolled: 1-line block ×4, first 2 shown]
.LBB103_19:                             ; =>This Inner Loop Header: Depth=1
	global_load_dwordx2 v[16:17], v[4:5], off
	global_load_dwordx4 v[8:11], v[42:43], off
	global_load_dwordx4 v[12:15], v[42:43], off offset:16
	v_add_co_u32_e64 v40, s[2:3], 32, v40
	v_addc_co_u32_e64 v41, s[2:3], 0, v41, s[2:3]
	v_add_co_u32_e64 v2, s[2:3], -4, v2
	v_addc_co_u32_e64 v3, s[2:3], -1, v3, s[2:3]
	v_cmp_eq_u64_e64 s[2:3], 0, v[2:3]
	s_or_b64 s[14:15], s[2:3], s[14:15]
	s_waitcnt vmcnt(2)
	v_subrev_co_u32_e32 v16, vcc, s22, v16
	v_subb_co_u32_e32 v17, vcc, v17, v6, vcc
	v_lshlrev_b64 v[16:17], 3, v[16:17]
	v_add_co_u32_e32 v16, vcc, s6, v16
	v_addc_co_u32_e32 v17, vcc, v7, v17, vcc
	global_load_dwordx2 v[16:17], v[16:17], off
	s_waitcnt vmcnt(2)
	v_cvt_f32_f16_e32 v21, v10
	v_cvt_f32_f16_e32 v20, v8
	s_waitcnt vmcnt(1)
	v_cvt_f32_f16_e32 v45, v14
	v_cvt_f32_f16_e32 v44, v12
	v_cvt_f32_f16_sdwa v46, v12 dst_sel:DWORD dst_unused:UNUSED_PAD src0_sel:WORD_1
	v_cvt_f32_f16_sdwa v23, v10 dst_sel:DWORD dst_unused:UNUSED_PAD src0_sel:WORD_1
	;; [unrolled: 1-line block ×4, first 2 shown]
	v_cvt_f32_f16_e32 v18, v9
	v_cvt_f32_f16_e32 v19, v11
	v_cvt_f32_f16_sdwa v10, v9 dst_sel:DWORD dst_unused:UNUSED_PAD src0_sel:WORD_1
	v_cvt_f32_f16_e32 v8, v13
	v_cvt_f32_f16_e32 v9, v15
	v_cvt_f32_f16_sdwa v11, v11 dst_sel:DWORD dst_unused:UNUSED_PAD src0_sel:WORD_1
	v_cvt_f32_f16_sdwa v15, v15 dst_sel:DWORD dst_unused:UNUSED_PAD src0_sel:WORD_1
	;; [unrolled: 1-line block ×3, first 2 shown]
	v_add_co_u32_e32 v42, vcc, s17, v42
	v_addc_co_u32_e32 v43, vcc, 0, v43, vcc
	v_add_co_u32_e32 v4, vcc, 0x100, v4
	v_addc_co_u32_e32 v5, vcc, 0, v5, vcc
	s_waitcnt vmcnt(0)
	v_cvt_f32_f16_e32 v12, v16
	v_cvt_f32_f16_sdwa v16, v16 dst_sel:DWORD dst_unused:UNUSED_PAD src0_sel:WORD_1
	v_cvt_f32_f16_e32 v48, v17
	v_cvt_f32_f16_sdwa v50, v17 dst_sel:DWORD dst_unused:UNUSED_PAD src0_sel:WORD_1
	v_pk_fma_f32 v[20:21], v[20:21], v[12:13], v[36:37] op_sel_hi:[1,0,1]
	v_pk_fma_f32 v[12:13], v[44:45], v[12:13], v[34:35] op_sel_hi:[1,0,1]
	;; [unrolled: 1-line block ×8, first 2 shown]
	s_andn2_b64 exec, exec, s[14:15]
	s_cbranch_execnz .LBB103_19
; %bb.20:
	s_or_b64 exec, exec, s[14:15]
.LBB103_21:
	s_or_b64 exec, exec, s[10:11]
	s_mov_b64 s[2:3], 0x5f
	v_cmp_lt_u64_e32 vcc, s[2:3], v[0:1]
	s_and_saveexec_b64 s[2:3], vcc
	s_cbranch_execz .LBB103_25
; %bb.22:
	v_lshlrev_b64 v[0:1], 3, v[40:41]
	v_mov_b32_e32 v2, s13
	v_add_co_u32_e32 v0, vcc, s12, v0
	v_addc_co_u32_e32 v1, vcc, v1, v2, vcc
	v_add_co_u32_e32 v44, vcc, 0x200, v0
	v_addc_co_u32_e32 v45, vcc, 0, v1, vcc
	s_mov_b64 s[10:11], 0
	v_mov_b32_e32 v27, s19
	v_mov_b32_e32 v52, s7
	s_movk_i32 s14, 0x1000
.LBB103_23:                             ; =>This Inner Loop Header: Depth=1
	global_load_dwordx2 v[62:63], v[44:45], off offset:-512
	global_load_dwordx4 v[4:7], v[42:43], off
	global_load_dwordx4 v[0:3], v[42:43], off offset:16
	global_load_dwordx2 v[50:51], v[44:45], off offset:-256
	global_load_dwordx2 v[48:49], v[44:45], off
	global_load_dwordx2 v[46:47], v[44:45], off offset:256
	global_load_dwordx4 v[16:19], v[42:43], off offset:3072
	global_load_dwordx4 v[54:57], v[42:43], off offset:1024
	;; [unrolled: 1-line block ×6, first 2 shown]
	v_add_co_u32_e32 v42, vcc, s14, v42
	v_addc_co_u32_e32 v43, vcc, 0, v43, vcc
	v_add_co_u32_e32 v40, vcc, 0x80, v40
	v_addc_co_u32_e32 v41, vcc, 0, v41, vcc
	;; [unrolled: 2-line block ×3, first 2 shown]
	v_cmp_ge_i64_e32 vcc, v[40:41], v[30:31]
	s_or_b64 s[10:11], vcc, s[10:11]
	s_waitcnt vmcnt(11)
	v_subrev_co_u32_e32 v62, vcc, s22, v62
	v_subb_co_u32_e32 v63, vcc, v63, v27, vcc
	s_waitcnt vmcnt(8)
	v_subrev_co_u32_e32 v50, vcc, s22, v50
	v_subb_co_u32_e32 v51, vcc, v51, v27, vcc
	s_waitcnt vmcnt(7)
	v_subrev_co_u32_e32 v48, vcc, s22, v48
	v_subb_co_u32_e32 v49, vcc, v49, v27, vcc
	s_waitcnt vmcnt(6)
	v_subrev_co_u32_e32 v46, vcc, s22, v46
	v_subb_co_u32_e32 v47, vcc, v47, v27, vcc
	v_lshlrev_b64 v[62:63], 3, v[62:63]
	v_add_co_u32_e32 v62, vcc, s6, v62
	v_lshlrev_b64 v[50:51], 3, v[50:51]
	v_addc_co_u32_e32 v63, vcc, v52, v63, vcc
	v_add_co_u32_e32 v50, vcc, s6, v50
	v_lshlrev_b64 v[48:49], 3, v[48:49]
	v_addc_co_u32_e32 v51, vcc, v52, v51, vcc
	v_add_co_u32_e32 v48, vcc, s6, v48
	v_lshlrev_b64 v[46:47], 3, v[46:47]
	v_addc_co_u32_e32 v49, vcc, v52, v49, vcc
	v_add_co_u32_e32 v46, vcc, s6, v46
	v_addc_co_u32_e32 v47, vcc, v52, v47, vcc
	global_load_dwordx2 v[82:83], v[62:63], off
	global_load_dwordx2 v[84:85], v[50:51], off
	;; [unrolled: 1-line block ×4, first 2 shown]
	v_cvt_f32_f16_e32 v67, v6
	v_cvt_f32_f16_e32 v66, v4
	v_cvt_f32_f16_sdwa v68, v4 dst_sel:DWORD dst_unused:UNUSED_PAD src0_sel:WORD_1
	v_cvt_f32_f16_e32 v73, v2
	v_cvt_f32_f16_e32 v72, v0
	v_cvt_f32_f16_sdwa v74, v0 dst_sel:DWORD dst_unused:UNUSED_PAD src0_sel:WORD_1
	s_waitcnt vmcnt(9)
	v_cvt_f32_f16_sdwa v4, v16 dst_sel:DWORD dst_unused:UNUSED_PAD src0_sel:WORD_1
	s_waitcnt vmcnt(8)
	v_cvt_f32_f16_e32 v76, v54
	v_cvt_f32_f16_sdwa v78, v54 dst_sel:DWORD dst_unused:UNUSED_PAD src0_sel:WORD_1
	s_waitcnt vmcnt(7)
	v_cvt_f32_f16_e32 v54, v20
	v_cvt_f32_f16_sdwa v46, v20 dst_sel:DWORD dst_unused:UNUSED_PAD src0_sel:WORD_1
	v_cvt_f32_f16_e32 v20, v16
	s_waitcnt vmcnt(4)
	v_cvt_f32_f16_sdwa v0, v58 dst_sel:DWORD dst_unused:UNUSED_PAD src0_sel:WORD_1
	v_cvt_f32_f16_e32 v16, v12
	v_cvt_f32_f16_sdwa v62, v12 dst_sel:DWORD dst_unused:UNUSED_PAD src0_sel:WORD_1
	v_cvt_f32_f16_e32 v12, v8
	v_cvt_f32_f16_sdwa v92, v8 dst_sel:DWORD dst_unused:UNUSED_PAD src0_sel:WORD_1
	v_cvt_f32_f16_e32 v8, v58
	v_cvt_f32_f16_sdwa v69, v6 dst_sel:DWORD dst_unused:UNUSED_PAD src0_sel:WORD_1
	v_cvt_f32_f16_sdwa v75, v2 dst_sel:DWORD dst_unused:UNUSED_PAD src0_sel:WORD_1
	v_cvt_f32_f16_e32 v64, v5
	v_cvt_f32_f16_e32 v65, v7
	;; [unrolled: 1-line block ×4, first 2 shown]
	v_cvt_f32_f16_sdwa v7, v7 dst_sel:DWORD dst_unused:UNUSED_PAD src0_sel:WORD_1
	v_cvt_f32_f16_sdwa v6, v5 dst_sel:DWORD dst_unused:UNUSED_PAD src0_sel:WORD_1
	;; [unrolled: 1-line block ×4, first 2 shown]
	v_cvt_f32_f16_e32 v77, v56
	v_cvt_f32_f16_sdwa v79, v56 dst_sel:DWORD dst_unused:UNUSED_PAD src0_sel:WORD_1
	v_cvt_f32_f16_e32 v80, v55
	v_cvt_f32_f16_sdwa v56, v55 dst_sel:DWORD dst_unused:UNUSED_PAD src0_sel:WORD_1
	;; [unrolled: 2-line block ×7, first 2 shown]
	v_cvt_f32_f16_e32 v81, v57
	v_cvt_f32_f16_e32 v91, v15
	;; [unrolled: 1-line block ×3, first 2 shown]
	v_cvt_f32_f16_sdwa v57, v57 dst_sel:DWORD dst_unused:UNUSED_PAD src0_sel:WORD_1
	v_cvt_f32_f16_sdwa v15, v15 dst_sel:DWORD dst_unused:UNUSED_PAD src0_sel:WORD_1
	;; [unrolled: 1-line block ×3, first 2 shown]
	v_cvt_f32_f16_e32 v13, v10
	v_cvt_f32_f16_sdwa v93, v10 dst_sel:DWORD dst_unused:UNUSED_PAD src0_sel:WORD_1
	v_cvt_f32_f16_e32 v49, v23
	v_cvt_f32_f16_e32 v95, v11
	;; [unrolled: 1-line block ×3, first 2 shown]
	v_cvt_f32_f16_sdwa v23, v23 dst_sel:DWORD dst_unused:UNUSED_PAD src0_sel:WORD_1
	v_cvt_f32_f16_sdwa v11, v11 dst_sel:DWORD dst_unused:UNUSED_PAD src0_sel:WORD_1
	;; [unrolled: 1-line block ×3, first 2 shown]
	v_cvt_f32_f16_e32 v9, v60
	v_cvt_f32_f16_sdwa v1, v60 dst_sel:DWORD dst_unused:UNUSED_PAD src0_sel:WORD_1
	v_cvt_f32_f16_e32 v51, v19
	v_cvt_f32_f16_e32 v97, v61
	;; [unrolled: 1-line block ×3, first 2 shown]
	v_cvt_f32_f16_sdwa v19, v19 dst_sel:DWORD dst_unused:UNUSED_PAD src0_sel:WORD_1
	v_cvt_f32_f16_sdwa v61, v61 dst_sel:DWORD dst_unused:UNUSED_PAD src0_sel:WORD_1
	;; [unrolled: 1-line block ×3, first 2 shown]
	s_waitcnt vmcnt(3)
	v_cvt_f32_f16_e32 v58, v82
	v_cvt_f32_f16_sdwa v82, v82 dst_sel:DWORD dst_unused:UNUSED_PAD src0_sel:WORD_1
	v_cvt_f32_f16_e32 v98, v83
	v_cvt_f32_f16_sdwa v100, v83 dst_sel:DWORD dst_unused:UNUSED_PAD src0_sel:WORD_1
	v_pk_fma_f32 v[36:37], v[66:67], v[58:59], v[36:37] op_sel_hi:[1,0,1]
	s_waitcnt vmcnt(2)
	v_cvt_f32_f16_e32 v66, v84
	v_pk_fma_f32 v[34:35], v[72:73], v[58:59], v[34:35] op_sel_hi:[1,0,1]
	v_cvt_f32_f16_sdwa v58, v84 dst_sel:DWORD dst_unused:UNUSED_PAD src0_sel:WORD_1
	v_pk_fma_f32 v[36:37], v[68:69], v[82:83], v[36:37] op_sel_hi:[1,0,1]
	v_pk_fma_f32 v[34:35], v[74:75], v[82:83], v[34:35] op_sel_hi:[1,0,1]
	v_cvt_f32_f16_e32 v72, v85
	v_pk_fma_f32 v[36:37], v[64:65], v[98:99], v[36:37] op_sel_hi:[1,0,1]
	v_pk_fma_f32 v[34:35], v[70:71], v[98:99], v[34:35] op_sel_hi:[1,0,1]
	v_cvt_f32_f16_sdwa v84, v85 dst_sel:DWORD dst_unused:UNUSED_PAD src0_sel:WORD_1
	v_pk_fma_f32 v[6:7], v[6:7], v[100:101], v[36:37] op_sel_hi:[1,0,1]
	v_pk_fma_f32 v[2:3], v[2:3], v[100:101], v[34:35] op_sel_hi:[1,0,1]
	s_waitcnt vmcnt(1)
	v_cvt_f32_f16_e32 v68, v86
	v_pk_fma_f32 v[6:7], v[76:77], v[66:67], v[6:7] op_sel_hi:[1,0,1]
	v_pk_fma_f32 v[2:3], v[16:17], v[66:67], v[2:3] op_sel_hi:[1,0,1]
	v_cvt_f32_f16_sdwa v74, v86 dst_sel:DWORD dst_unused:UNUSED_PAD src0_sel:WORD_1
	v_pk_fma_f32 v[6:7], v[78:79], v[58:59], v[6:7] op_sel_hi:[1,0,1]
	v_pk_fma_f32 v[2:3], v[62:63], v[58:59], v[2:3] op_sel_hi:[1,0,1]
	v_cvt_f32_f16_e32 v82, v87
	v_pk_fma_f32 v[6:7], v[80:81], v[72:73], v[6:7] op_sel_hi:[1,0,1]
	v_pk_fma_f32 v[2:3], v[90:91], v[72:73], v[2:3] op_sel_hi:[1,0,1]
	v_cvt_f32_f16_sdwa v86, v87 dst_sel:DWORD dst_unused:UNUSED_PAD src0_sel:WORD_1
	v_pk_fma_f32 v[6:7], v[56:57], v[84:85], v[6:7] op_sel_hi:[1,0,1]
	v_pk_fma_f32 v[2:3], v[14:15], v[84:85], v[2:3] op_sel_hi:[1,0,1]
	s_waitcnt vmcnt(0)
	v_cvt_f32_f16_e32 v64, v88
	v_pk_fma_f32 v[6:7], v[54:55], v[68:69], v[6:7] op_sel_hi:[1,0,1]
	v_pk_fma_f32 v[2:3], v[12:13], v[68:69], v[2:3] op_sel_hi:[1,0,1]
	v_cvt_f32_f16_sdwa v70, v88 dst_sel:DWORD dst_unused:UNUSED_PAD src0_sel:WORD_1
	v_pk_fma_f32 v[6:7], v[46:47], v[74:75], v[6:7] op_sel_hi:[1,0,1]
	v_pk_fma_f32 v[2:3], v[92:93], v[74:75], v[2:3] op_sel_hi:[1,0,1]
	v_cvt_f32_f16_e32 v88, v89
	v_pk_fma_f32 v[6:7], v[48:49], v[82:83], v[6:7] op_sel_hi:[1,0,1]
	v_pk_fma_f32 v[2:3], v[94:95], v[82:83], v[2:3] op_sel_hi:[1,0,1]
	v_cvt_f32_f16_sdwa v98, v89 dst_sel:DWORD dst_unused:UNUSED_PAD src0_sel:WORD_1
	v_pk_fma_f32 v[6:7], v[22:23], v[86:87], v[6:7] op_sel_hi:[1,0,1]
	v_pk_fma_f32 v[2:3], v[10:11], v[86:87], v[2:3] op_sel_hi:[1,0,1]
	;; [unrolled: 1-line block ×10, first 2 shown]
	s_andn2_b64 exec, exec, s[10:11]
	s_cbranch_execnz .LBB103_23
; %bb.24:
	s_or_b64 exec, exec, s[10:11]
.LBB103_25:
	s_or_b64 exec, exec, s[2:3]
.LBB103_26:
	s_or_b64 exec, exec, s[8:9]
	s_cbranch_execz .LBB103_28
	s_branch .LBB103_39
.LBB103_27:
                                        ; implicit-def: $vgpr35
                                        ; implicit-def: $vgpr37
.LBB103_28:
	s_mov_b32 s8, 0
	v_mov_b32_e32 v35, 0
	v_mov_b32_e32 v34, 0
	;; [unrolled: 1-line block ×4, first 2 shown]
	s_and_saveexec_b64 s[2:3], s[0:1]
	s_cbranch_execz .LBB103_38
; %bb.29:
	v_or_b32_e32 v0, 32, v26
	v_mov_b32_e32 v1, s19
	v_subrev_co_u32_e32 v0, vcc, s22, v0
	v_subb_co_u32_e32 v1, vcc, 0, v1, vcc
	v_add_co_u32_e32 v0, vcc, v0, v38
	v_addc_co_u32_e32 v1, vcc, v1, v39, vcc
	v_cmp_gt_i64_e32 vcc, v[0:1], v[30:31]
	v_cndmask_b32_e32 v1, v31, v1, vcc
	v_cndmask_b32_e32 v0, v30, v0, vcc
	v_mov_b32_e32 v4, s19
	v_sub_co_u32_e32 v5, vcc, s22, v26
	v_not_b32_e32 v3, v38
	v_subbrev_co_u32_e32 v4, vcc, 0, v4, vcc
	v_not_b32_e32 v2, v39
	v_add_co_u32_e32 v3, vcc, v5, v3
	v_addc_co_u32_e32 v2, vcc, v4, v2, vcc
	v_add_co_u32_e32 v0, vcc, v3, v0
	v_addc_co_u32_e32 v1, vcc, v2, v1, vcc
	v_lshrrev_b32_e32 v2, 5, v0
	v_add_u32_e32 v2, 1, v2
	v_and_b32_e32 v2, 3, v2
	s_mov_b32 s9, s8
	v_cmp_ne_u32_e32 vcc, 0, v2
	v_pk_mov_b32 v[36:37], s[8:9], s[8:9] op_sel:[0,1]
	v_pk_mov_b32 v[34:35], s[8:9], s[8:9] op_sel:[0,1]
	s_and_saveexec_b64 s[8:9], vcc
	s_cbranch_execz .LBB103_33
; %bb.30:
	v_lshlrev_b64 v[4:5], 3, v[28:29]
	v_mov_b32_e32 v3, 0
	v_mov_b32_e32 v6, s13
	v_add_co_u32_e32 v4, vcc, s12, v4
	v_addc_co_u32_e32 v5, vcc, v6, v5, vcc
	v_lshlrev_b32_e32 v2, 2, v2
	s_mov_b64 s[10:11], 0
	v_mov_b32_e32 v6, s19
	v_mov_b32_e32 v7, s7
	s_movk_i32 s14, 0x400
	v_mov_b32_e32 v34, v3
	v_mov_b32_e32 v35, v3
	;; [unrolled: 1-line block ×4, first 2 shown]
.LBB103_31:                             ; =>This Inner Loop Header: Depth=1
	global_load_dwordx2 v[12:13], v[4:5], off
	global_load_dwordx4 v[8:11], v[32:33], off
	v_add_co_u32_e64 v28, s[0:1], 32, v28
	v_addc_co_u32_e64 v29, s[0:1], 0, v29, s[0:1]
	v_add_co_u32_e64 v2, s[0:1], -4, v2
	v_addc_co_u32_e64 v3, s[0:1], -1, v3, s[0:1]
	v_cmp_eq_u64_e64 s[0:1], 0, v[2:3]
	s_or_b64 s[10:11], s[0:1], s[10:11]
	s_waitcnt vmcnt(1)
	v_subrev_co_u32_e32 v12, vcc, s22, v12
	v_subb_co_u32_e32 v13, vcc, v13, v6, vcc
	v_lshlrev_b64 v[12:13], 3, v[12:13]
	v_add_co_u32_e32 v16, vcc, s6, v12
	v_addc_co_u32_e32 v17, vcc, v7, v13, vcc
	global_load_dwordx2 v[18:19], v[16:17], off
	global_load_dwordx4 v[12:15], v[32:33], off offset:16
	s_waitcnt vmcnt(2)
	v_cvt_f32_f16_sdwa v17, v8 dst_sel:DWORD dst_unused:UNUSED_PAD src0_sel:WORD_1
	v_cvt_f32_f16_e32 v16, v8
	v_cvt_f32_f16_sdwa v21, v10 dst_sel:DWORD dst_unused:UNUSED_PAD src0_sel:WORD_1
	v_cvt_f32_f16_e32 v20, v10
	;; [unrolled: 2-line block ×4, first 2 shown]
	v_add_co_u32_e32 v32, vcc, s14, v32
	v_addc_co_u32_e32 v33, vcc, 0, v33, vcc
	v_add_co_u32_e32 v4, vcc, 0x100, v4
	v_addc_co_u32_e32 v5, vcc, 0, v5, vcc
	s_waitcnt vmcnt(1)
	v_cvt_f32_f16_e32 v42, v19
	s_waitcnt vmcnt(0)
	v_cvt_f32_f16_sdwa v11, v12 dst_sel:DWORD dst_unused:UNUSED_PAD src0_sel:WORD_1
	v_cvt_f32_f16_e32 v10, v12
	v_cvt_f32_f16_sdwa v39, v13 dst_sel:DWORD dst_unused:UNUSED_PAD src0_sel:WORD_1
	v_cvt_f32_f16_e32 v38, v13
	;; [unrolled: 2-line block ×3, first 2 shown]
	v_cvt_f32_f16_e32 v14, v18
	v_cvt_f32_f16_sdwa v18, v18 dst_sel:DWORD dst_unused:UNUSED_PAD src0_sel:WORD_1
	v_cvt_f32_f16_sdwa v41, v15 dst_sel:DWORD dst_unused:UNUSED_PAD src0_sel:WORD_1
	v_cvt_f32_f16_e32 v40, v15
	v_cvt_f32_f16_sdwa v44, v19 dst_sel:DWORD dst_unused:UNUSED_PAD src0_sel:WORD_1
	v_pk_fma_f32 v[16:17], v[16:17], v[14:15], v[36:37] op_sel_hi:[1,0,1]
	v_pk_fma_f32 v[14:15], v[22:23], v[14:15], v[34:35] op_sel_hi:[1,0,1]
	v_pk_fma_f32 v[16:17], v[20:21], v[18:19], v[16:17] op_sel_hi:[1,0,1]
	v_pk_fma_f32 v[8:9], v[8:9], v[18:19], v[14:15] op_sel_hi:[1,0,1]
	v_pk_fma_f32 v[10:11], v[10:11], v[42:43], v[16:17] op_sel_hi:[1,0,1]
	v_pk_fma_f32 v[8:9], v[38:39], v[42:43], v[8:9] op_sel_hi:[1,0,1]
	v_pk_fma_f32 v[36:37], v[12:13], v[44:45], v[10:11] op_sel_hi:[1,0,1]
	v_pk_fma_f32 v[34:35], v[40:41], v[44:45], v[8:9] op_sel_hi:[1,0,1]
	s_andn2_b64 exec, exec, s[10:11]
	s_cbranch_execnz .LBB103_31
; %bb.32:
	s_or_b64 exec, exec, s[10:11]
.LBB103_33:
	s_or_b64 exec, exec, s[8:9]
	s_mov_b64 s[0:1], 0x5f
	v_cmp_lt_u64_e32 vcc, s[0:1], v[0:1]
	s_and_saveexec_b64 s[0:1], vcc
	s_cbranch_execz .LBB103_37
; %bb.34:
	v_lshlrev_b64 v[0:1], 3, v[28:29]
	v_mov_b32_e32 v2, s13
	v_add_co_u32_e32 v0, vcc, s12, v0
	v_addc_co_u32_e32 v1, vcc, v1, v2, vcc
	v_add_co_u32_e32 v20, vcc, 0x200, v0
	v_addc_co_u32_e32 v21, vcc, 0, v1, vcc
	s_mov_b64 s[8:9], 0
	v_mov_b32_e32 v22, s19
	v_mov_b32_e32 v23, s7
	s_movk_i32 s7, 0x1000
.LBB103_35:                             ; =>This Inner Loop Header: Depth=1
	global_load_dwordx4 v[4:7], v[32:33], off
	global_load_dwordx4 v[0:3], v[32:33], off offset:16
	global_load_dwordx4 v[8:11], v[32:33], off offset:1024
	global_load_dwordx4 v[12:15], v[32:33], off offset:1040
	global_load_dwordx4 v[16:19], v[32:33], off offset:2048
	global_load_dwordx2 v[50:51], v[20:21], off offset:-512
	global_load_dwordx2 v[52:53], v[20:21], off offset:-256
	global_load_dwordx2 v[54:55], v[20:21], off
	global_load_dwordx2 v[56:57], v[20:21], off offset:256
	global_load_dwordx4 v[38:41], v[32:33], off offset:2064
	global_load_dwordx4 v[42:45], v[32:33], off offset:3072
	;; [unrolled: 1-line block ×3, first 2 shown]
	v_add_co_u32_e32 v32, vcc, s7, v32
	v_addc_co_u32_e32 v33, vcc, 0, v33, vcc
	v_add_co_u32_e32 v28, vcc, 0x80, v28
	v_addc_co_u32_e32 v29, vcc, 0, v29, vcc
	;; [unrolled: 2-line block ×3, first 2 shown]
	v_cmp_ge_i64_e32 vcc, v[28:29], v[30:31]
	s_or_b64 s[8:9], vcc, s[8:9]
	s_waitcnt vmcnt(11)
	v_cvt_f32_f16_sdwa v59, v4 dst_sel:DWORD dst_unused:UNUSED_PAD src0_sel:WORD_1
	v_cvt_f32_f16_e32 v58, v4
	v_cvt_f32_f16_sdwa v63, v5 dst_sel:DWORD dst_unused:UNUSED_PAD src0_sel:WORD_1
	v_cvt_f32_f16_e32 v62, v5
	v_cvt_f32_f16_sdwa v61, v6 dst_sel:DWORD dst_unused:UNUSED_PAD src0_sel:WORD_1
	s_waitcnt vmcnt(6)
	v_subrev_co_u32_e32 v50, vcc, s22, v50
	v_subb_co_u32_e32 v51, vcc, v51, v22, vcc
	s_waitcnt vmcnt(5)
	v_subrev_co_u32_e32 v52, vcc, s22, v52
	v_subb_co_u32_e32 v53, vcc, v53, v22, vcc
	;; [unrolled: 3-line block ×4, first 2 shown]
	v_lshlrev_b64 v[50:51], 3, v[50:51]
	v_add_co_u32_e32 v50, vcc, s6, v50
	v_lshlrev_b64 v[52:53], 3, v[52:53]
	v_addc_co_u32_e32 v51, vcc, v23, v51, vcc
	v_add_co_u32_e32 v52, vcc, s6, v52
	v_lshlrev_b64 v[54:55], 3, v[54:55]
	v_addc_co_u32_e32 v53, vcc, v23, v53, vcc
	v_add_co_u32_e32 v54, vcc, s6, v54
	v_lshlrev_b64 v[56:57], 3, v[56:57]
	v_addc_co_u32_e32 v55, vcc, v23, v55, vcc
	v_add_co_u32_e32 v56, vcc, s6, v56
	v_addc_co_u32_e32 v57, vcc, v23, v57, vcc
	global_load_dwordx2 v[78:79], v[50:51], off
	global_load_dwordx2 v[80:81], v[52:53], off
	;; [unrolled: 1-line block ×4, first 2 shown]
	s_waitcnt vmcnt(4)
	v_cvt_f32_f16_sdwa v89, v48 dst_sel:DWORD dst_unused:UNUSED_PAD src0_sel:WORD_1
	v_cvt_f32_f16_e32 v88, v48
	v_cvt_f32_f16_e32 v60, v6
	v_cvt_f32_f16_sdwa v5, v7 dst_sel:DWORD dst_unused:UNUSED_PAD src0_sel:WORD_1
	v_cvt_f32_f16_e32 v4, v7
	v_cvt_f32_f16_sdwa v7, v0 dst_sel:DWORD dst_unused:UNUSED_PAD src0_sel:WORD_1
	;; [unrolled: 2-line block ×28, first 2 shown]
	v_cvt_f32_f16_e32 v46, v49
	s_waitcnt vmcnt(3)
	v_cvt_f32_f16_e32 v48, v78
	v_cvt_f32_f16_sdwa v78, v78 dst_sel:DWORD dst_unused:UNUSED_PAD src0_sel:WORD_1
	v_cvt_f32_f16_e32 v92, v79
	v_cvt_f32_f16_sdwa v94, v79 dst_sel:DWORD dst_unused:UNUSED_PAD src0_sel:WORD_1
	v_pk_fma_f32 v[36:37], v[58:59], v[48:49], v[36:37] op_sel_hi:[1,0,1]
	s_waitcnt vmcnt(2)
	v_cvt_f32_f16_e32 v58, v80
	v_pk_fma_f32 v[34:35], v[62:63], v[48:49], v[34:35] op_sel_hi:[1,0,1]
	v_cvt_f32_f16_sdwa v48, v80 dst_sel:DWORD dst_unused:UNUSED_PAD src0_sel:WORD_1
	v_pk_fma_f32 v[36:37], v[60:61], v[78:79], v[36:37] op_sel_hi:[1,0,1]
	v_pk_fma_f32 v[4:5], v[4:5], v[78:79], v[34:35] op_sel_hi:[1,0,1]
	v_cvt_f32_f16_e32 v62, v81
	v_pk_fma_f32 v[6:7], v[6:7], v[92:93], v[36:37] op_sel_hi:[1,0,1]
	v_pk_fma_f32 v[4:5], v[64:65], v[92:93], v[4:5] op_sel_hi:[1,0,1]
	v_cvt_f32_f16_sdwa v80, v81 dst_sel:DWORD dst_unused:UNUSED_PAD src0_sel:WORD_1
	v_pk_fma_f32 v[0:1], v[0:1], v[94:95], v[6:7] op_sel_hi:[1,0,1]
	v_pk_fma_f32 v[4:5], v[76:77], v[94:95], v[4:5] op_sel_hi:[1,0,1]
	s_waitcnt vmcnt(1)
	v_cvt_f32_f16_e32 v60, v82
	v_pk_fma_f32 v[0:1], v[66:67], v[58:59], v[0:1] op_sel_hi:[1,0,1]
	v_pk_fma_f32 v[2:3], v[2:3], v[58:59], v[4:5] op_sel_hi:[1,0,1]
	v_cvt_f32_f16_sdwa v34, v82 dst_sel:DWORD dst_unused:UNUSED_PAD src0_sel:WORD_1
	v_pk_fma_f32 v[0:1], v[68:69], v[48:49], v[0:1] op_sel_hi:[1,0,1]
	v_pk_fma_f32 v[2:3], v[8:9], v[48:49], v[2:3] op_sel_hi:[1,0,1]
	v_cvt_f32_f16_e32 v78, v83
	v_pk_fma_f32 v[0:1], v[70:71], v[62:63], v[0:1] op_sel_hi:[1,0,1]
	v_pk_fma_f32 v[2:3], v[10:11], v[62:63], v[2:3] op_sel_hi:[1,0,1]
	v_cvt_f32_f16_sdwa v82, v83 dst_sel:DWORD dst_unused:UNUSED_PAD src0_sel:WORD_1
	v_pk_fma_f32 v[0:1], v[72:73], v[80:81], v[0:1] op_sel_hi:[1,0,1]
	v_pk_fma_f32 v[2:3], v[12:13], v[80:81], v[2:3] op_sel_hi:[1,0,1]
	s_waitcnt vmcnt(0)
	v_cvt_f32_f16_e32 v36, v84
	v_pk_fma_f32 v[0:1], v[74:75], v[60:61], v[0:1] op_sel_hi:[1,0,1]
	v_pk_fma_f32 v[2:3], v[50:51], v[60:61], v[2:3] op_sel_hi:[1,0,1]
	v_cvt_f32_f16_sdwa v64, v84 dst_sel:DWORD dst_unused:UNUSED_PAD src0_sel:WORD_1
	v_pk_fma_f32 v[0:1], v[14:15], v[34:35], v[0:1] op_sel_hi:[1,0,1]
	v_pk_fma_f32 v[2:3], v[16:17], v[34:35], v[2:3] op_sel_hi:[1,0,1]
	v_cvt_f32_f16_e32 v84, v85
	v_pk_fma_f32 v[0:1], v[18:19], v[78:79], v[0:1] op_sel_hi:[1,0,1]
	v_pk_fma_f32 v[2:3], v[54:55], v[78:79], v[2:3] op_sel_hi:[1,0,1]
	v_cvt_f32_f16_sdwa v92, v85 dst_sel:DWORD dst_unused:UNUSED_PAD src0_sel:WORD_1
	v_pk_fma_f32 v[0:1], v[52:53], v[82:83], v[0:1] op_sel_hi:[1,0,1]
	v_pk_fma_f32 v[2:3], v[38:39], v[82:83], v[2:3] op_sel_hi:[1,0,1]
	;; [unrolled: 1-line block ×10, first 2 shown]
	s_andn2_b64 exec, exec, s[8:9]
	s_cbranch_execnz .LBB103_35
; %bb.36:
	s_or_b64 exec, exec, s[8:9]
.LBB103_37:
	s_or_b64 exec, exec, s[0:1]
.LBB103_38:
	s_or_b64 exec, exec, s[2:3]
.LBB103_39:
	v_mov_b32_dpp v0, v36 row_shr:1 row_mask:0xf bank_mask:0xf
	v_mov_b32_dpp v1, v37 row_shr:1 row_mask:0xf bank_mask:0xf
	;; [unrolled: 1-line block ×4, first 2 shown]
	v_pk_add_f32 v[0:1], v[36:37], v[0:1]
	v_pk_add_f32 v[4:5], v[34:35], v[4:5]
	v_cmp_eq_u32_e32 vcc, 31, v26
	v_mov_b32_dpp v2, v0 row_shr:2 row_mask:0xf bank_mask:0xf
	v_mov_b32_dpp v3, v1 row_shr:2 row_mask:0xf bank_mask:0xf
	v_mov_b32_dpp v6, v4 row_shr:2 row_mask:0xf bank_mask:0xf
	v_mov_b32_dpp v7, v5 row_shr:2 row_mask:0xf bank_mask:0xf
	v_pk_add_f32 v[0:1], v[0:1], v[2:3]
	v_pk_add_f32 v[4:5], v[4:5], v[6:7]
	s_nop 0
	v_mov_b32_dpp v2, v0 row_shr:4 row_mask:0xf bank_mask:0xe
	v_mov_b32_dpp v3, v1 row_shr:4 row_mask:0xf bank_mask:0xe
	v_mov_b32_dpp v6, v4 row_shr:4 row_mask:0xf bank_mask:0xe
	v_mov_b32_dpp v7, v5 row_shr:4 row_mask:0xf bank_mask:0xe
	v_pk_add_f32 v[0:1], v[0:1], v[2:3]
	v_pk_add_f32 v[4:5], v[4:5], v[6:7]
	s_nop 0
	;; [unrolled: 7-line block ×3, first 2 shown]
	v_mov_b32_dpp v2, v0 row_bcast:15 row_mask:0xa bank_mask:0xf
	v_mov_b32_dpp v3, v1 row_bcast:15 row_mask:0xa bank_mask:0xf
	;; [unrolled: 1-line block ×4, first 2 shown]
	s_and_b64 exec, exec, vcc
	s_cbranch_execz .LBB103_10
; %bb.40:
	s_load_dwordx2 s[0:1], s[4:5], 0x58
	v_cmp_eq_f32_e64 s[2:3], s20, 0
	v_pk_add_f32 v[2:3], v[0:1], v[2:3]
	v_pk_add_f32 v[0:1], v[4:5], v[6:7]
	s_and_b64 vcc, exec, s[2:3]
	v_lshlrev_b64 v[4:5], 4, v[24:25]
	s_cbranch_vccz .LBB103_42
; %bb.41:
	s_waitcnt lgkmcnt(0)
	v_mov_b32_e32 v6, s1
	v_add_co_u32_e32 v10, vcc, s0, v4
	v_addc_co_u32_e32 v11, vcc, v6, v5, vcc
	v_pk_mul_f32 v[6:7], s[16:17], v[2:3] op_sel_hi:[0,1]
	v_pk_mul_f32 v[8:9], s[16:17], v[0:1] op_sel_hi:[0,1]
	global_store_dwordx4 v[10:11], v[6:9], off
	s_cbranch_execnz .LBB103_10
	s_branch .LBB103_43
.LBB103_42:
.LBB103_43:
	s_waitcnt lgkmcnt(0)
	v_mov_b32_e32 v6, s1
	v_add_co_u32_e32 v8, vcc, s0, v4
	v_addc_co_u32_e32 v9, vcc, v6, v5, vcc
	global_load_dwordx4 v[4:7], v[8:9], off
	v_pk_mul_f32 v[2:3], s[16:17], v[2:3] op_sel_hi:[0,1]
	v_pk_mul_f32 v[10:11], s[16:17], v[0:1] op_sel_hi:[0,1]
	s_waitcnt vmcnt(0)
	v_pk_fma_f32 v[0:1], s[20:21], v[4:5], v[2:3] op_sel_hi:[0,1,1]
	v_pk_fma_f32 v[2:3], s[20:21], v[6:7], v[10:11] op_sel_hi:[0,1,1]
	global_store_dwordx4 v[8:9], v[0:3], off
	s_endpgm
	.section	.rodata,"a",@progbits
	.p2align	6, 0x0
	.amdhsa_kernel _ZN9rocsparseL18bsrxmvn_4x4_kernelILj128ELj32EfllDF16_DF16_fEEvT3_20rocsparse_direction_NS_24const_host_device_scalarIT1_EES1_PKS1_PKT2_SA_S7_PKT4_PKT5_S5_PT6_21rocsparse_index_base_b
		.amdhsa_group_segment_fixed_size 0
		.amdhsa_private_segment_fixed_size 0
		.amdhsa_kernarg_size 104
		.amdhsa_user_sgpr_count 6
		.amdhsa_user_sgpr_private_segment_buffer 1
		.amdhsa_user_sgpr_dispatch_ptr 0
		.amdhsa_user_sgpr_queue_ptr 0
		.amdhsa_user_sgpr_kernarg_segment_ptr 1
		.amdhsa_user_sgpr_dispatch_id 0
		.amdhsa_user_sgpr_flat_scratch_init 0
		.amdhsa_user_sgpr_kernarg_preload_length 0
		.amdhsa_user_sgpr_kernarg_preload_offset 0
		.amdhsa_user_sgpr_private_segment_size 0
		.amdhsa_uses_dynamic_stack 0
		.amdhsa_system_sgpr_private_segment_wavefront_offset 0
		.amdhsa_system_sgpr_workgroup_id_x 1
		.amdhsa_system_sgpr_workgroup_id_y 0
		.amdhsa_system_sgpr_workgroup_id_z 0
		.amdhsa_system_sgpr_workgroup_info 0
		.amdhsa_system_vgpr_workitem_id 0
		.amdhsa_next_free_vgpr 102
		.amdhsa_next_free_sgpr 24
		.amdhsa_accum_offset 104
		.amdhsa_reserve_vcc 1
		.amdhsa_reserve_flat_scratch 0
		.amdhsa_float_round_mode_32 0
		.amdhsa_float_round_mode_16_64 0
		.amdhsa_float_denorm_mode_32 3
		.amdhsa_float_denorm_mode_16_64 3
		.amdhsa_dx10_clamp 1
		.amdhsa_ieee_mode 1
		.amdhsa_fp16_overflow 0
		.amdhsa_tg_split 0
		.amdhsa_exception_fp_ieee_invalid_op 0
		.amdhsa_exception_fp_denorm_src 0
		.amdhsa_exception_fp_ieee_div_zero 0
		.amdhsa_exception_fp_ieee_overflow 0
		.amdhsa_exception_fp_ieee_underflow 0
		.amdhsa_exception_fp_ieee_inexact 0
		.amdhsa_exception_int_div_zero 0
	.end_amdhsa_kernel
	.section	.text._ZN9rocsparseL18bsrxmvn_4x4_kernelILj128ELj32EfllDF16_DF16_fEEvT3_20rocsparse_direction_NS_24const_host_device_scalarIT1_EES1_PKS1_PKT2_SA_S7_PKT4_PKT5_S5_PT6_21rocsparse_index_base_b,"axG",@progbits,_ZN9rocsparseL18bsrxmvn_4x4_kernelILj128ELj32EfllDF16_DF16_fEEvT3_20rocsparse_direction_NS_24const_host_device_scalarIT1_EES1_PKS1_PKT2_SA_S7_PKT4_PKT5_S5_PT6_21rocsparse_index_base_b,comdat
.Lfunc_end103:
	.size	_ZN9rocsparseL18bsrxmvn_4x4_kernelILj128ELj32EfllDF16_DF16_fEEvT3_20rocsparse_direction_NS_24const_host_device_scalarIT1_EES1_PKS1_PKT2_SA_S7_PKT4_PKT5_S5_PT6_21rocsparse_index_base_b, .Lfunc_end103-_ZN9rocsparseL18bsrxmvn_4x4_kernelILj128ELj32EfllDF16_DF16_fEEvT3_20rocsparse_direction_NS_24const_host_device_scalarIT1_EES1_PKS1_PKT2_SA_S7_PKT4_PKT5_S5_PT6_21rocsparse_index_base_b
                                        ; -- End function
	.section	.AMDGPU.csdata,"",@progbits
; Kernel info:
; codeLenInByte = 4256
; NumSgprs: 28
; NumVgprs: 102
; NumAgprs: 0
; TotalNumVgprs: 102
; ScratchSize: 0
; MemoryBound: 0
; FloatMode: 240
; IeeeMode: 1
; LDSByteSize: 0 bytes/workgroup (compile time only)
; SGPRBlocks: 3
; VGPRBlocks: 12
; NumSGPRsForWavesPerEU: 28
; NumVGPRsForWavesPerEU: 102
; AccumOffset: 104
; Occupancy: 4
; WaveLimiterHint : 1
; COMPUTE_PGM_RSRC2:SCRATCH_EN: 0
; COMPUTE_PGM_RSRC2:USER_SGPR: 6
; COMPUTE_PGM_RSRC2:TRAP_HANDLER: 0
; COMPUTE_PGM_RSRC2:TGID_X_EN: 1
; COMPUTE_PGM_RSRC2:TGID_Y_EN: 0
; COMPUTE_PGM_RSRC2:TGID_Z_EN: 0
; COMPUTE_PGM_RSRC2:TIDIG_COMP_CNT: 0
; COMPUTE_PGM_RSRC3_GFX90A:ACCUM_OFFSET: 25
; COMPUTE_PGM_RSRC3_GFX90A:TG_SPLIT: 0
	.section	.text._ZN9rocsparseL18bsrxmvn_4x4_kernelILj128ELj64EfllDF16_DF16_fEEvT3_20rocsparse_direction_NS_24const_host_device_scalarIT1_EES1_PKS1_PKT2_SA_S7_PKT4_PKT5_S5_PT6_21rocsparse_index_base_b,"axG",@progbits,_ZN9rocsparseL18bsrxmvn_4x4_kernelILj128ELj64EfllDF16_DF16_fEEvT3_20rocsparse_direction_NS_24const_host_device_scalarIT1_EES1_PKS1_PKT2_SA_S7_PKT4_PKT5_S5_PT6_21rocsparse_index_base_b,comdat
	.globl	_ZN9rocsparseL18bsrxmvn_4x4_kernelILj128ELj64EfllDF16_DF16_fEEvT3_20rocsparse_direction_NS_24const_host_device_scalarIT1_EES1_PKS1_PKT2_SA_S7_PKT4_PKT5_S5_PT6_21rocsparse_index_base_b ; -- Begin function _ZN9rocsparseL18bsrxmvn_4x4_kernelILj128ELj64EfllDF16_DF16_fEEvT3_20rocsparse_direction_NS_24const_host_device_scalarIT1_EES1_PKS1_PKT2_SA_S7_PKT4_PKT5_S5_PT6_21rocsparse_index_base_b
	.p2align	8
	.type	_ZN9rocsparseL18bsrxmvn_4x4_kernelILj128ELj64EfllDF16_DF16_fEEvT3_20rocsparse_direction_NS_24const_host_device_scalarIT1_EES1_PKS1_PKT2_SA_S7_PKT4_PKT5_S5_PT6_21rocsparse_index_base_b,@function
_ZN9rocsparseL18bsrxmvn_4x4_kernelILj128ELj64EfllDF16_DF16_fEEvT3_20rocsparse_direction_NS_24const_host_device_scalarIT1_EES1_PKS1_PKT2_SA_S7_PKT4_PKT5_S5_PT6_21rocsparse_index_base_b: ; @_ZN9rocsparseL18bsrxmvn_4x4_kernelILj128ELj64EfllDF16_DF16_fEEvT3_20rocsparse_direction_NS_24const_host_device_scalarIT1_EES1_PKS1_PKT2_SA_S7_PKT4_PKT5_S5_PT6_21rocsparse_index_base_b
; %bb.0:
	s_load_dwordx2 s[22:23], s[4:5], 0x60
	s_load_dwordx4 s[16:19], s[4:5], 0x10
	s_load_dwordx2 s[20:21], s[4:5], 0x50
	s_waitcnt lgkmcnt(0)
	s_bitcmp1_b32 s23, 0
	s_cselect_b64 s[2:3], -1, 0
	s_xor_b64 s[0:1], s[2:3], -1
	s_and_b64 vcc, exec, s[2:3]
	s_cbranch_vccnz .LBB104_2
; %bb.1:
	s_load_dword s16, s[16:17], 0x0
.LBB104_2:
	s_andn2_b64 vcc, exec, s[0:1]
	s_cbranch_vccnz .LBB104_4
; %bb.3:
	s_load_dword s20, s[20:21], 0x0
.LBB104_4:
	s_waitcnt lgkmcnt(0)
	v_cmp_neq_f32_e64 s[0:1], s16, 0
	v_cmp_neq_f32_e64 s[2:3], s20, 1.0
	s_or_b64 s[0:1], s[0:1], s[2:3]
	s_andn2_b64 vcc, exec, s[0:1]
	s_cbranch_vccnz .LBB104_10
; %bb.5:
	s_load_dwordx2 s[2:3], s[4:5], 0x20
	v_lshrrev_b32_e32 v1, 6, v0
	v_lshl_or_b32 v2, s6, 1, v1
	v_mov_b32_e32 v3, 0
	s_mov_b64 s[0:1], 0
	s_waitcnt lgkmcnt(0)
	s_cmp_lg_u64 s[2:3], 0
	s_cbranch_scc0 .LBB104_11
; %bb.6:
	v_cmp_gt_i64_e32 vcc, s[18:19], v[2:3]
                                        ; implicit-def: $vgpr20_vgpr21
	s_and_saveexec_b64 s[6:7], vcc
	s_xor_b64 s[6:7], exec, s[6:7]
                                        ; implicit-def: $sgpr18_sgpr19
	s_cbranch_execz .LBB104_8
; %bb.7:
	v_lshlrev_b64 v[4:5], 3, v[2:3]
	v_mov_b32_e32 v1, s3
	v_add_co_u32_e32 v4, vcc, s2, v4
	v_addc_co_u32_e32 v5, vcc, v1, v5, vcc
	global_load_dwordx2 v[4:5], v[4:5], off
	s_mov_b64 s[0:1], exec
	s_mov_b32 s19, 0
	s_waitcnt vmcnt(0)
	v_subrev_co_u32_e32 v20, vcc, s22, v4
	v_subbrev_co_u32_e32 v21, vcc, 0, v5, vcc
.LBB104_8:
	s_or_b64 exec, exec, s[6:7]
.LBB104_9:
	s_and_saveexec_b64 s[2:3], s[0:1]
	s_cbranch_execnz .LBB104_15
.LBB104_10:
	s_endpgm
.LBB104_11:
                                        ; implicit-def: $vgpr20_vgpr21
                                        ; implicit-def: $sgpr18_sgpr19
	s_cbranch_execz .LBB104_9
; %bb.12:
	s_load_dwordx2 s[2:3], s[4:5], 0x0
                                        ; implicit-def: $vgpr20_vgpr21
	s_waitcnt lgkmcnt(0)
	v_cmp_gt_i64_e32 vcc, s[2:3], v[2:3]
	s_and_saveexec_b64 s[2:3], vcc
                                        ; implicit-def: $sgpr18_sgpr19
; %bb.13:
	s_mov_b32 s19, 0
	s_or_b64 s[0:1], s[0:1], exec
	v_pk_mov_b32 v[20:21], v[2:3], v[2:3] op_sel:[0,1]
; %bb.14:
	s_or_b64 exec, exec, s[2:3]
	s_and_saveexec_b64 s[2:3], s[0:1]
	s_cbranch_execz .LBB104_10
.LBB104_15:
	s_load_dwordx8 s[8:15], s[4:5], 0x28
	v_lshlrev_b64 v[2:3], 3, v[20:21]
	v_and_b32_e32 v22, 63, v0
	v_mov_b32_e32 v0, s19
	v_mov_b32_e32 v31, 0
	s_waitcnt lgkmcnt(0)
	v_mov_b32_e32 v1, s9
	v_add_co_u32_e32 v4, vcc, s8, v2
	v_addc_co_u32_e32 v5, vcc, v1, v3, vcc
	v_add_co_u32_e32 v1, vcc, 8, v4
	global_load_dwordx2 v[34:35], v[4:5], off
	v_addc_co_u32_e32 v4, vcc, 0, v5, vcc
	v_mov_b32_e32 v5, s11
	v_add_co_u32_e32 v2, vcc, s10, v2
	s_cmp_eq_u64 s[10:11], 0
	v_addc_co_u32_e32 v3, vcc, v5, v3, vcc
	s_cselect_b64 vcc, -1, 0
	v_cndmask_b32_e32 v3, v3, v4, vcc
	v_cndmask_b32_e32 v2, v2, v1, vcc
	global_load_dwordx2 v[2:3], v[2:3], off
	s_load_dwordx2 s[6:7], s[4:5], 0x48
	s_load_dword s0, s[4:5], 0x8
	v_mov_b32_e32 v4, s15
	s_waitcnt lgkmcnt(0)
	s_cmp_eq_u32 s0, 1
	s_waitcnt vmcnt(1)
	v_subrev_co_u32_e32 v1, vcc, s22, v34
	v_subb_co_u32_e32 v5, vcc, v35, v0, vcc
	v_add_co_u32_e32 v24, vcc, v1, v22
	v_addc_co_u32_e32 v25, vcc, 0, v5, vcc
	s_waitcnt vmcnt(0)
	v_subrev_co_u32_e32 v26, vcc, s22, v2
	v_subb_co_u32_e32 v27, vcc, v3, v0, vcc
	v_lshlrev_b64 v[0:1], 5, v[24:25]
	v_add_co_u32_e32 v28, vcc, s14, v0
	v_addc_co_u32_e32 v29, vcc, v4, v1, vcc
	v_cmp_lt_i64_e64 s[0:1], v[24:25], v[26:27]
	s_cbranch_scc1 .LBB104_27
; %bb.16:
	s_mov_b32 s2, 0
	v_mov_b32_e32 v30, 0
	v_mov_b32_e32 v33, 0
	;; [unrolled: 1-line block ×3, first 2 shown]
	s_and_saveexec_b64 s[8:9], s[0:1]
	s_cbranch_execz .LBB104_26
; %bb.17:
	v_or_b32_e32 v0, 64, v22
	v_mov_b32_e32 v1, s19
	v_subrev_co_u32_e32 v0, vcc, s22, v0
	v_subb_co_u32_e32 v1, vcc, 0, v1, vcc
	v_add_co_u32_e32 v0, vcc, v0, v34
	v_addc_co_u32_e32 v1, vcc, v1, v35, vcc
	v_cmp_gt_i64_e32 vcc, v[0:1], v[26:27]
	v_cndmask_b32_e32 v1, v27, v1, vcc
	v_cndmask_b32_e32 v0, v26, v0, vcc
	v_mov_b32_e32 v4, s19
	v_sub_co_u32_e32 v5, vcc, s22, v22
	v_not_b32_e32 v3, v34
	v_subbrev_co_u32_e32 v4, vcc, 0, v4, vcc
	v_not_b32_e32 v2, v35
	v_add_co_u32_e32 v3, vcc, v5, v3
	v_addc_co_u32_e32 v2, vcc, v4, v2, vcc
	v_add_co_u32_e32 v0, vcc, v3, v0
	v_addc_co_u32_e32 v1, vcc, v2, v1, vcc
	v_lshrrev_b32_e32 v2, 6, v0
	v_add_u32_e32 v2, 1, v2
	v_and_b32_e32 v2, 3, v2
	s_mov_b32 s3, s2
	v_cmp_ne_u32_e32 vcc, 0, v2
	v_pk_mov_b32 v[32:33], s[2:3], s[2:3] op_sel:[0,1]
	v_pk_mov_b32 v[30:31], s[2:3], s[2:3] op_sel:[0,1]
	;; [unrolled: 1-line block ×4, first 2 shown]
	s_and_saveexec_b64 s[10:11], vcc
	s_cbranch_execz .LBB104_21
; %bb.18:
	v_lshlrev_b64 v[4:5], 3, v[24:25]
	v_mov_b32_e32 v3, 0
	v_mov_b32_e32 v6, s13
	v_add_co_u32_e32 v4, vcc, s12, v4
	v_addc_co_u32_e32 v5, vcc, v6, v5, vcc
	v_lshlrev_b32_e32 v2, 2, v2
	s_mov_b64 s[14:15], 0
	v_mov_b32_e32 v6, s19
	v_mov_b32_e32 v7, s7
	s_movk_i32 s17, 0x800
	v_pk_mov_b32 v[38:39], v[28:29], v[28:29] op_sel:[0,1]
	v_pk_mov_b32 v[36:37], v[24:25], v[24:25] op_sel:[0,1]
	v_mov_b32_e32 v30, v3
	v_mov_b32_e32 v31, v3
	v_mov_b32_e32 v32, v3
	v_mov_b32_e32 v33, v3
.LBB104_19:                             ; =>This Inner Loop Header: Depth=1
	global_load_dwordx2 v[16:17], v[4:5], off
	global_load_dwordx4 v[8:11], v[38:39], off
	global_load_dwordx4 v[12:15], v[38:39], off offset:16
	v_add_co_u32_e64 v36, s[2:3], 64, v36
	v_addc_co_u32_e64 v37, s[2:3], 0, v37, s[2:3]
	v_add_co_u32_e64 v2, s[2:3], -4, v2
	v_addc_co_u32_e64 v3, s[2:3], -1, v3, s[2:3]
	v_cmp_eq_u64_e64 s[2:3], 0, v[2:3]
	s_or_b64 s[14:15], s[2:3], s[14:15]
	s_waitcnt vmcnt(2)
	v_subrev_co_u32_e32 v16, vcc, s22, v16
	v_subb_co_u32_e32 v17, vcc, v17, v6, vcc
	v_lshlrev_b64 v[16:17], 3, v[16:17]
	v_add_co_u32_e32 v16, vcc, s6, v16
	v_addc_co_u32_e32 v17, vcc, v7, v17, vcc
	global_load_dwordx2 v[16:17], v[16:17], off
	s_waitcnt vmcnt(2)
	v_cvt_f32_f16_e32 v41, v10
	v_cvt_f32_f16_e32 v40, v8
	v_cvt_f32_f16_sdwa v43, v10 dst_sel:DWORD dst_unused:UNUSED_PAD src0_sel:WORD_1
	v_cvt_f32_f16_e32 v45, v11
	v_cvt_f32_f16_sdwa v19, v11 dst_sel:DWORD dst_unused:UNUSED_PAD src0_sel:WORD_1
	s_waitcnt vmcnt(1)
	v_cvt_f32_f16_e32 v11, v14
	v_cvt_f32_f16_e32 v10, v12
	v_cvt_f32_f16_sdwa v46, v12 dst_sel:DWORD dst_unused:UNUSED_PAD src0_sel:WORD_1
	v_cvt_f32_f16_sdwa v42, v8 dst_sel:DWORD dst_unused:UNUSED_PAD src0_sel:WORD_1
	;; [unrolled: 1-line block ×3, first 2 shown]
	v_cvt_f32_f16_e32 v44, v9
	v_cvt_f32_f16_e32 v49, v15
	;; [unrolled: 1-line block ×3, first 2 shown]
	v_cvt_f32_f16_sdwa v18, v9 dst_sel:DWORD dst_unused:UNUSED_PAD src0_sel:WORD_1
	v_cvt_f32_f16_sdwa v8, v13 dst_sel:DWORD dst_unused:UNUSED_PAD src0_sel:WORD_1
	v_cvt_f32_f16_sdwa v9, v15 dst_sel:DWORD dst_unused:UNUSED_PAD src0_sel:WORD_1
	v_add_co_u32_e32 v38, vcc, s17, v38
	v_addc_co_u32_e32 v39, vcc, 0, v39, vcc
	v_add_co_u32_e32 v4, vcc, 0x200, v4
	v_addc_co_u32_e32 v5, vcc, 0, v5, vcc
	s_waitcnt vmcnt(0)
	v_cvt_f32_f16_e32 v12, v16
	v_cvt_f32_f16_sdwa v14, v16 dst_sel:DWORD dst_unused:UNUSED_PAD src0_sel:WORD_1
	v_cvt_f32_f16_e32 v16, v17
	v_cvt_f32_f16_sdwa v50, v17 dst_sel:DWORD dst_unused:UNUSED_PAD src0_sel:WORD_1
	v_pk_fma_f32 v[32:33], v[40:41], v[12:13], v[32:33] op_sel_hi:[1,0,1]
	v_pk_fma_f32 v[10:11], v[10:11], v[12:13], v[30:31] op_sel_hi:[1,0,1]
	;; [unrolled: 1-line block ×8, first 2 shown]
	s_andn2_b64 exec, exec, s[14:15]
	s_cbranch_execnz .LBB104_19
; %bb.20:
	s_or_b64 exec, exec, s[14:15]
.LBB104_21:
	s_or_b64 exec, exec, s[10:11]
	s_mov_b64 s[2:3], 0xbf
	v_cmp_lt_u64_e32 vcc, s[2:3], v[0:1]
	s_and_saveexec_b64 s[10:11], vcc
	s_cbranch_execz .LBB104_25
; %bb.22:
	v_lshlrev_b64 v[0:1], 3, v[36:37]
	v_mov_b32_e32 v2, s13
	v_add_co_u32_e32 v0, vcc, s12, v0
	v_addc_co_u32_e32 v1, vcc, v1, v2, vcc
	v_add_co_u32_e32 v40, vcc, 0x400, v0
	v_addc_co_u32_e32 v41, vcc, 0, v1, vcc
	s_mov_b64 s[14:15], 0
	v_mov_b32_e32 v23, s19
	v_mov_b32_e32 v50, s7
	s_movk_i32 s17, 0x1000
.LBB104_23:                             ; =>This Inner Loop Header: Depth=1
	global_load_dwordx2 v[42:43], v[40:41], off offset:-1024
	global_load_dwordx4 v[0:3], v[38:39], off
	global_load_dwordx4 v[16:19], v[38:39], off offset:16
	global_load_dwordx2 v[48:49], v[40:41], off offset:-512
	global_load_dwordx2 v[46:47], v[40:41], off
	global_load_dwordx2 v[44:45], v[40:41], off offset:512
	global_load_dwordx4 v[52:55], v[38:39], off offset:2048
	global_load_dwordx4 v[12:15], v[38:39], off offset:2064
	v_add_co_u32_e32 v64, vcc, s17, v38
	v_addc_co_u32_e32 v65, vcc, 0, v39, vcc
	v_add_co_u32_e32 v36, vcc, 0x100, v36
	v_addc_co_u32_e32 v37, vcc, 0, v37, vcc
	;; [unrolled: 2-line block ×4, first 2 shown]
	global_load_dwordx4 v[8:11], v[64:65], off
	global_load_dwordx4 v[4:7], v[64:65], off offset:16
	global_load_dwordx4 v[56:59], v[64:65], off offset:2048
	;; [unrolled: 1-line block ×3, first 2 shown]
	v_cmp_ge_i64_e64 s[2:3], v[36:37], v[26:27]
	s_or_b64 s[14:15], s[2:3], s[14:15]
	s_waitcnt vmcnt(11)
	v_subrev_co_u32_e32 v42, vcc, s22, v42
	v_subb_co_u32_e32 v43, vcc, v43, v23, vcc
	s_waitcnt vmcnt(10)
	v_cvt_f32_f16_e32 v67, v2
	v_cvt_f32_f16_sdwa v69, v2 dst_sel:DWORD dst_unused:UNUSED_PAD src0_sel:WORD_1
	s_waitcnt vmcnt(9)
	v_cvt_f32_f16_e32 v2, v16
	v_cvt_f32_f16_sdwa v72, v16 dst_sel:DWORD dst_unused:UNUSED_PAD src0_sel:WORD_1
	s_waitcnt vmcnt(8)
	v_subrev_co_u32_e32 v16, vcc, s22, v48
	v_cvt_f32_f16_e32 v66, v0
	v_cvt_f32_f16_sdwa v68, v0 dst_sel:DWORD dst_unused:UNUSED_PAD src0_sel:WORD_1
	v_cvt_f32_f16_sdwa v0, v17 dst_sel:DWORD dst_unused:UNUSED_PAD src0_sel:WORD_1
	v_cvt_f32_f16_e32 v74, v17
	v_subb_co_u32_e32 v17, vcc, v49, v23, vcc
	v_cvt_f32_f16_e32 v71, v3
	v_cvt_f32_f16_sdwa v65, v3 dst_sel:DWORD dst_unused:UNUSED_PAD src0_sel:WORD_1
	v_cvt_f32_f16_e32 v3, v18
	v_cvt_f32_f16_sdwa v73, v18 dst_sel:DWORD dst_unused:UNUSED_PAD src0_sel:WORD_1
	s_waitcnt vmcnt(7)
	v_subrev_co_u32_e32 v18, vcc, s22, v46
	v_cvt_f32_f16_sdwa v64, v1 dst_sel:DWORD dst_unused:UNUSED_PAD src0_sel:WORD_1
	v_cvt_f32_f16_e32 v70, v1
	v_cvt_f32_f16_e32 v75, v19
	v_cvt_f32_f16_sdwa v1, v19 dst_sel:DWORD dst_unused:UNUSED_PAD src0_sel:WORD_1
	v_subb_co_u32_e32 v19, vcc, v47, v23, vcc
	s_waitcnt vmcnt(6)
	v_subrev_co_u32_e32 v44, vcc, s22, v44
	v_subb_co_u32_e32 v45, vcc, v45, v23, vcc
	v_lshlrev_b64 v[42:43], 3, v[42:43]
	v_add_co_u32_e32 v42, vcc, s6, v42
	v_lshlrev_b64 v[16:17], 3, v[16:17]
	v_addc_co_u32_e32 v43, vcc, v50, v43, vcc
	v_add_co_u32_e32 v16, vcc, s6, v16
	v_lshlrev_b64 v[18:19], 3, v[18:19]
	v_addc_co_u32_e32 v17, vcc, v50, v17, vcc
	;; [unrolled: 3-line block ×3, first 2 shown]
	v_add_co_u32_e32 v44, vcc, s6, v44
	v_addc_co_u32_e32 v45, vcc, v50, v45, vcc
	global_load_dwordx2 v[78:79], v[42:43], off
	global_load_dwordx2 v[80:81], v[16:17], off
	;; [unrolled: 1-line block ×4, first 2 shown]
	s_waitcnt vmcnt(6)
	v_cvt_f32_f16_e32 v90, v4
	v_cvt_f32_f16_sdwa v92, v4 dst_sel:DWORD dst_unused:UNUSED_PAD src0_sel:WORD_1
	s_waitcnt vmcnt(4)
	v_cvt_f32_f16_e32 v4, v60
	v_cvt_f32_f16_sdwa v96, v60 dst_sel:DWORD dst_unused:UNUSED_PAD src0_sel:WORD_1
	v_cvt_f32_f16_e32 v47, v54
	v_cvt_f32_f16_e32 v46, v52
	v_cvt_f32_f16_sdwa v49, v54 dst_sel:DWORD dst_unused:UNUSED_PAD src0_sel:WORD_1
	v_cvt_f32_f16_sdwa v48, v52 dst_sel:DWORD dst_unused:UNUSED_PAD src0_sel:WORD_1
	v_cvt_f32_f16_e32 v76, v53
	v_cvt_f32_f16_sdwa v54, v53 dst_sel:DWORD dst_unused:UNUSED_PAD src0_sel:WORD_1
	v_cvt_f32_f16_e32 v53, v14
	v_cvt_f32_f16_e32 v52, v12
	v_cvt_f32_f16_sdwa v17, v14 dst_sel:DWORD dst_unused:UNUSED_PAD src0_sel:WORD_1
	v_cvt_f32_f16_sdwa v16, v12 dst_sel:DWORD dst_unused:UNUSED_PAD src0_sel:WORD_1
	v_cvt_f32_f16_e32 v77, v55
	v_cvt_f32_f16_e32 v19, v15
	;; [unrolled: 1-line block ×3, first 2 shown]
	v_cvt_f32_f16_sdwa v55, v55 dst_sel:DWORD dst_unused:UNUSED_PAD src0_sel:WORD_1
	v_cvt_f32_f16_sdwa v15, v15 dst_sel:DWORD dst_unused:UNUSED_PAD src0_sel:WORD_1
	;; [unrolled: 1-line block ×3, first 2 shown]
	v_cvt_f32_f16_e32 v43, v10
	v_cvt_f32_f16_e32 v42, v8
	;; [unrolled: 1-line block ×3, first 2 shown]
	v_cvt_f32_f16_sdwa v45, v10 dst_sel:DWORD dst_unused:UNUSED_PAD src0_sel:WORD_1
	v_cvt_f32_f16_sdwa v44, v8 dst_sel:DWORD dst_unused:UNUSED_PAD src0_sel:WORD_1
	;; [unrolled: 1-line block ×3, first 2 shown]
	v_cvt_f32_f16_e32 v87, v11
	v_cvt_f32_f16_e32 v86, v9
	;; [unrolled: 1-line block ×4, first 2 shown]
	v_cvt_f32_f16_sdwa v11, v11 dst_sel:DWORD dst_unused:UNUSED_PAD src0_sel:WORD_1
	v_cvt_f32_f16_sdwa v10, v9 dst_sel:DWORD dst_unused:UNUSED_PAD src0_sel:WORD_1
	;; [unrolled: 1-line block ×4, first 2 shown]
	v_cvt_f32_f16_e32 v9, v58
	v_cvt_f32_f16_e32 v8, v56
	v_cvt_f32_f16_e32 v5, v62
	v_cvt_f32_f16_sdwa v89, v58 dst_sel:DWORD dst_unused:UNUSED_PAD src0_sel:WORD_1
	v_cvt_f32_f16_sdwa v88, v56 dst_sel:DWORD dst_unused:UNUSED_PAD src0_sel:WORD_1
	;; [unrolled: 1-line block ×3, first 2 shown]
	v_cvt_f32_f16_e32 v12, v57
	v_cvt_f32_f16_e32 v13, v59
	v_cvt_f32_f16_sdwa v58, v57 dst_sel:DWORD dst_unused:UNUSED_PAD src0_sel:WORD_1
	v_cvt_f32_f16_e32 v56, v61
	v_cvt_f32_f16_e32 v57, v63
	v_cvt_f32_f16_sdwa v59, v59 dst_sel:DWORD dst_unused:UNUSED_PAD src0_sel:WORD_1
	v_cvt_f32_f16_sdwa v63, v63 dst_sel:DWORD dst_unused:UNUSED_PAD src0_sel:WORD_1
	;; [unrolled: 1-line block ×3, first 2 shown]
	s_waitcnt vmcnt(3)
	v_cvt_f32_f16_e32 v60, v78
	v_cvt_f32_f16_sdwa v78, v78 dst_sel:DWORD dst_unused:UNUSED_PAD src0_sel:WORD_1
	v_cvt_f32_f16_e32 v98, v79
	v_cvt_f32_f16_sdwa v100, v79 dst_sel:DWORD dst_unused:UNUSED_PAD src0_sel:WORD_1
	v_pk_fma_f32 v[32:33], v[66:67], v[60:61], v[32:33] op_sel_hi:[1,0,1]
	s_waitcnt vmcnt(2)
	v_cvt_f32_f16_e32 v66, v80
	v_pk_fma_f32 v[2:3], v[2:3], v[60:61], v[30:31] op_sel_hi:[1,0,1]
	v_cvt_f32_f16_sdwa v30, v80 dst_sel:DWORD dst_unused:UNUSED_PAD src0_sel:WORD_1
	v_pk_fma_f32 v[32:33], v[68:69], v[78:79], v[32:33] op_sel_hi:[1,0,1]
	v_pk_fma_f32 v[2:3], v[72:73], v[78:79], v[2:3] op_sel_hi:[1,0,1]
	v_cvt_f32_f16_e32 v60, v81
	v_pk_fma_f32 v[32:33], v[70:71], v[98:99], v[32:33] op_sel_hi:[1,0,1]
	v_pk_fma_f32 v[2:3], v[74:75], v[98:99], v[2:3] op_sel_hi:[1,0,1]
	v_cvt_f32_f16_sdwa v80, v81 dst_sel:DWORD dst_unused:UNUSED_PAD src0_sel:WORD_1
	v_pk_fma_f32 v[32:33], v[64:65], v[100:101], v[32:33] op_sel_hi:[1,0,1]
	v_pk_fma_f32 v[0:1], v[0:1], v[100:101], v[2:3] op_sel_hi:[1,0,1]
	s_waitcnt vmcnt(1)
	v_cvt_f32_f16_e32 v68, v82
	v_pk_fma_f32 v[2:3], v[46:47], v[66:67], v[32:33] op_sel_hi:[1,0,1]
	v_pk_fma_f32 v[0:1], v[52:53], v[66:67], v[0:1] op_sel_hi:[1,0,1]
	v_cvt_f32_f16_sdwa v72, v82 dst_sel:DWORD dst_unused:UNUSED_PAD src0_sel:WORD_1
	v_pk_fma_f32 v[2:3], v[48:49], v[30:31], v[2:3] op_sel_hi:[1,0,1]
	v_pk_fma_f32 v[0:1], v[16:17], v[30:31], v[0:1] op_sel_hi:[1,0,1]
	v_cvt_f32_f16_e32 v78, v83
	v_pk_fma_f32 v[2:3], v[76:77], v[60:61], v[2:3] op_sel_hi:[1,0,1]
	v_pk_fma_f32 v[0:1], v[18:19], v[60:61], v[0:1] op_sel_hi:[1,0,1]
	v_cvt_f32_f16_sdwa v82, v83 dst_sel:DWORD dst_unused:UNUSED_PAD src0_sel:WORD_1
	v_pk_fma_f32 v[2:3], v[54:55], v[80:81], v[2:3] op_sel_hi:[1,0,1]
	v_pk_fma_f32 v[0:1], v[14:15], v[80:81], v[0:1] op_sel_hi:[1,0,1]
	s_waitcnt vmcnt(0)
	v_cvt_f32_f16_e32 v70, v84
	v_pk_fma_f32 v[2:3], v[42:43], v[68:69], v[2:3] op_sel_hi:[1,0,1]
	v_pk_fma_f32 v[0:1], v[90:91], v[68:69], v[0:1] op_sel_hi:[1,0,1]
	v_cvt_f32_f16_sdwa v74, v84 dst_sel:DWORD dst_unused:UNUSED_PAD src0_sel:WORD_1
	v_pk_fma_f32 v[2:3], v[44:45], v[72:73], v[2:3] op_sel_hi:[1,0,1]
	v_pk_fma_f32 v[0:1], v[92:93], v[72:73], v[0:1] op_sel_hi:[1,0,1]
	v_cvt_f32_f16_e32 v84, v85
	v_pk_fma_f32 v[2:3], v[86:87], v[78:79], v[2:3] op_sel_hi:[1,0,1]
	v_pk_fma_f32 v[0:1], v[94:95], v[78:79], v[0:1] op_sel_hi:[1,0,1]
	v_cvt_f32_f16_sdwa v98, v85 dst_sel:DWORD dst_unused:UNUSED_PAD src0_sel:WORD_1
	v_pk_fma_f32 v[2:3], v[10:11], v[82:83], v[2:3] op_sel_hi:[1,0,1]
	v_pk_fma_f32 v[0:1], v[6:7], v[82:83], v[0:1] op_sel_hi:[1,0,1]
	;; [unrolled: 1-line block ×10, first 2 shown]
	s_andn2_b64 exec, exec, s[14:15]
	s_cbranch_execnz .LBB104_23
; %bb.24:
	s_or_b64 exec, exec, s[14:15]
.LBB104_25:
	s_or_b64 exec, exec, s[10:11]
.LBB104_26:
	s_or_b64 exec, exec, s[8:9]
	s_cbranch_execz .LBB104_28
	s_branch .LBB104_39
.LBB104_27:
                                        ; implicit-def: $vgpr31
                                        ; implicit-def: $vgpr33
.LBB104_28:
	s_mov_b32 s8, 0
	v_mov_b32_e32 v31, 0
	v_mov_b32_e32 v30, 0
	;; [unrolled: 1-line block ×4, first 2 shown]
	s_and_saveexec_b64 s[2:3], s[0:1]
	s_cbranch_execz .LBB104_38
; %bb.29:
	v_or_b32_e32 v0, 64, v22
	v_mov_b32_e32 v1, s19
	v_subrev_co_u32_e32 v0, vcc, s22, v0
	v_subb_co_u32_e32 v1, vcc, 0, v1, vcc
	v_add_co_u32_e32 v0, vcc, v0, v34
	v_addc_co_u32_e32 v1, vcc, v1, v35, vcc
	v_cmp_gt_i64_e32 vcc, v[0:1], v[26:27]
	v_cndmask_b32_e32 v1, v27, v1, vcc
	v_cndmask_b32_e32 v0, v26, v0, vcc
	v_mov_b32_e32 v4, s19
	v_sub_co_u32_e32 v5, vcc, s22, v22
	v_not_b32_e32 v3, v34
	v_subbrev_co_u32_e32 v4, vcc, 0, v4, vcc
	v_not_b32_e32 v2, v35
	v_add_co_u32_e32 v3, vcc, v5, v3
	v_addc_co_u32_e32 v2, vcc, v4, v2, vcc
	v_add_co_u32_e32 v0, vcc, v3, v0
	v_addc_co_u32_e32 v1, vcc, v2, v1, vcc
	v_lshrrev_b32_e32 v2, 6, v0
	v_add_u32_e32 v2, 1, v2
	v_and_b32_e32 v2, 3, v2
	s_mov_b32 s9, s8
	v_cmp_ne_u32_e32 vcc, 0, v2
	v_pk_mov_b32 v[32:33], s[8:9], s[8:9] op_sel:[0,1]
	v_pk_mov_b32 v[30:31], s[8:9], s[8:9] op_sel:[0,1]
	s_and_saveexec_b64 s[8:9], vcc
	s_cbranch_execz .LBB104_33
; %bb.30:
	v_lshlrev_b64 v[4:5], 3, v[24:25]
	v_mov_b32_e32 v3, 0
	v_mov_b32_e32 v6, s13
	v_add_co_u32_e32 v4, vcc, s12, v4
	v_addc_co_u32_e32 v5, vcc, v6, v5, vcc
	v_lshlrev_b32_e32 v2, 2, v2
	s_mov_b64 s[10:11], 0
	v_mov_b32_e32 v6, s19
	v_mov_b32_e32 v7, s7
	s_movk_i32 s14, 0x800
	v_mov_b32_e32 v30, v3
	v_mov_b32_e32 v31, v3
	;; [unrolled: 1-line block ×4, first 2 shown]
.LBB104_31:                             ; =>This Inner Loop Header: Depth=1
	global_load_dwordx2 v[12:13], v[4:5], off
	global_load_dwordx4 v[8:11], v[28:29], off
	v_add_co_u32_e64 v24, s[0:1], 64, v24
	v_addc_co_u32_e64 v25, s[0:1], 0, v25, s[0:1]
	v_add_co_u32_e64 v2, s[0:1], -4, v2
	v_addc_co_u32_e64 v3, s[0:1], -1, v3, s[0:1]
	v_cmp_eq_u64_e64 s[0:1], 0, v[2:3]
	s_or_b64 s[10:11], s[0:1], s[10:11]
	s_waitcnt vmcnt(1)
	v_subrev_co_u32_e32 v12, vcc, s22, v12
	v_subb_co_u32_e32 v13, vcc, v13, v6, vcc
	v_lshlrev_b64 v[12:13], 3, v[12:13]
	v_add_co_u32_e32 v16, vcc, s6, v12
	v_addc_co_u32_e32 v17, vcc, v7, v13, vcc
	global_load_dwordx2 v[18:19], v[16:17], off
	global_load_dwordx4 v[12:15], v[28:29], off offset:16
	s_waitcnt vmcnt(2)
	v_cvt_f32_f16_sdwa v17, v8 dst_sel:DWORD dst_unused:UNUSED_PAD src0_sel:WORD_1
	v_cvt_f32_f16_e32 v16, v8
	v_cvt_f32_f16_sdwa v35, v10 dst_sel:DWORD dst_unused:UNUSED_PAD src0_sel:WORD_1
	v_cvt_f32_f16_e32 v34, v10
	;; [unrolled: 2-line block ×4, first 2 shown]
	v_add_co_u32_e32 v28, vcc, s14, v28
	v_addc_co_u32_e32 v29, vcc, 0, v29, vcc
	v_add_co_u32_e32 v4, vcc, 0x200, v4
	v_addc_co_u32_e32 v5, vcc, 0, v5, vcc
	s_waitcnt vmcnt(1)
	v_cvt_f32_f16_e32 v42, v19
	s_waitcnt vmcnt(0)
	v_cvt_f32_f16_sdwa v37, v12 dst_sel:DWORD dst_unused:UNUSED_PAD src0_sel:WORD_1
	v_cvt_f32_f16_e32 v36, v12
	v_cvt_f32_f16_sdwa v11, v13 dst_sel:DWORD dst_unused:UNUSED_PAD src0_sel:WORD_1
	v_cvt_f32_f16_e32 v10, v13
	;; [unrolled: 2-line block ×3, first 2 shown]
	v_cvt_f32_f16_e32 v14, v18
	v_cvt_f32_f16_sdwa v18, v18 dst_sel:DWORD dst_unused:UNUSED_PAD src0_sel:WORD_1
	v_cvt_f32_f16_sdwa v41, v15 dst_sel:DWORD dst_unused:UNUSED_PAD src0_sel:WORD_1
	v_cvt_f32_f16_e32 v40, v15
	v_cvt_f32_f16_sdwa v44, v19 dst_sel:DWORD dst_unused:UNUSED_PAD src0_sel:WORD_1
	v_pk_fma_f32 v[16:17], v[16:17], v[14:15], v[32:33] op_sel_hi:[1,0,1]
	v_pk_fma_f32 v[14:15], v[38:39], v[14:15], v[30:31] op_sel_hi:[1,0,1]
	;; [unrolled: 1-line block ×8, first 2 shown]
	s_andn2_b64 exec, exec, s[10:11]
	s_cbranch_execnz .LBB104_31
; %bb.32:
	s_or_b64 exec, exec, s[10:11]
.LBB104_33:
	s_or_b64 exec, exec, s[8:9]
	s_mov_b64 s[0:1], 0xbf
	v_cmp_lt_u64_e32 vcc, s[0:1], v[0:1]
	s_and_saveexec_b64 s[8:9], vcc
	s_cbranch_execz .LBB104_37
; %bb.34:
	v_lshlrev_b64 v[0:1], 3, v[24:25]
	v_mov_b32_e32 v2, s13
	v_add_co_u32_e32 v0, vcc, s12, v0
	v_addc_co_u32_e32 v1, vcc, v1, v2, vcc
	v_add_co_u32_e32 v16, vcc, 0x400, v0
	v_addc_co_u32_e32 v17, vcc, 0, v1, vcc
	s_mov_b64 s[10:11], 0
	v_mov_b32_e32 v18, s19
	v_mov_b32_e32 v19, s7
	s_movk_i32 s7, 0x1000
.LBB104_35:                             ; =>This Inner Loop Header: Depth=1
	global_load_dwordx4 v[0:3], v[28:29], off
	global_load_dwordx4 v[4:7], v[28:29], off offset:16
	global_load_dwordx4 v[8:11], v[28:29], off offset:2048
	;; [unrolled: 1-line block ×3, first 2 shown]
	global_load_dwordx2 v[50:51], v[16:17], off offset:-1024
	global_load_dwordx2 v[52:53], v[16:17], off offset:-512
	global_load_dwordx2 v[54:55], v[16:17], off
	global_load_dwordx2 v[56:57], v[16:17], off offset:512
	v_add_co_u32_e32 v58, vcc, s7, v28
	v_addc_co_u32_e32 v59, vcc, 0, v29, vcc
	v_add_co_u32_e32 v24, vcc, 0x100, v24
	v_addc_co_u32_e32 v25, vcc, 0, v25, vcc
	;; [unrolled: 2-line block ×4, first 2 shown]
	global_load_dwordx4 v[34:37], v[58:59], off
	global_load_dwordx4 v[38:41], v[58:59], off offset:16
	global_load_dwordx4 v[42:45], v[58:59], off offset:2048
	;; [unrolled: 1-line block ×3, first 2 shown]
	v_cmp_ge_i64_e64 s[0:1], v[24:25], v[26:27]
	s_or_b64 s[10:11], s[0:1], s[10:11]
	s_waitcnt vmcnt(11)
	v_cvt_f32_f16_sdwa v59, v0 dst_sel:DWORD dst_unused:UNUSED_PAD src0_sel:WORD_1
	v_cvt_f32_f16_e32 v58, v0
	v_cvt_f32_f16_sdwa v65, v1 dst_sel:DWORD dst_unused:UNUSED_PAD src0_sel:WORD_1
	v_cvt_f32_f16_e32 v64, v1
	s_waitcnt vmcnt(7)
	v_subrev_co_u32_e32 v50, vcc, s22, v50
	v_subb_co_u32_e32 v51, vcc, v51, v18, vcc
	s_waitcnt vmcnt(6)
	v_subrev_co_u32_e32 v52, vcc, s22, v52
	v_subb_co_u32_e32 v53, vcc, v53, v18, vcc
	;; [unrolled: 3-line block ×4, first 2 shown]
	v_lshlrev_b64 v[50:51], 3, v[50:51]
	v_add_co_u32_e32 v50, vcc, s6, v50
	v_lshlrev_b64 v[52:53], 3, v[52:53]
	v_addc_co_u32_e32 v51, vcc, v19, v51, vcc
	v_add_co_u32_e32 v52, vcc, s6, v52
	v_lshlrev_b64 v[54:55], 3, v[54:55]
	v_addc_co_u32_e32 v53, vcc, v19, v53, vcc
	;; [unrolled: 3-line block ×3, first 2 shown]
	v_add_co_u32_e32 v56, vcc, s6, v56
	v_addc_co_u32_e32 v57, vcc, v19, v57, vcc
	global_load_dwordx2 v[76:77], v[50:51], off
	global_load_dwordx2 v[78:79], v[52:53], off
	;; [unrolled: 1-line block ×4, first 2 shown]
	v_cvt_f32_f16_sdwa v61, v2 dst_sel:DWORD dst_unused:UNUSED_PAD src0_sel:WORD_1
	v_cvt_f32_f16_e32 v60, v2
	v_cvt_f32_f16_sdwa v1, v3 dst_sel:DWORD dst_unused:UNUSED_PAD src0_sel:WORD_1
	v_cvt_f32_f16_e32 v0, v3
	v_cvt_f32_f16_sdwa v63, v4 dst_sel:DWORD dst_unused:UNUSED_PAD src0_sel:WORD_1
	v_cvt_f32_f16_e32 v62, v4
	v_cvt_f32_f16_sdwa v3, v5 dst_sel:DWORD dst_unused:UNUSED_PAD src0_sel:WORD_1
	v_cvt_f32_f16_e32 v2, v5
	v_cvt_f32_f16_sdwa v5, v6 dst_sel:DWORD dst_unused:UNUSED_PAD src0_sel:WORD_1
	v_cvt_f32_f16_e32 v4, v6
	v_cvt_f32_f16_sdwa v67, v7 dst_sel:DWORD dst_unused:UNUSED_PAD src0_sel:WORD_1
	v_cvt_f32_f16_e32 v66, v7
	v_cvt_f32_f16_sdwa v7, v8 dst_sel:DWORD dst_unused:UNUSED_PAD src0_sel:WORD_1
	v_cvt_f32_f16_e32 v6, v8
	v_cvt_f32_f16_sdwa v75, v9 dst_sel:DWORD dst_unused:UNUSED_PAD src0_sel:WORD_1
	v_cvt_f32_f16_e32 v74, v9
	v_cvt_f32_f16_sdwa v69, v10 dst_sel:DWORD dst_unused:UNUSED_PAD src0_sel:WORD_1
	v_cvt_f32_f16_e32 v68, v10
	v_cvt_f32_f16_sdwa v9, v11 dst_sel:DWORD dst_unused:UNUSED_PAD src0_sel:WORD_1
	v_cvt_f32_f16_e32 v8, v11
	v_cvt_f32_f16_sdwa v71, v12 dst_sel:DWORD dst_unused:UNUSED_PAD src0_sel:WORD_1
	v_cvt_f32_f16_e32 v70, v12
	v_cvt_f32_f16_sdwa v11, v13 dst_sel:DWORD dst_unused:UNUSED_PAD src0_sel:WORD_1
	v_cvt_f32_f16_e32 v10, v13
	v_cvt_f32_f16_sdwa v73, v14 dst_sel:DWORD dst_unused:UNUSED_PAD src0_sel:WORD_1
	v_cvt_f32_f16_e32 v72, v14
	v_cvt_f32_f16_sdwa v13, v15 dst_sel:DWORD dst_unused:UNUSED_PAD src0_sel:WORD_1
	v_cvt_f32_f16_e32 v12, v15
	s_waitcnt vmcnt(7)
	v_cvt_f32_f16_e32 v14, v34
	v_cvt_f32_f16_sdwa v15, v34 dst_sel:DWORD dst_unused:UNUSED_PAD src0_sel:WORD_1
	v_cvt_f32_f16_e32 v34, v35
	v_cvt_f32_f16_sdwa v35, v35 dst_sel:DWORD dst_unused:UNUSED_PAD src0_sel:WORD_1
	v_cvt_f32_f16_e32 v50, v36
	v_cvt_f32_f16_sdwa v51, v36 dst_sel:DWORD dst_unused:UNUSED_PAD src0_sel:WORD_1
	v_cvt_f32_f16_e32 v36, v37
	v_cvt_f32_f16_sdwa v37, v37 dst_sel:DWORD dst_unused:UNUSED_PAD src0_sel:WORD_1
	s_waitcnt vmcnt(6)
	v_cvt_f32_f16_e32 v52, v38
	v_cvt_f32_f16_sdwa v53, v38 dst_sel:DWORD dst_unused:UNUSED_PAD src0_sel:WORD_1
	v_cvt_f32_f16_e32 v38, v39
	v_cvt_f32_f16_sdwa v39, v39 dst_sel:DWORD dst_unused:UNUSED_PAD src0_sel:WORD_1
	v_cvt_f32_f16_e32 v54, v40
	v_cvt_f32_f16_sdwa v55, v40 dst_sel:DWORD dst_unused:UNUSED_PAD src0_sel:WORD_1
	v_cvt_f32_f16_e32 v40, v41
	v_cvt_f32_f16_sdwa v41, v41 dst_sel:DWORD dst_unused:UNUSED_PAD src0_sel:WORD_1
	;; [unrolled: 9-line block ×4, first 2 shown]
	s_waitcnt vmcnt(3)
	v_cvt_f32_f16_e32 v90, v76
	v_cvt_f32_f16_sdwa v76, v76 dst_sel:DWORD dst_unused:UNUSED_PAD src0_sel:WORD_1
	v_cvt_f32_f16_e32 v92, v77
	v_cvt_f32_f16_sdwa v94, v77 dst_sel:DWORD dst_unused:UNUSED_PAD src0_sel:WORD_1
	v_pk_fma_f32 v[32:33], v[58:59], v[90:91], v[32:33] op_sel_hi:[1,0,1]
	s_waitcnt vmcnt(2)
	v_cvt_f32_f16_e32 v58, v78
	v_pk_fma_f32 v[30:31], v[64:65], v[90:91], v[30:31] op_sel_hi:[1,0,1]
	v_cvt_f32_f16_sdwa v64, v78 dst_sel:DWORD dst_unused:UNUSED_PAD src0_sel:WORD_1
	v_pk_fma_f32 v[32:33], v[60:61], v[76:77], v[32:33] op_sel_hi:[1,0,1]
	v_pk_fma_f32 v[0:1], v[0:1], v[76:77], v[30:31] op_sel_hi:[1,0,1]
	v_cvt_f32_f16_e32 v78, v79
	v_pk_fma_f32 v[32:33], v[62:63], v[92:93], v[32:33] op_sel_hi:[1,0,1]
	v_pk_fma_f32 v[0:1], v[2:3], v[92:93], v[0:1] op_sel_hi:[1,0,1]
	v_cvt_f32_f16_sdwa v90, v79 dst_sel:DWORD dst_unused:UNUSED_PAD src0_sel:WORD_1
	v_pk_fma_f32 v[4:5], v[4:5], v[94:95], v[32:33] op_sel_hi:[1,0,1]
	v_pk_fma_f32 v[0:1], v[66:67], v[94:95], v[0:1] op_sel_hi:[1,0,1]
	s_waitcnt vmcnt(1)
	v_cvt_f32_f16_e32 v60, v80
	v_pk_fma_f32 v[4:5], v[6:7], v[58:59], v[4:5] op_sel_hi:[1,0,1]
	v_pk_fma_f32 v[0:1], v[74:75], v[58:59], v[0:1] op_sel_hi:[1,0,1]
	v_cvt_f32_f16_sdwa v30, v80 dst_sel:DWORD dst_unused:UNUSED_PAD src0_sel:WORD_1
	v_pk_fma_f32 v[4:5], v[68:69], v[64:65], v[4:5] op_sel_hi:[1,0,1]
	v_pk_fma_f32 v[0:1], v[8:9], v[64:65], v[0:1] op_sel_hi:[1,0,1]
	v_cvt_f32_f16_e32 v76, v81
	v_pk_fma_f32 v[4:5], v[70:71], v[78:79], v[4:5] op_sel_hi:[1,0,1]
	v_pk_fma_f32 v[0:1], v[10:11], v[78:79], v[0:1] op_sel_hi:[1,0,1]
	v_cvt_f32_f16_sdwa v80, v81 dst_sel:DWORD dst_unused:UNUSED_PAD src0_sel:WORD_1
	v_pk_fma_f32 v[4:5], v[72:73], v[90:91], v[4:5] op_sel_hi:[1,0,1]
	v_pk_fma_f32 v[0:1], v[12:13], v[90:91], v[0:1] op_sel_hi:[1,0,1]
	s_waitcnt vmcnt(0)
	v_cvt_f32_f16_e32 v62, v82
	v_pk_fma_f32 v[4:5], v[14:15], v[60:61], v[4:5] op_sel_hi:[1,0,1]
	v_pk_fma_f32 v[0:1], v[34:35], v[60:61], v[0:1] op_sel_hi:[1,0,1]
	v_cvt_f32_f16_sdwa v2, v82 dst_sel:DWORD dst_unused:UNUSED_PAD src0_sel:WORD_1
	v_pk_fma_f32 v[4:5], v[50:51], v[30:31], v[4:5] op_sel_hi:[1,0,1]
	v_pk_fma_f32 v[0:1], v[36:37], v[30:31], v[0:1] op_sel_hi:[1,0,1]
	v_cvt_f32_f16_e32 v82, v83
	v_pk_fma_f32 v[4:5], v[52:53], v[76:77], v[4:5] op_sel_hi:[1,0,1]
	v_pk_fma_f32 v[0:1], v[38:39], v[76:77], v[0:1] op_sel_hi:[1,0,1]
	v_cvt_f32_f16_sdwa v92, v83 dst_sel:DWORD dst_unused:UNUSED_PAD src0_sel:WORD_1
	v_pk_fma_f32 v[4:5], v[54:55], v[80:81], v[4:5] op_sel_hi:[1,0,1]
	v_pk_fma_f32 v[0:1], v[40:41], v[80:81], v[0:1] op_sel_hi:[1,0,1]
	v_pk_fma_f32 v[4:5], v[56:57], v[62:63], v[4:5] op_sel_hi:[1,0,1]
	v_pk_fma_f32 v[0:1], v[42:43], v[62:63], v[0:1] op_sel_hi:[1,0,1]
	v_pk_fma_f32 v[4:5], v[84:85], v[2:3], v[4:5] op_sel_hi:[1,0,1]
	v_pk_fma_f32 v[0:1], v[44:45], v[2:3], v[0:1] op_sel_hi:[1,0,1]
	v_pk_fma_f32 v[2:3], v[86:87], v[82:83], v[4:5] op_sel_hi:[1,0,1]
	v_pk_fma_f32 v[0:1], v[46:47], v[82:83], v[0:1] op_sel_hi:[1,0,1]
	v_pk_fma_f32 v[32:33], v[88:89], v[92:93], v[2:3] op_sel_hi:[1,0,1]
	v_pk_fma_f32 v[30:31], v[48:49], v[92:93], v[0:1] op_sel_hi:[1,0,1]
	s_andn2_b64 exec, exec, s[10:11]
	s_cbranch_execnz .LBB104_35
; %bb.36:
	s_or_b64 exec, exec, s[10:11]
.LBB104_37:
	s_or_b64 exec, exec, s[8:9]
.LBB104_38:
	s_or_b64 exec, exec, s[2:3]
.LBB104_39:
	v_mov_b32_dpp v0, v32 row_shr:1 row_mask:0xf bank_mask:0xf
	v_mov_b32_dpp v1, v33 row_shr:1 row_mask:0xf bank_mask:0xf
	v_mov_b32_dpp v4, v30 row_shr:1 row_mask:0xf bank_mask:0xf
	v_mov_b32_dpp v5, v31 row_shr:1 row_mask:0xf bank_mask:0xf
	v_pk_add_f32 v[0:1], v[32:33], v[0:1]
	v_pk_add_f32 v[4:5], v[30:31], v[4:5]
	v_cmp_eq_u32_e32 vcc, 63, v22
	v_mov_b32_dpp v2, v0 row_shr:2 row_mask:0xf bank_mask:0xf
	v_mov_b32_dpp v3, v1 row_shr:2 row_mask:0xf bank_mask:0xf
	v_mov_b32_dpp v6, v4 row_shr:2 row_mask:0xf bank_mask:0xf
	v_mov_b32_dpp v7, v5 row_shr:2 row_mask:0xf bank_mask:0xf
	v_pk_add_f32 v[0:1], v[0:1], v[2:3]
	v_pk_add_f32 v[4:5], v[4:5], v[6:7]
	s_nop 0
	v_mov_b32_dpp v2, v0 row_shr:4 row_mask:0xf bank_mask:0xe
	v_mov_b32_dpp v3, v1 row_shr:4 row_mask:0xf bank_mask:0xe
	v_mov_b32_dpp v6, v4 row_shr:4 row_mask:0xf bank_mask:0xe
	v_mov_b32_dpp v7, v5 row_shr:4 row_mask:0xf bank_mask:0xe
	v_pk_add_f32 v[0:1], v[0:1], v[2:3]
	v_pk_add_f32 v[4:5], v[4:5], v[6:7]
	s_nop 0
	;; [unrolled: 7-line block ×3, first 2 shown]
	v_mov_b32_dpp v2, v0 row_bcast:15 row_mask:0xa bank_mask:0xf
	v_mov_b32_dpp v3, v1 row_bcast:15 row_mask:0xa bank_mask:0xf
	;; [unrolled: 1-line block ×4, first 2 shown]
	v_pk_add_f32 v[0:1], v[0:1], v[2:3]
	v_pk_add_f32 v[4:5], v[4:5], v[6:7]
	s_nop 0
	v_mov_b32_dpp v2, v0 row_bcast:31 row_mask:0xc bank_mask:0xf
	v_mov_b32_dpp v3, v1 row_bcast:31 row_mask:0xc bank_mask:0xf
	;; [unrolled: 1-line block ×4, first 2 shown]
	s_and_b64 exec, exec, vcc
	s_cbranch_execz .LBB104_10
; %bb.40:
	s_load_dwordx2 s[0:1], s[4:5], 0x58
	v_cmp_eq_f32_e64 s[2:3], s20, 0
	v_pk_add_f32 v[2:3], v[0:1], v[2:3]
	v_pk_add_f32 v[0:1], v[4:5], v[6:7]
	s_and_b64 vcc, exec, s[2:3]
	v_lshlrev_b64 v[4:5], 4, v[20:21]
	s_cbranch_vccz .LBB104_42
; %bb.41:
	s_waitcnt lgkmcnt(0)
	v_mov_b32_e32 v6, s1
	v_add_co_u32_e32 v10, vcc, s0, v4
	v_addc_co_u32_e32 v11, vcc, v6, v5, vcc
	v_pk_mul_f32 v[6:7], s[16:17], v[2:3] op_sel_hi:[0,1]
	v_pk_mul_f32 v[8:9], s[16:17], v[0:1] op_sel_hi:[0,1]
	global_store_dwordx4 v[10:11], v[6:9], off
	s_cbranch_execnz .LBB104_10
	s_branch .LBB104_43
.LBB104_42:
.LBB104_43:
	s_waitcnt lgkmcnt(0)
	v_mov_b32_e32 v6, s1
	v_add_co_u32_e32 v8, vcc, s0, v4
	v_addc_co_u32_e32 v9, vcc, v6, v5, vcc
	global_load_dwordx4 v[4:7], v[8:9], off
	v_pk_mul_f32 v[2:3], s[16:17], v[2:3] op_sel_hi:[0,1]
	v_pk_mul_f32 v[10:11], s[16:17], v[0:1] op_sel_hi:[0,1]
	s_waitcnt vmcnt(0)
	v_pk_fma_f32 v[0:1], s[20:21], v[4:5], v[2:3] op_sel_hi:[0,1,1]
	v_pk_fma_f32 v[2:3], s[20:21], v[6:7], v[10:11] op_sel_hi:[0,1,1]
	global_store_dwordx4 v[8:9], v[0:3], off
	s_endpgm
	.section	.rodata,"a",@progbits
	.p2align	6, 0x0
	.amdhsa_kernel _ZN9rocsparseL18bsrxmvn_4x4_kernelILj128ELj64EfllDF16_DF16_fEEvT3_20rocsparse_direction_NS_24const_host_device_scalarIT1_EES1_PKS1_PKT2_SA_S7_PKT4_PKT5_S5_PT6_21rocsparse_index_base_b
		.amdhsa_group_segment_fixed_size 0
		.amdhsa_private_segment_fixed_size 0
		.amdhsa_kernarg_size 104
		.amdhsa_user_sgpr_count 6
		.amdhsa_user_sgpr_private_segment_buffer 1
		.amdhsa_user_sgpr_dispatch_ptr 0
		.amdhsa_user_sgpr_queue_ptr 0
		.amdhsa_user_sgpr_kernarg_segment_ptr 1
		.amdhsa_user_sgpr_dispatch_id 0
		.amdhsa_user_sgpr_flat_scratch_init 0
		.amdhsa_user_sgpr_kernarg_preload_length 0
		.amdhsa_user_sgpr_kernarg_preload_offset 0
		.amdhsa_user_sgpr_private_segment_size 0
		.amdhsa_uses_dynamic_stack 0
		.amdhsa_system_sgpr_private_segment_wavefront_offset 0
		.amdhsa_system_sgpr_workgroup_id_x 1
		.amdhsa_system_sgpr_workgroup_id_y 0
		.amdhsa_system_sgpr_workgroup_id_z 0
		.amdhsa_system_sgpr_workgroup_info 0
		.amdhsa_system_vgpr_workitem_id 0
		.amdhsa_next_free_vgpr 102
		.amdhsa_next_free_sgpr 24
		.amdhsa_accum_offset 104
		.amdhsa_reserve_vcc 1
		.amdhsa_reserve_flat_scratch 0
		.amdhsa_float_round_mode_32 0
		.amdhsa_float_round_mode_16_64 0
		.amdhsa_float_denorm_mode_32 3
		.amdhsa_float_denorm_mode_16_64 3
		.amdhsa_dx10_clamp 1
		.amdhsa_ieee_mode 1
		.amdhsa_fp16_overflow 0
		.amdhsa_tg_split 0
		.amdhsa_exception_fp_ieee_invalid_op 0
		.amdhsa_exception_fp_denorm_src 0
		.amdhsa_exception_fp_ieee_div_zero 0
		.amdhsa_exception_fp_ieee_overflow 0
		.amdhsa_exception_fp_ieee_underflow 0
		.amdhsa_exception_fp_ieee_inexact 0
		.amdhsa_exception_int_div_zero 0
	.end_amdhsa_kernel
	.section	.text._ZN9rocsparseL18bsrxmvn_4x4_kernelILj128ELj64EfllDF16_DF16_fEEvT3_20rocsparse_direction_NS_24const_host_device_scalarIT1_EES1_PKS1_PKT2_SA_S7_PKT4_PKT5_S5_PT6_21rocsparse_index_base_b,"axG",@progbits,_ZN9rocsparseL18bsrxmvn_4x4_kernelILj128ELj64EfllDF16_DF16_fEEvT3_20rocsparse_direction_NS_24const_host_device_scalarIT1_EES1_PKS1_PKT2_SA_S7_PKT4_PKT5_S5_PT6_21rocsparse_index_base_b,comdat
.Lfunc_end104:
	.size	_ZN9rocsparseL18bsrxmvn_4x4_kernelILj128ELj64EfllDF16_DF16_fEEvT3_20rocsparse_direction_NS_24const_host_device_scalarIT1_EES1_PKS1_PKT2_SA_S7_PKT4_PKT5_S5_PT6_21rocsparse_index_base_b, .Lfunc_end104-_ZN9rocsparseL18bsrxmvn_4x4_kernelILj128ELj64EfllDF16_DF16_fEEvT3_20rocsparse_direction_NS_24const_host_device_scalarIT1_EES1_PKS1_PKT2_SA_S7_PKT4_PKT5_S5_PT6_21rocsparse_index_base_b
                                        ; -- End function
	.section	.AMDGPU.csdata,"",@progbits
; Kernel info:
; codeLenInByte = 4352
; NumSgprs: 28
; NumVgprs: 102
; NumAgprs: 0
; TotalNumVgprs: 102
; ScratchSize: 0
; MemoryBound: 0
; FloatMode: 240
; IeeeMode: 1
; LDSByteSize: 0 bytes/workgroup (compile time only)
; SGPRBlocks: 3
; VGPRBlocks: 12
; NumSGPRsForWavesPerEU: 28
; NumVGPRsForWavesPerEU: 102
; AccumOffset: 104
; Occupancy: 4
; WaveLimiterHint : 1
; COMPUTE_PGM_RSRC2:SCRATCH_EN: 0
; COMPUTE_PGM_RSRC2:USER_SGPR: 6
; COMPUTE_PGM_RSRC2:TRAP_HANDLER: 0
; COMPUTE_PGM_RSRC2:TGID_X_EN: 1
; COMPUTE_PGM_RSRC2:TGID_Y_EN: 0
; COMPUTE_PGM_RSRC2:TGID_Z_EN: 0
; COMPUTE_PGM_RSRC2:TIDIG_COMP_CNT: 0
; COMPUTE_PGM_RSRC3_GFX90A:ACCUM_OFFSET: 25
; COMPUTE_PGM_RSRC3_GFX90A:TG_SPLIT: 0
	.section	.text._ZN9rocsparseL18bsrxmvn_4x4_kernelILj128ELj4Efii18rocsparse_bfloat16S1_fEEvT3_20rocsparse_direction_NS_24const_host_device_scalarIT1_EES2_PKS2_PKT2_SB_S8_PKT4_PKT5_S6_PT6_21rocsparse_index_base_b,"axG",@progbits,_ZN9rocsparseL18bsrxmvn_4x4_kernelILj128ELj4Efii18rocsparse_bfloat16S1_fEEvT3_20rocsparse_direction_NS_24const_host_device_scalarIT1_EES2_PKS2_PKT2_SB_S8_PKT4_PKT5_S6_PT6_21rocsparse_index_base_b,comdat
	.globl	_ZN9rocsparseL18bsrxmvn_4x4_kernelILj128ELj4Efii18rocsparse_bfloat16S1_fEEvT3_20rocsparse_direction_NS_24const_host_device_scalarIT1_EES2_PKS2_PKT2_SB_S8_PKT4_PKT5_S6_PT6_21rocsparse_index_base_b ; -- Begin function _ZN9rocsparseL18bsrxmvn_4x4_kernelILj128ELj4Efii18rocsparse_bfloat16S1_fEEvT3_20rocsparse_direction_NS_24const_host_device_scalarIT1_EES2_PKS2_PKT2_SB_S8_PKT4_PKT5_S6_PT6_21rocsparse_index_base_b
	.p2align	8
	.type	_ZN9rocsparseL18bsrxmvn_4x4_kernelILj128ELj4Efii18rocsparse_bfloat16S1_fEEvT3_20rocsparse_direction_NS_24const_host_device_scalarIT1_EES2_PKS2_PKT2_SB_S8_PKT4_PKT5_S6_PT6_21rocsparse_index_base_b,@function
_ZN9rocsparseL18bsrxmvn_4x4_kernelILj128ELj4Efii18rocsparse_bfloat16S1_fEEvT3_20rocsparse_direction_NS_24const_host_device_scalarIT1_EES2_PKS2_PKT2_SB_S8_PKT4_PKT5_S6_PT6_21rocsparse_index_base_b: ; @_ZN9rocsparseL18bsrxmvn_4x4_kernelILj128ELj4Efii18rocsparse_bfloat16S1_fEEvT3_20rocsparse_direction_NS_24const_host_device_scalarIT1_EES2_PKS2_PKT2_SB_S8_PKT4_PKT5_S6_PT6_21rocsparse_index_base_b
; %bb.0:
	s_load_dwordx2 s[18:19], s[4:5], 0x58
	s_load_dwordx2 s[2:3], s[4:5], 0x8
	;; [unrolled: 1-line block ×3, first 2 shown]
	s_waitcnt lgkmcnt(0)
	s_bitcmp1_b32 s19, 0
	s_cselect_b64 s[8:9], -1, 0
	s_xor_b64 s[0:1], s[8:9], -1
	s_and_b64 vcc, exec, s[8:9]
	s_cbranch_vccnz .LBB105_2
; %bb.1:
	s_load_dword s2, s[2:3], 0x0
.LBB105_2:
	s_andn2_b64 vcc, exec, s[0:1]
	s_cbranch_vccnz .LBB105_4
; %bb.3:
	s_load_dword s16, s[16:17], 0x0
.LBB105_4:
	s_waitcnt lgkmcnt(0)
	v_cmp_neq_f32_e64 s[0:1], s2, 0
	v_cmp_neq_f32_e64 s[8:9], s16, 1.0
	s_or_b64 s[0:1], s[0:1], s[8:9]
	s_andn2_b64 vcc, exec, s[0:1]
	s_cbranch_vccnz .LBB105_10
; %bb.5:
	s_load_dwordx2 s[8:9], s[4:5], 0x18
	s_load_dwordx2 s[0:1], s[4:5], 0x0
	v_lshrrev_b32_e32 v1, 2, v0
	v_lshl_or_b32 v32, s6, 5, v1
	s_mov_b64 s[6:7], 0
	s_waitcnt lgkmcnt(0)
	s_cmp_lg_u64 s[8:9], 0
	s_cbranch_scc0 .LBB105_11
; %bb.6:
	s_load_dword s3, s[4:5], 0x10
                                        ; implicit-def: $vgpr1
	s_waitcnt lgkmcnt(0)
	v_cmp_gt_i32_e32 vcc, s3, v32
	s_and_saveexec_b64 s[10:11], vcc
	s_xor_b64 s[10:11], exec, s[10:11]
	s_cbranch_execz .LBB105_8
; %bb.7:
	v_ashrrev_i32_e32 v33, 31, v32
	v_lshlrev_b64 v[2:3], 2, v[32:33]
	v_mov_b32_e32 v1, s9
	v_add_co_u32_e32 v2, vcc, s8, v2
	v_addc_co_u32_e32 v3, vcc, v1, v3, vcc
	global_load_dword v1, v[2:3], off
	s_mov_b64 s[6:7], exec
	s_waitcnt vmcnt(0)
	v_subrev_u32_e32 v1, s18, v1
.LBB105_8:
	s_or_b64 exec, exec, s[10:11]
	s_branch .LBB105_12
.LBB105_9:
	v_cmp_gt_i32_e32 vcc, s0, v32
	s_andn2_b64 s[6:7], s[6:7], exec
	s_and_b64 s[8:9], vcc, exec
	s_or_b64 s[6:7], s[6:7], s[8:9]
	s_and_saveexec_b64 s[8:9], s[6:7]
	s_cbranch_execnz .LBB105_13
.LBB105_10:
	s_endpgm
.LBB105_11:
                                        ; implicit-def: $vgpr1
	s_cbranch_execnz .LBB105_9
.LBB105_12:
	v_mov_b32_e32 v32, v1
	s_and_saveexec_b64 s[8:9], s[6:7]
	s_cbranch_execz .LBB105_10
.LBB105_13:
	s_load_dwordx8 s[8:15], s[4:5], 0x20
	v_ashrrev_i32_e32 v33, 31, v32
	v_lshlrev_b64 v[2:3], 2, v[32:33]
	v_and_b32_e32 v33, 3, v0
	s_load_dwordx2 s[6:7], s[4:5], 0x40
	s_waitcnt lgkmcnt(0)
	v_mov_b32_e32 v1, s9
	v_add_co_u32_e32 v4, vcc, s8, v2
	v_addc_co_u32_e32 v5, vcc, v1, v3, vcc
	v_add_co_u32_e32 v1, vcc, 4, v4
	global_load_dword v8, v[4:5], off
	v_addc_co_u32_e32 v4, vcc, 0, v5, vcc
	v_mov_b32_e32 v5, s11
	v_add_co_u32_e32 v2, vcc, s10, v2
	s_cmp_eq_u64 s[10:11], 0
	v_addc_co_u32_e32 v3, vcc, v5, v3, vcc
	s_cselect_b64 vcc, -1, 0
	v_cndmask_b32_e32 v3, v3, v4, vcc
	v_cndmask_b32_e32 v2, v2, v1, vcc
	global_load_dword v1, v[2:3], off
	v_mov_b32_e32 v2, s15
	s_cmp_eq_u32 s1, 1
	s_waitcnt vmcnt(1)
	v_subrev_u32_e32 v0, s18, v8
	v_add_u32_e32 v34, v0, v33
	v_ashrrev_i32_e32 v35, 31, v34
	s_waitcnt vmcnt(0)
	v_subrev_u32_e32 v42, s18, v1
	v_lshlrev_b64 v[0:1], 5, v[34:35]
	v_add_co_u32_e32 v36, vcc, s14, v0
	v_addc_co_u32_e32 v37, vcc, v2, v1, vcc
	v_cmp_lt_i32_e64 s[0:1], v34, v42
	s_cbranch_scc1 .LBB105_25
; %bb.14:
	s_mov_b32 s10, 0
	v_mov_b32_e32 v39, 0
	v_mov_b32_e32 v38, 0
	v_mov_b32_e32 v41, 0
	v_mov_b32_e32 v40, 0
	s_and_saveexec_b64 s[8:9], s[0:1]
	s_cbranch_execz .LBB105_24
; %bb.15:
	v_add_u32_e32 v0, v8, v33
	v_subrev_u32_e32 v0, s18, v0
	v_add_u32_e32 v0, 4, v0
	v_max_i32_e32 v0, v0, v42
	v_not_b32_e32 v1, v8
	v_add3_u32 v0, v0, s18, v1
	v_sub_u32_e32 v0, v0, v33
	v_lshrrev_b32_e32 v1, 2, v0
	v_add_u32_e32 v1, 1, v1
	v_and_b32_e32 v1, 3, v1
	s_mov_b32 s11, s10
	v_cmp_ne_u32_e32 vcc, 0, v1
	v_pk_mov_b32 v[38:39], s[10:11], s[10:11] op_sel:[0,1]
	v_pk_mov_b32 v[40:41], s[10:11], s[10:11] op_sel:[0,1]
	v_mov_b32_e32 v4, v34
	v_pk_mov_b32 v[6:7], v[36:37], v[36:37] op_sel:[0,1]
	s_and_saveexec_b64 s[10:11], vcc
	s_cbranch_execz .LBB105_19
; %bb.16:
	v_mov_b32_e32 v40, 0
	v_lshlrev_b32_e32 v1, 5, v1
	s_mov_b64 s[14:15], 0
	v_mov_b32_e32 v2, s13
	v_mov_b32_e32 v3, s7
	v_pk_mov_b32 v[6:7], v[36:37], v[36:37] op_sel:[0,1]
	v_mov_b32_e32 v4, v34
	v_mov_b32_e32 v41, v40
	;; [unrolled: 1-line block ×4, first 2 shown]
.LBB105_17:                             ; =>This Inner Loop Header: Depth=1
	v_ashrrev_i32_e32 v5, 31, v4
	v_lshlrev_b64 v[10:11], 2, v[4:5]
	v_add_co_u32_e32 v18, vcc, s12, v10
	v_addc_co_u32_e32 v19, vcc, v2, v11, vcc
	global_load_dword v5, v[18:19], off
	global_load_dwordx4 v[10:13], v[6:7], off
	global_load_dwordx4 v[14:17], v[6:7], off offset:16
	v_subrev_u32_e32 v1, 32, v1
	v_add_u32_e32 v4, 4, v4
	s_waitcnt vmcnt(2)
	v_subrev_u32_e32 v5, s18, v5
	v_lshlrev_b32_e32 v18, 2, v5
	v_ashrrev_i32_e32 v19, 31, v18
	v_lshlrev_b64 v[18:19], 1, v[18:19]
	v_add_co_u32_e32 v18, vcc, s6, v18
	v_addc_co_u32_e32 v19, vcc, v3, v19, vcc
	global_load_dwordx2 v[18:19], v[18:19], off
	s_waitcnt vmcnt(2)
	v_lshlrev_b32_e32 v21, 16, v12
	v_lshlrev_b32_e32 v20, 16, v10
	v_and_b32_e32 v23, 0xffff0000, v12
	v_and_b32_e32 v22, 0xffff0000, v10
	v_lshlrev_b32_e32 v24, 16, v11
	v_and_b32_e32 v12, 0xffff0000, v11
	s_waitcnt vmcnt(1)
	v_lshlrev_b32_e32 v11, 16, v16
	v_lshlrev_b32_e32 v10, 16, v14
	v_and_b32_e32 v26, 0xffff0000, v14
	v_add_co_u32_e32 v6, vcc, 0x80, v6
	v_and_b32_e32 v27, 0xffff0000, v16
	v_addc_co_u32_e32 v7, vcc, 0, v7, vcc
	v_lshlrev_b32_e32 v25, 16, v13
	v_lshlrev_b32_e32 v29, 16, v17
	v_lshlrev_b32_e32 v28, 16, v15
	v_and_b32_e32 v16, 0xffff0000, v15
	v_cmp_eq_u32_e32 vcc, 0, v1
	v_and_b32_e32 v13, 0xffff0000, v13
	v_and_b32_e32 v17, 0xffff0000, v17
	s_or_b64 s[14:15], vcc, s[14:15]
	s_waitcnt vmcnt(0)
	v_lshlrev_b32_e32 v14, 16, v18
	v_and_b32_e32 v18, 0xffff0000, v18
	v_pk_fma_f32 v[20:21], v[20:21], v[14:15], v[40:41] op_sel_hi:[1,0,1]
	v_pk_fma_f32 v[10:11], v[10:11], v[14:15], v[38:39] op_sel_hi:[1,0,1]
	v_lshlrev_b32_e32 v30, 16, v19
	v_pk_fma_f32 v[14:15], v[22:23], v[18:19], v[20:21] op_sel_hi:[1,0,1]
	v_pk_fma_f32 v[10:11], v[26:27], v[18:19], v[10:11] op_sel_hi:[1,0,1]
	v_and_b32_e32 v44, 0xffff0000, v19
	v_pk_fma_f32 v[14:15], v[24:25], v[30:31], v[14:15] op_sel_hi:[1,0,1]
	v_pk_fma_f32 v[10:11], v[28:29], v[30:31], v[10:11] op_sel_hi:[1,0,1]
	v_pk_fma_f32 v[40:41], v[12:13], v[44:45], v[14:15] op_sel_hi:[1,0,1]
	v_pk_fma_f32 v[38:39], v[16:17], v[44:45], v[10:11] op_sel_hi:[1,0,1]
	s_andn2_b64 exec, exec, s[14:15]
	s_cbranch_execnz .LBB105_17
; %bb.18:
	s_or_b64 exec, exec, s[14:15]
.LBB105_19:
	s_or_b64 exec, exec, s[10:11]
	v_cmp_lt_u32_e32 vcc, 11, v0
	s_and_saveexec_b64 s[10:11], vcc
	s_cbranch_execz .LBB105_23
; %bb.20:
	s_mov_b64 s[14:15], 0
	v_mov_b32_e32 v9, s13
	v_mov_b32_e32 v10, s7
.LBB105_21:                             ; =>This Inner Loop Header: Depth=1
	global_load_dwordx4 v[0:3], v[6:7], off
	global_load_dwordx4 v[12:15], v[6:7], off offset:16
	v_ashrrev_i32_e32 v5, 31, v4
	global_load_dwordx4 v[16:19], v[6:7], off offset:128
	global_load_dwordx4 v[20:23], v[6:7], off offset:144
	;; [unrolled: 1-line block ×6, first 2 shown]
	v_add_co_u32_e32 v6, vcc, 0x200, v6
	v_lshlrev_b64 v[52:53], 2, v[4:5]
	v_addc_co_u32_e32 v7, vcc, 0, v7, vcc
	v_add_co_u32_e32 v52, vcc, s12, v52
	v_addc_co_u32_e32 v53, vcc, v9, v53, vcc
	global_load_dword v5, v[52:53], off
	global_load_dword v11, v[52:53], off offset:16
	global_load_dword v35, v[52:53], off offset:32
	;; [unrolled: 1-line block ×3, first 2 shown]
	v_add_u32_e32 v4, 16, v4
	v_cmp_ge_i32_e32 vcc, v4, v42
	s_or_b64 s[14:15], vcc, s[14:15]
	s_waitcnt vmcnt(9)
	v_and_b32_e32 v62, 0xffff0000, v16
	s_waitcnt vmcnt(8)
	v_and_b32_e32 v66, 0xffff0000, v20
	v_lshlrev_b32_e32 v52, 16, v0
	v_and_b32_e32 v54, 0xffff0000, v0
	v_lshlrev_b32_e32 v0, 16, v12
	;; [unrolled: 2-line block ×3, first 2 shown]
	v_lshlrev_b32_e32 v16, 16, v20
	v_lshlrev_b32_e32 v53, 16, v2
	v_and_b32_e32 v55, 0xffff0000, v2
	v_lshlrev_b32_e32 v56, 16, v1
	v_and_b32_e32 v2, 0xffff0000, v1
	s_waitcnt vmcnt(3)
	v_subrev_u32_e32 v5, s18, v5
	v_lshlrev_b32_e32 v68, 2, v5
	s_waitcnt vmcnt(2)
	v_subrev_u32_e32 v11, s18, v11
	v_ashrrev_i32_e32 v69, 31, v68
	v_lshlrev_b32_e32 v70, 2, v11
	v_lshlrev_b64 v[68:69], 1, v[68:69]
	s_waitcnt vmcnt(1)
	v_subrev_u32_e32 v20, s18, v35
	v_ashrrev_i32_e32 v71, 31, v70
	v_add_co_u32_e32 v68, vcc, s6, v68
	v_lshlrev_b32_e32 v72, 2, v20
	v_lshlrev_b64 v[70:71], 1, v[70:71]
	v_addc_co_u32_e32 v69, vcc, v10, v69, vcc
	v_lshlrev_b32_e32 v1, 16, v14
	v_and_b32_e32 v59, 0xffff0000, v14
	v_lshlrev_b32_e32 v60, 16, v13
	v_and_b32_e32 v14, 0xffff0000, v13
	;; [unrolled: 2-line block ×5, first 2 shown]
	s_waitcnt vmcnt(0)
	v_subrev_u32_e32 v22, s18, v43
	v_ashrrev_i32_e32 v73, 31, v72
	v_add_co_u32_e32 v70, vcc, s6, v70
	v_lshlrev_b32_e32 v74, 2, v22
	v_lshlrev_b64 v[72:73], 1, v[72:73]
	v_addc_co_u32_e32 v71, vcc, v10, v71, vcc
	v_ashrrev_i32_e32 v75, 31, v74
	v_add_co_u32_e32 v72, vcc, s6, v72
	v_lshlrev_b64 v[74:75], 1, v[74:75]
	v_addc_co_u32_e32 v73, vcc, v10, v73, vcc
	v_add_co_u32_e32 v74, vcc, s6, v74
	v_addc_co_u32_e32 v75, vcc, v10, v75, vcc
	global_load_dwordx2 v[76:77], v[68:69], off
	global_load_dwordx2 v[78:79], v[70:71], off
	;; [unrolled: 1-line block ×4, first 2 shown]
	v_lshlrev_b32_e32 v20, 16, v24
	v_and_b32_e32 v70, 0xffff0000, v24
	v_lshlrev_b32_e32 v24, 16, v28
	v_and_b32_e32 v74, 0xffff0000, v28
	;; [unrolled: 2-line block ×4, first 2 shown]
	v_lshlrev_b32_e32 v57, 16, v3
	v_lshlrev_b32_e32 v61, 16, v15
	v_and_b32_e32 v3, 0xffff0000, v3
	v_and_b32_e32 v15, 0xffff0000, v15
	v_lshlrev_b32_e32 v65, 16, v19
	v_lshlrev_b32_e32 v69, 16, v23
	;; [unrolled: 1-line block ×3, first 2 shown]
	v_and_b32_e32 v19, 0xffff0000, v19
	v_and_b32_e32 v23, 0xffff0000, v23
	;; [unrolled: 1-line block ×3, first 2 shown]
	v_lshlrev_b32_e32 v21, 16, v26
	v_and_b32_e32 v71, 0xffff0000, v26
	v_lshlrev_b32_e32 v72, 16, v25
	v_and_b32_e32 v26, 0xffff0000, v25
	;; [unrolled: 2-line block ×3, first 2 shown]
	v_lshlrev_b32_e32 v73, 16, v27
	v_lshlrev_b32_e32 v85, 16, v31
	;; [unrolled: 1-line block ×3, first 2 shown]
	v_and_b32_e32 v27, 0xffff0000, v27
	v_and_b32_e32 v31, 0xffff0000, v31
	;; [unrolled: 1-line block ×3, first 2 shown]
	v_lshlrev_b32_e32 v29, 16, v46
	v_and_b32_e32 v87, 0xffff0000, v46
	v_lshlrev_b32_e32 v88, 16, v45
	v_and_b32_e32 v46, 0xffff0000, v45
	;; [unrolled: 2-line block ×3, first 2 shown]
	v_lshlrev_b32_e32 v89, 16, v47
	v_lshlrev_b32_e32 v93, 16, v51
	v_lshlrev_b32_e32 v92, 16, v49
	v_and_b32_e32 v47, 0xffff0000, v47
	v_and_b32_e32 v51, 0xffff0000, v51
	;; [unrolled: 1-line block ×3, first 2 shown]
	s_waitcnt vmcnt(3)
	v_lshlrev_b32_e32 v48, 16, v76
	v_and_b32_e32 v76, 0xffff0000, v76
	v_pk_fma_f32 v[40:41], v[52:53], v[48:49], v[40:41] op_sel_hi:[1,0,1]
	v_pk_fma_f32 v[0:1], v[0:1], v[48:49], v[38:39] op_sel_hi:[1,0,1]
	v_lshlrev_b32_e32 v94, 16, v77
	v_pk_fma_f32 v[40:41], v[54:55], v[76:77], v[40:41] op_sel_hi:[1,0,1]
	v_pk_fma_f32 v[0:1], v[58:59], v[76:77], v[0:1] op_sel_hi:[1,0,1]
	v_and_b32_e32 v96, 0xffff0000, v77
	v_pk_fma_f32 v[40:41], v[56:57], v[94:95], v[40:41] op_sel_hi:[1,0,1]
	v_pk_fma_f32 v[0:1], v[60:61], v[94:95], v[0:1] op_sel_hi:[1,0,1]
	s_waitcnt vmcnt(2)
	v_lshlrev_b32_e32 v98, 16, v78
	v_pk_fma_f32 v[2:3], v[2:3], v[96:97], v[40:41] op_sel_hi:[1,0,1]
	v_pk_fma_f32 v[0:1], v[14:15], v[96:97], v[0:1] op_sel_hi:[1,0,1]
	v_and_b32_e32 v52, 0xffff0000, v78
	v_pk_fma_f32 v[2:3], v[12:13], v[98:99], v[2:3] op_sel_hi:[1,0,1]
	v_pk_fma_f32 v[0:1], v[16:17], v[98:99], v[0:1] op_sel_hi:[1,0,1]
	v_lshlrev_b32_e32 v38, 16, v79
	v_pk_fma_f32 v[2:3], v[62:63], v[52:53], v[2:3] op_sel_hi:[1,0,1]
	v_pk_fma_f32 v[0:1], v[66:67], v[52:53], v[0:1] op_sel_hi:[1,0,1]
	v_and_b32_e32 v48, 0xffff0000, v79
	v_pk_fma_f32 v[2:3], v[64:65], v[38:39], v[2:3] op_sel_hi:[1,0,1]
	v_pk_fma_f32 v[0:1], v[68:69], v[38:39], v[0:1] op_sel_hi:[1,0,1]
	s_waitcnt vmcnt(1)
	v_lshlrev_b32_e32 v78, 16, v80
	v_pk_fma_f32 v[2:3], v[18:19], v[48:49], v[2:3] op_sel_hi:[1,0,1]
	v_pk_fma_f32 v[0:1], v[22:23], v[48:49], v[0:1] op_sel_hi:[1,0,1]
	;; [unrolled: 13-line block ×3, first 2 shown]
	v_and_b32_e32 v56, 0xffff0000, v82
	v_pk_fma_f32 v[2:3], v[28:29], v[80:81], v[2:3] op_sel_hi:[1,0,1]
	v_pk_fma_f32 v[0:1], v[44:45], v[80:81], v[0:1] op_sel_hi:[1,0,1]
	v_lshlrev_b32_e32 v60, 16, v83
	v_pk_fma_f32 v[2:3], v[86:87], v[56:57], v[2:3] op_sel_hi:[1,0,1]
	v_pk_fma_f32 v[0:1], v[90:91], v[56:57], v[0:1] op_sel_hi:[1,0,1]
	v_and_b32_e32 v82, 0xffff0000, v83
	v_pk_fma_f32 v[2:3], v[88:89], v[60:61], v[2:3] op_sel_hi:[1,0,1]
	v_pk_fma_f32 v[0:1], v[92:93], v[60:61], v[0:1] op_sel_hi:[1,0,1]
	;; [unrolled: 1-line block ×4, first 2 shown]
	s_andn2_b64 exec, exec, s[14:15]
	s_cbranch_execnz .LBB105_21
; %bb.22:
	s_or_b64 exec, exec, s[14:15]
.LBB105_23:
	s_or_b64 exec, exec, s[10:11]
.LBB105_24:
	s_or_b64 exec, exec, s[8:9]
	s_cbranch_execz .LBB105_26
	s_branch .LBB105_37
.LBB105_25:
                                        ; implicit-def: $vgpr39
                                        ; implicit-def: $vgpr41
.LBB105_26:
	s_mov_b32 s10, 0
	v_mov_b32_e32 v39, 0
	v_mov_b32_e32 v38, 0
	v_mov_b32_e32 v41, 0
	v_mov_b32_e32 v40, 0
	s_and_saveexec_b64 s[8:9], s[0:1]
	s_cbranch_execz .LBB105_36
; %bb.27:
	v_add_u32_e32 v0, v8, v33
	v_subrev_u32_e32 v0, s18, v0
	v_add_u32_e32 v0, 4, v0
	v_max_i32_e32 v0, v0, v42
	v_not_b32_e32 v1, v8
	v_add3_u32 v0, v0, s18, v1
	v_sub_u32_e32 v0, v0, v33
	v_lshrrev_b32_e32 v1, 2, v0
	v_add_u32_e32 v1, 1, v1
	v_and_b32_e32 v1, 3, v1
	s_mov_b32 s11, s10
	v_cmp_ne_u32_e32 vcc, 0, v1
	v_pk_mov_b32 v[38:39], s[10:11], s[10:11] op_sel:[0,1]
	v_pk_mov_b32 v[40:41], s[10:11], s[10:11] op_sel:[0,1]
	s_and_saveexec_b64 s[0:1], vcc
	s_cbranch_execz .LBB105_31
; %bb.28:
	v_mov_b32_e32 v40, 0
	v_lshlrev_b32_e32 v1, 5, v1
	s_mov_b64 s[10:11], 0
	v_mov_b32_e32 v2, s13
	v_mov_b32_e32 v3, s7
	;; [unrolled: 1-line block ×5, first 2 shown]
.LBB105_29:                             ; =>This Inner Loop Header: Depth=1
	v_ashrrev_i32_e32 v35, 31, v34
	v_lshlrev_b64 v[4:5], 2, v[34:35]
	v_add_co_u32_e32 v8, vcc, s12, v4
	v_addc_co_u32_e32 v9, vcc, v2, v5, vcc
	global_load_dword v10, v[8:9], off
	global_load_dwordx4 v[4:7], v[36:37], off
	v_subrev_u32_e32 v1, 32, v1
	v_add_u32_e32 v34, 4, v34
	s_waitcnt vmcnt(1)
	v_subrev_u32_e32 v8, s18, v10
	v_lshlrev_b32_e32 v8, 2, v8
	v_ashrrev_i32_e32 v9, 31, v8
	v_lshlrev_b64 v[8:9], 1, v[8:9]
	v_add_co_u32_e32 v12, vcc, s6, v8
	v_addc_co_u32_e32 v13, vcc, v3, v9, vcc
	global_load_dwordx2 v[14:15], v[12:13], off
	global_load_dwordx4 v[8:11], v[36:37], off offset:16
	s_waitcnt vmcnt(2)
	v_and_b32_e32 v13, 0xffff0000, v4
	v_lshlrev_b32_e32 v12, 16, v4
	v_and_b32_e32 v23, 0xffff0000, v5
	v_lshlrev_b32_e32 v22, 16, v5
	v_add_co_u32_e32 v36, vcc, 0x80, v36
	v_and_b32_e32 v17, 0xffff0000, v6
	v_lshlrev_b32_e32 v16, 16, v6
	v_and_b32_e32 v5, 0xffff0000, v7
	v_lshlrev_b32_e32 v4, 16, v7
	v_addc_co_u32_e32 v37, vcc, 0, v37, vcc
	v_cmp_eq_u32_e32 vcc, 0, v1
	s_or_b64 s[10:11], vcc, s[10:11]
	s_waitcnt vmcnt(1)
	v_lshlrev_b32_e32 v24, 16, v15
	s_waitcnt vmcnt(0)
	v_and_b32_e32 v21, 0xffff0000, v10
	v_lshlrev_b32_e32 v20, 16, v10
	v_lshlrev_b32_e32 v10, 16, v14
	v_and_b32_e32 v19, 0xffff0000, v8
	v_lshlrev_b32_e32 v18, 16, v8
	v_and_b32_e32 v7, 0xffff0000, v9
	;; [unrolled: 2-line block ×4, first 2 shown]
	v_pk_fma_f32 v[12:13], v[12:13], v[10:11], v[40:41] op_sel_hi:[1,0,1]
	v_pk_fma_f32 v[10:11], v[22:23], v[10:11], v[38:39] op_sel_hi:[1,0,1]
	;; [unrolled: 1-line block ×4, first 2 shown]
	v_and_b32_e32 v26, 0xffff0000, v15
	v_pk_fma_f32 v[10:11], v[18:19], v[24:25], v[12:13] op_sel_hi:[1,0,1]
	v_pk_fma_f32 v[4:5], v[6:7], v[24:25], v[4:5] op_sel_hi:[1,0,1]
	;; [unrolled: 1-line block ×4, first 2 shown]
	s_andn2_b64 exec, exec, s[10:11]
	s_cbranch_execnz .LBB105_29
; %bb.30:
	s_or_b64 exec, exec, s[10:11]
.LBB105_31:
	s_or_b64 exec, exec, s[0:1]
	v_cmp_lt_u32_e32 vcc, 11, v0
	s_and_saveexec_b64 s[0:1], vcc
	s_cbranch_execz .LBB105_35
; %bb.32:
	s_mov_b64 s[10:11], 0
	v_mov_b32_e32 v43, s13
	v_mov_b32_e32 v44, s7
.LBB105_33:                             ; =>This Inner Loop Header: Depth=1
	global_load_dwordx4 v[0:3], v[36:37], off
	global_load_dwordx4 v[4:7], v[36:37], off offset:16
	global_load_dwordx4 v[12:15], v[36:37], off offset:128
	global_load_dwordx4 v[8:11], v[36:37], off offset:144
	global_load_dwordx4 v[16:19], v[36:37], off offset:256
	global_load_dwordx4 v[20:23], v[36:37], off offset:272
	global_load_dwordx4 v[28:31], v[36:37], off offset:384
	global_load_dwordx4 v[24:27], v[36:37], off offset:400
	v_ashrrev_i32_e32 v35, 31, v34
	v_add_co_u32_e32 v36, vcc, 0x200, v36
	v_lshlrev_b64 v[46:47], 2, v[34:35]
	v_addc_co_u32_e32 v37, vcc, 0, v37, vcc
	v_add_co_u32_e32 v46, vcc, s12, v46
	v_addc_co_u32_e32 v47, vcc, v43, v47, vcc
	global_load_dword v35, v[46:47], off
	global_load_dword v45, v[46:47], off offset:16
	global_load_dword v64, v[46:47], off offset:32
	global_load_dword v65, v[46:47], off offset:48
	v_add_u32_e32 v34, 16, v34
	v_cmp_ge_i32_e32 vcc, v34, v42
	s_or_b64 s[10:11], vcc, s[10:11]
	s_waitcnt vmcnt(11)
	v_and_b32_e32 v47, 0xffff0000, v0
	v_lshlrev_b32_e32 v46, 16, v0
	v_and_b32_e32 v49, 0xffff0000, v2
	s_waitcnt vmcnt(8)
	v_and_b32_e32 v59, 0xffff0000, v8
	v_lshlrev_b32_e32 v58, 16, v8
	v_lshlrev_b32_e32 v48, 16, v2
	v_and_b32_e32 v51, 0xffff0000, v4
	v_lshlrev_b32_e32 v50, 16, v4
	v_and_b32_e32 v53, 0xffff0000, v6
	v_lshlrev_b32_e32 v52, 16, v6
	v_and_b32_e32 v55, 0xffff0000, v1
	v_lshlrev_b32_e32 v54, 16, v1
	v_and_b32_e32 v1, 0xffff0000, v3
	v_lshlrev_b32_e32 v0, 16, v3
	v_and_b32_e32 v3, 0xffff0000, v5
	s_waitcnt vmcnt(3)
	v_subrev_u32_e32 v8, s18, v35
	v_lshlrev_b32_e32 v2, 16, v5
	v_and_b32_e32 v5, 0xffff0000, v7
	v_lshlrev_b32_e32 v4, 16, v7
	v_and_b32_e32 v7, 0xffff0000, v12
	;; [unrolled: 2-line block ×5, first 2 shown]
	v_lshlrev_b32_e32 v12, 16, v15
	s_waitcnt vmcnt(1)
	v_subrev_u32_e32 v15, s18, v64
	v_lshlrev_b32_e32 v14, 2, v8
	v_and_b32_e32 v61, 0xffff0000, v10
	v_lshlrev_b32_e32 v60, 16, v10
	v_subrev_u32_e32 v10, s18, v45
	v_lshlrev_b32_e32 v66, 2, v15
	v_ashrrev_i32_e32 v15, 31, v14
	v_lshlrev_b32_e32 v64, 2, v10
	v_lshlrev_b64 v[14:15], 1, v[14:15]
	s_waitcnt vmcnt(0)
	v_subrev_u32_e32 v35, s18, v65
	v_ashrrev_i32_e32 v65, 31, v64
	v_add_co_u32_e32 v14, vcc, s6, v14
	v_lshlrev_b64 v[64:65], 1, v[64:65]
	v_addc_co_u32_e32 v15, vcc, v44, v15, vcc
	v_ashrrev_i32_e32 v67, 31, v66
	v_add_co_u32_e32 v64, vcc, s6, v64
	v_lshlrev_b32_e32 v68, 2, v35
	v_lshlrev_b64 v[66:67], 1, v[66:67]
	v_addc_co_u32_e32 v65, vcc, v44, v65, vcc
	v_ashrrev_i32_e32 v69, 31, v68
	v_add_co_u32_e32 v66, vcc, s6, v66
	v_lshlrev_b64 v[68:69], 1, v[68:69]
	v_addc_co_u32_e32 v67, vcc, v44, v67, vcc
	v_add_co_u32_e32 v68, vcc, s6, v68
	v_addc_co_u32_e32 v69, vcc, v44, v69, vcc
	global_load_dwordx2 v[70:71], v[14:15], off
	global_load_dwordx2 v[72:73], v[64:65], off
	;; [unrolled: 1-line block ×4, first 2 shown]
	v_and_b32_e32 v85, 0xffff0000, v26
	v_lshlrev_b32_e32 v84, 16, v26
	v_and_b32_e32 v15, 0xffff0000, v9
	v_lshlrev_b32_e32 v14, 16, v9
	;; [unrolled: 2-line block ×18, first 2 shown]
	s_waitcnt vmcnt(3)
	v_lshlrev_b32_e32 v26, 16, v70
	v_and_b32_e32 v70, 0xffff0000, v70
	v_pk_fma_f32 v[40:41], v[46:47], v[26:27], v[40:41] op_sel_hi:[1,0,1]
	v_pk_fma_f32 v[26:27], v[54:55], v[26:27], v[38:39] op_sel_hi:[1,0,1]
	v_lshlrev_b32_e32 v88, 16, v71
	v_pk_fma_f32 v[40:41], v[48:49], v[70:71], v[40:41] op_sel_hi:[1,0,1]
	v_pk_fma_f32 v[0:1], v[0:1], v[70:71], v[26:27] op_sel_hi:[1,0,1]
	v_and_b32_e32 v90, 0xffff0000, v71
	v_pk_fma_f32 v[40:41], v[50:51], v[88:89], v[40:41] op_sel_hi:[1,0,1]
	v_pk_fma_f32 v[0:1], v[2:3], v[88:89], v[0:1] op_sel_hi:[1,0,1]
	s_waitcnt vmcnt(2)
	v_lshlrev_b32_e32 v92, 16, v72
	v_pk_fma_f32 v[40:41], v[52:53], v[90:91], v[40:41] op_sel_hi:[1,0,1]
	v_pk_fma_f32 v[0:1], v[4:5], v[90:91], v[0:1] op_sel_hi:[1,0,1]
	v_and_b32_e32 v46, 0xffff0000, v72
	v_pk_fma_f32 v[4:5], v[6:7], v[92:93], v[40:41] op_sel_hi:[1,0,1]
	v_pk_fma_f32 v[0:1], v[62:63], v[92:93], v[0:1] op_sel_hi:[1,0,1]
	v_lshlrev_b32_e32 v38, 16, v73
	v_pk_fma_f32 v[4:5], v[56:57], v[46:47], v[4:5] op_sel_hi:[1,0,1]
	v_pk_fma_f32 v[0:1], v[12:13], v[46:47], v[0:1] op_sel_hi:[1,0,1]
	v_and_b32_e32 v54, 0xffff0000, v73
	v_pk_fma_f32 v[4:5], v[58:59], v[38:39], v[4:5] op_sel_hi:[1,0,1]
	v_pk_fma_f32 v[0:1], v[14:15], v[38:39], v[0:1] op_sel_hi:[1,0,1]
	s_waitcnt vmcnt(1)
	v_lshlrev_b32_e32 v72, 16, v74
	v_pk_fma_f32 v[4:5], v[60:61], v[54:55], v[4:5] op_sel_hi:[1,0,1]
	v_pk_fma_f32 v[0:1], v[8:9], v[54:55], v[0:1] op_sel_hi:[1,0,1]
	;; [unrolled: 13-line block ×3, first 2 shown]
	v_and_b32_e32 v50, 0xffff0000, v76
	v_pk_fma_f32 v[4:5], v[22:23], v[74:75], v[4:5] op_sel_hi:[1,0,1]
	v_pk_fma_f32 v[0:1], v[82:83], v[74:75], v[0:1] op_sel_hi:[1,0,1]
	v_lshlrev_b32_e32 v2, 16, v77
	v_pk_fma_f32 v[4:5], v[80:81], v[50:51], v[4:5] op_sel_hi:[1,0,1]
	v_pk_fma_f32 v[0:1], v[28:29], v[50:51], v[0:1] op_sel_hi:[1,0,1]
	v_and_b32_e32 v76, 0xffff0000, v77
	v_pk_fma_f32 v[4:5], v[30:31], v[2:3], v[4:5] op_sel_hi:[1,0,1]
	v_pk_fma_f32 v[0:1], v[86:87], v[2:3], v[0:1] op_sel_hi:[1,0,1]
	;; [unrolled: 1-line block ×4, first 2 shown]
	s_andn2_b64 exec, exec, s[10:11]
	s_cbranch_execnz .LBB105_33
; %bb.34:
	s_or_b64 exec, exec, s[10:11]
.LBB105_35:
	s_or_b64 exec, exec, s[0:1]
.LBB105_36:
	s_or_b64 exec, exec, s[8:9]
.LBB105_37:
	v_mov_b32_dpp v0, v40 row_shr:1 row_mask:0xf bank_mask:0xf
	v_mov_b32_dpp v1, v41 row_shr:1 row_mask:0xf bank_mask:0xf
	;; [unrolled: 1-line block ×4, first 2 shown]
	v_pk_add_f32 v[0:1], v[40:41], v[0:1]
	v_pk_add_f32 v[4:5], v[38:39], v[4:5]
	v_cmp_eq_u32_e32 vcc, 3, v33
	v_mov_b32_dpp v2, v0 row_shr:2 row_mask:0xf bank_mask:0xf
	v_mov_b32_dpp v3, v1 row_shr:2 row_mask:0xf bank_mask:0xf
	;; [unrolled: 1-line block ×4, first 2 shown]
	s_and_b64 exec, exec, vcc
	s_cbranch_execz .LBB105_10
; %bb.38:
	s_load_dwordx2 s[0:1], s[4:5], 0x50
	v_cmp_eq_f32_e64 s[4:5], s16, 0
	v_pk_add_f32 v[2:3], v[0:1], v[2:3]
	v_pk_add_f32 v[0:1], v[4:5], v[6:7]
	s_and_b64 vcc, exec, s[4:5]
	v_lshlrev_b32_e32 v4, 2, v32
	s_cbranch_vccz .LBB105_40
; %bb.39:
	v_ashrrev_i32_e32 v5, 31, v4
	v_lshlrev_b64 v[6:7], 2, v[4:5]
	s_waitcnt lgkmcnt(0)
	v_mov_b32_e32 v5, s1
	v_add_co_u32_e32 v10, vcc, s0, v6
	v_addc_co_u32_e32 v11, vcc, v5, v7, vcc
	v_pk_mul_f32 v[6:7], s[2:3], v[2:3] op_sel_hi:[0,1]
	v_pk_mul_f32 v[8:9], s[2:3], v[0:1] op_sel_hi:[0,1]
	global_store_dwordx4 v[10:11], v[6:9], off
	s_cbranch_execnz .LBB105_10
	s_branch .LBB105_41
.LBB105_40:
.LBB105_41:
	v_ashrrev_i32_e32 v5, 31, v4
	v_lshlrev_b64 v[4:5], 2, v[4:5]
	s_waitcnt lgkmcnt(0)
	v_mov_b32_e32 v6, s1
	v_add_co_u32_e32 v8, vcc, s0, v4
	v_addc_co_u32_e32 v9, vcc, v6, v5, vcc
	global_load_dwordx4 v[4:7], v[8:9], off
	v_pk_mul_f32 v[2:3], s[2:3], v[2:3] op_sel_hi:[0,1]
	v_pk_mul_f32 v[10:11], s[2:3], v[0:1] op_sel_hi:[0,1]
	s_waitcnt vmcnt(0)
	v_pk_fma_f32 v[0:1], s[16:17], v[4:5], v[2:3] op_sel_hi:[0,1,1]
	v_pk_fma_f32 v[2:3], s[16:17], v[6:7], v[10:11] op_sel_hi:[0,1,1]
	global_store_dwordx4 v[8:9], v[0:3], off
	s_endpgm
	.section	.rodata,"a",@progbits
	.p2align	6, 0x0
	.amdhsa_kernel _ZN9rocsparseL18bsrxmvn_4x4_kernelILj128ELj4Efii18rocsparse_bfloat16S1_fEEvT3_20rocsparse_direction_NS_24const_host_device_scalarIT1_EES2_PKS2_PKT2_SB_S8_PKT4_PKT5_S6_PT6_21rocsparse_index_base_b
		.amdhsa_group_segment_fixed_size 0
		.amdhsa_private_segment_fixed_size 0
		.amdhsa_kernarg_size 96
		.amdhsa_user_sgpr_count 6
		.amdhsa_user_sgpr_private_segment_buffer 1
		.amdhsa_user_sgpr_dispatch_ptr 0
		.amdhsa_user_sgpr_queue_ptr 0
		.amdhsa_user_sgpr_kernarg_segment_ptr 1
		.amdhsa_user_sgpr_dispatch_id 0
		.amdhsa_user_sgpr_flat_scratch_init 0
		.amdhsa_user_sgpr_kernarg_preload_length 0
		.amdhsa_user_sgpr_kernarg_preload_offset 0
		.amdhsa_user_sgpr_private_segment_size 0
		.amdhsa_uses_dynamic_stack 0
		.amdhsa_system_sgpr_private_segment_wavefront_offset 0
		.amdhsa_system_sgpr_workgroup_id_x 1
		.amdhsa_system_sgpr_workgroup_id_y 0
		.amdhsa_system_sgpr_workgroup_id_z 0
		.amdhsa_system_sgpr_workgroup_info 0
		.amdhsa_system_vgpr_workitem_id 0
		.amdhsa_next_free_vgpr 100
		.amdhsa_next_free_sgpr 20
		.amdhsa_accum_offset 100
		.amdhsa_reserve_vcc 1
		.amdhsa_reserve_flat_scratch 0
		.amdhsa_float_round_mode_32 0
		.amdhsa_float_round_mode_16_64 0
		.amdhsa_float_denorm_mode_32 3
		.amdhsa_float_denorm_mode_16_64 3
		.amdhsa_dx10_clamp 1
		.amdhsa_ieee_mode 1
		.amdhsa_fp16_overflow 0
		.amdhsa_tg_split 0
		.amdhsa_exception_fp_ieee_invalid_op 0
		.amdhsa_exception_fp_denorm_src 0
		.amdhsa_exception_fp_ieee_div_zero 0
		.amdhsa_exception_fp_ieee_overflow 0
		.amdhsa_exception_fp_ieee_underflow 0
		.amdhsa_exception_fp_ieee_inexact 0
		.amdhsa_exception_int_div_zero 0
	.end_amdhsa_kernel
	.section	.text._ZN9rocsparseL18bsrxmvn_4x4_kernelILj128ELj4Efii18rocsparse_bfloat16S1_fEEvT3_20rocsparse_direction_NS_24const_host_device_scalarIT1_EES2_PKS2_PKT2_SB_S8_PKT4_PKT5_S6_PT6_21rocsparse_index_base_b,"axG",@progbits,_ZN9rocsparseL18bsrxmvn_4x4_kernelILj128ELj4Efii18rocsparse_bfloat16S1_fEEvT3_20rocsparse_direction_NS_24const_host_device_scalarIT1_EES2_PKS2_PKT2_SB_S8_PKT4_PKT5_S6_PT6_21rocsparse_index_base_b,comdat
.Lfunc_end105:
	.size	_ZN9rocsparseL18bsrxmvn_4x4_kernelILj128ELj4Efii18rocsparse_bfloat16S1_fEEvT3_20rocsparse_direction_NS_24const_host_device_scalarIT1_EES2_PKS2_PKT2_SB_S8_PKT4_PKT5_S6_PT6_21rocsparse_index_base_b, .Lfunc_end105-_ZN9rocsparseL18bsrxmvn_4x4_kernelILj128ELj4Efii18rocsparse_bfloat16S1_fEEvT3_20rocsparse_direction_NS_24const_host_device_scalarIT1_EES2_PKS2_PKT2_SB_S8_PKT4_PKT5_S6_PT6_21rocsparse_index_base_b
                                        ; -- End function
	.section	.AMDGPU.csdata,"",@progbits
; Kernel info:
; codeLenInByte = 3868
; NumSgprs: 24
; NumVgprs: 100
; NumAgprs: 0
; TotalNumVgprs: 100
; ScratchSize: 0
; MemoryBound: 0
; FloatMode: 240
; IeeeMode: 1
; LDSByteSize: 0 bytes/workgroup (compile time only)
; SGPRBlocks: 2
; VGPRBlocks: 12
; NumSGPRsForWavesPerEU: 24
; NumVGPRsForWavesPerEU: 100
; AccumOffset: 100
; Occupancy: 4
; WaveLimiterHint : 1
; COMPUTE_PGM_RSRC2:SCRATCH_EN: 0
; COMPUTE_PGM_RSRC2:USER_SGPR: 6
; COMPUTE_PGM_RSRC2:TRAP_HANDLER: 0
; COMPUTE_PGM_RSRC2:TGID_X_EN: 1
; COMPUTE_PGM_RSRC2:TGID_Y_EN: 0
; COMPUTE_PGM_RSRC2:TGID_Z_EN: 0
; COMPUTE_PGM_RSRC2:TIDIG_COMP_CNT: 0
; COMPUTE_PGM_RSRC3_GFX90A:ACCUM_OFFSET: 24
; COMPUTE_PGM_RSRC3_GFX90A:TG_SPLIT: 0
	.section	.text._ZN9rocsparseL18bsrxmvn_4x4_kernelILj128ELj8Efii18rocsparse_bfloat16S1_fEEvT3_20rocsparse_direction_NS_24const_host_device_scalarIT1_EES2_PKS2_PKT2_SB_S8_PKT4_PKT5_S6_PT6_21rocsparse_index_base_b,"axG",@progbits,_ZN9rocsparseL18bsrxmvn_4x4_kernelILj128ELj8Efii18rocsparse_bfloat16S1_fEEvT3_20rocsparse_direction_NS_24const_host_device_scalarIT1_EES2_PKS2_PKT2_SB_S8_PKT4_PKT5_S6_PT6_21rocsparse_index_base_b,comdat
	.globl	_ZN9rocsparseL18bsrxmvn_4x4_kernelILj128ELj8Efii18rocsparse_bfloat16S1_fEEvT3_20rocsparse_direction_NS_24const_host_device_scalarIT1_EES2_PKS2_PKT2_SB_S8_PKT4_PKT5_S6_PT6_21rocsparse_index_base_b ; -- Begin function _ZN9rocsparseL18bsrxmvn_4x4_kernelILj128ELj8Efii18rocsparse_bfloat16S1_fEEvT3_20rocsparse_direction_NS_24const_host_device_scalarIT1_EES2_PKS2_PKT2_SB_S8_PKT4_PKT5_S6_PT6_21rocsparse_index_base_b
	.p2align	8
	.type	_ZN9rocsparseL18bsrxmvn_4x4_kernelILj128ELj8Efii18rocsparse_bfloat16S1_fEEvT3_20rocsparse_direction_NS_24const_host_device_scalarIT1_EES2_PKS2_PKT2_SB_S8_PKT4_PKT5_S6_PT6_21rocsparse_index_base_b,@function
_ZN9rocsparseL18bsrxmvn_4x4_kernelILj128ELj8Efii18rocsparse_bfloat16S1_fEEvT3_20rocsparse_direction_NS_24const_host_device_scalarIT1_EES2_PKS2_PKT2_SB_S8_PKT4_PKT5_S6_PT6_21rocsparse_index_base_b: ; @_ZN9rocsparseL18bsrxmvn_4x4_kernelILj128ELj8Efii18rocsparse_bfloat16S1_fEEvT3_20rocsparse_direction_NS_24const_host_device_scalarIT1_EES2_PKS2_PKT2_SB_S8_PKT4_PKT5_S6_PT6_21rocsparse_index_base_b
; %bb.0:
	s_load_dwordx2 s[18:19], s[4:5], 0x58
	s_load_dwordx2 s[2:3], s[4:5], 0x8
	;; [unrolled: 1-line block ×3, first 2 shown]
	s_waitcnt lgkmcnt(0)
	s_bitcmp1_b32 s19, 0
	s_cselect_b64 s[8:9], -1, 0
	s_xor_b64 s[0:1], s[8:9], -1
	s_and_b64 vcc, exec, s[8:9]
	s_cbranch_vccnz .LBB106_2
; %bb.1:
	s_load_dword s2, s[2:3], 0x0
.LBB106_2:
	s_andn2_b64 vcc, exec, s[0:1]
	s_cbranch_vccnz .LBB106_4
; %bb.3:
	s_load_dword s16, s[16:17], 0x0
.LBB106_4:
	s_waitcnt lgkmcnt(0)
	v_cmp_neq_f32_e64 s[0:1], s2, 0
	v_cmp_neq_f32_e64 s[8:9], s16, 1.0
	s_or_b64 s[0:1], s[0:1], s[8:9]
	s_andn2_b64 vcc, exec, s[0:1]
	s_cbranch_vccnz .LBB106_10
; %bb.5:
	s_load_dwordx2 s[8:9], s[4:5], 0x18
	s_load_dwordx2 s[0:1], s[4:5], 0x0
	v_lshrrev_b32_e32 v1, 3, v0
	v_lshl_or_b32 v32, s6, 4, v1
	s_mov_b64 s[6:7], 0
	s_waitcnt lgkmcnt(0)
	s_cmp_lg_u64 s[8:9], 0
	s_cbranch_scc0 .LBB106_11
; %bb.6:
	s_load_dword s3, s[4:5], 0x10
                                        ; implicit-def: $vgpr1
	s_waitcnt lgkmcnt(0)
	v_cmp_gt_i32_e32 vcc, s3, v32
	s_and_saveexec_b64 s[10:11], vcc
	s_xor_b64 s[10:11], exec, s[10:11]
	s_cbranch_execz .LBB106_8
; %bb.7:
	v_ashrrev_i32_e32 v33, 31, v32
	v_lshlrev_b64 v[2:3], 2, v[32:33]
	v_mov_b32_e32 v1, s9
	v_add_co_u32_e32 v2, vcc, s8, v2
	v_addc_co_u32_e32 v3, vcc, v1, v3, vcc
	global_load_dword v1, v[2:3], off
	s_mov_b64 s[6:7], exec
	s_waitcnt vmcnt(0)
	v_subrev_u32_e32 v1, s18, v1
.LBB106_8:
	s_or_b64 exec, exec, s[10:11]
	s_branch .LBB106_12
.LBB106_9:
	v_cmp_gt_i32_e32 vcc, s0, v32
	s_andn2_b64 s[6:7], s[6:7], exec
	s_and_b64 s[8:9], vcc, exec
	s_or_b64 s[6:7], s[6:7], s[8:9]
	s_and_saveexec_b64 s[8:9], s[6:7]
	s_cbranch_execnz .LBB106_13
.LBB106_10:
	s_endpgm
.LBB106_11:
                                        ; implicit-def: $vgpr1
	s_cbranch_execnz .LBB106_9
.LBB106_12:
	v_mov_b32_e32 v32, v1
	s_and_saveexec_b64 s[8:9], s[6:7]
	s_cbranch_execz .LBB106_10
.LBB106_13:
	s_load_dwordx8 s[8:15], s[4:5], 0x20
	v_ashrrev_i32_e32 v33, 31, v32
	v_lshlrev_b64 v[2:3], 2, v[32:33]
	v_and_b32_e32 v33, 7, v0
	s_load_dwordx2 s[6:7], s[4:5], 0x40
	s_waitcnt lgkmcnt(0)
	v_mov_b32_e32 v1, s9
	v_add_co_u32_e32 v4, vcc, s8, v2
	v_addc_co_u32_e32 v5, vcc, v1, v3, vcc
	v_add_co_u32_e32 v1, vcc, 4, v4
	global_load_dword v8, v[4:5], off
	v_addc_co_u32_e32 v4, vcc, 0, v5, vcc
	v_mov_b32_e32 v5, s11
	v_add_co_u32_e32 v2, vcc, s10, v2
	s_cmp_eq_u64 s[10:11], 0
	v_addc_co_u32_e32 v3, vcc, v5, v3, vcc
	s_cselect_b64 vcc, -1, 0
	v_cndmask_b32_e32 v3, v3, v4, vcc
	v_cndmask_b32_e32 v2, v2, v1, vcc
	global_load_dword v1, v[2:3], off
	v_mov_b32_e32 v2, s15
	s_cmp_eq_u32 s1, 1
	s_waitcnt vmcnt(1)
	v_subrev_u32_e32 v0, s18, v8
	v_add_u32_e32 v34, v0, v33
	v_ashrrev_i32_e32 v35, 31, v34
	s_waitcnt vmcnt(0)
	v_subrev_u32_e32 v42, s18, v1
	v_lshlrev_b64 v[0:1], 5, v[34:35]
	v_add_co_u32_e32 v36, vcc, s14, v0
	v_addc_co_u32_e32 v37, vcc, v2, v1, vcc
	v_cmp_lt_i32_e64 s[0:1], v34, v42
	s_cbranch_scc1 .LBB106_25
; %bb.14:
	s_mov_b32 s10, 0
	v_mov_b32_e32 v39, 0
	v_mov_b32_e32 v38, 0
	;; [unrolled: 1-line block ×4, first 2 shown]
	s_and_saveexec_b64 s[8:9], s[0:1]
	s_cbranch_execz .LBB106_24
; %bb.15:
	v_add_u32_e32 v0, v8, v33
	v_subrev_u32_e32 v0, s18, v0
	v_add_u32_e32 v0, 8, v0
	v_max_i32_e32 v0, v0, v42
	v_not_b32_e32 v1, v8
	v_add3_u32 v0, v0, s18, v1
	v_sub_u32_e32 v0, v0, v33
	v_lshrrev_b32_e32 v1, 3, v0
	v_add_u32_e32 v1, 1, v1
	v_and_b32_e32 v1, 3, v1
	s_mov_b32 s11, s10
	v_cmp_ne_u32_e32 vcc, 0, v1
	v_pk_mov_b32 v[38:39], s[10:11], s[10:11] op_sel:[0,1]
	v_pk_mov_b32 v[40:41], s[10:11], s[10:11] op_sel:[0,1]
	v_mov_b32_e32 v4, v34
	v_pk_mov_b32 v[6:7], v[36:37], v[36:37] op_sel:[0,1]
	s_and_saveexec_b64 s[10:11], vcc
	s_cbranch_execz .LBB106_19
; %bb.16:
	v_mov_b32_e32 v40, 0
	v_lshlrev_b32_e32 v1, 5, v1
	s_mov_b64 s[14:15], 0
	v_mov_b32_e32 v2, s13
	v_mov_b32_e32 v3, s7
	v_pk_mov_b32 v[6:7], v[36:37], v[36:37] op_sel:[0,1]
	v_mov_b32_e32 v4, v34
	v_mov_b32_e32 v41, v40
	;; [unrolled: 1-line block ×4, first 2 shown]
.LBB106_17:                             ; =>This Inner Loop Header: Depth=1
	v_ashrrev_i32_e32 v5, 31, v4
	v_lshlrev_b64 v[10:11], 2, v[4:5]
	v_add_co_u32_e32 v18, vcc, s12, v10
	v_addc_co_u32_e32 v19, vcc, v2, v11, vcc
	global_load_dword v5, v[18:19], off
	global_load_dwordx4 v[10:13], v[6:7], off
	global_load_dwordx4 v[14:17], v[6:7], off offset:16
	v_subrev_u32_e32 v1, 32, v1
	v_add_u32_e32 v4, 8, v4
	s_waitcnt vmcnt(2)
	v_subrev_u32_e32 v5, s18, v5
	v_lshlrev_b32_e32 v18, 2, v5
	v_ashrrev_i32_e32 v19, 31, v18
	v_lshlrev_b64 v[18:19], 1, v[18:19]
	v_add_co_u32_e32 v18, vcc, s6, v18
	v_addc_co_u32_e32 v19, vcc, v3, v19, vcc
	global_load_dwordx2 v[18:19], v[18:19], off
	s_waitcnt vmcnt(2)
	v_lshlrev_b32_e32 v20, 16, v10
	v_lshlrev_b32_e32 v21, 16, v12
	v_and_b32_e32 v23, 0xffff0000, v12
	v_and_b32_e32 v22, 0xffff0000, v10
	v_lshlrev_b32_e32 v24, 16, v11
	v_and_b32_e32 v12, 0xffff0000, v11
	s_waitcnt vmcnt(1)
	v_lshlrev_b32_e32 v10, 16, v14
	v_lshlrev_b32_e32 v11, 16, v16
	v_and_b32_e32 v26, 0xffff0000, v14
	v_add_co_u32_e32 v6, vcc, 0x100, v6
	v_and_b32_e32 v27, 0xffff0000, v16
	v_addc_co_u32_e32 v7, vcc, 0, v7, vcc
	v_lshlrev_b32_e32 v25, 16, v13
	v_lshlrev_b32_e32 v29, 16, v17
	;; [unrolled: 1-line block ×3, first 2 shown]
	v_and_b32_e32 v16, 0xffff0000, v15
	v_cmp_eq_u32_e32 vcc, 0, v1
	v_and_b32_e32 v13, 0xffff0000, v13
	v_and_b32_e32 v17, 0xffff0000, v17
	s_or_b64 s[14:15], vcc, s[14:15]
	s_waitcnt vmcnt(0)
	v_lshlrev_b32_e32 v14, 16, v18
	v_and_b32_e32 v18, 0xffff0000, v18
	v_pk_fma_f32 v[20:21], v[20:21], v[14:15], v[40:41] op_sel_hi:[1,0,1]
	v_pk_fma_f32 v[10:11], v[10:11], v[14:15], v[38:39] op_sel_hi:[1,0,1]
	v_lshlrev_b32_e32 v30, 16, v19
	v_pk_fma_f32 v[14:15], v[22:23], v[18:19], v[20:21] op_sel_hi:[1,0,1]
	v_pk_fma_f32 v[10:11], v[26:27], v[18:19], v[10:11] op_sel_hi:[1,0,1]
	v_and_b32_e32 v44, 0xffff0000, v19
	v_pk_fma_f32 v[14:15], v[24:25], v[30:31], v[14:15] op_sel_hi:[1,0,1]
	v_pk_fma_f32 v[10:11], v[28:29], v[30:31], v[10:11] op_sel_hi:[1,0,1]
	;; [unrolled: 1-line block ×4, first 2 shown]
	s_andn2_b64 exec, exec, s[14:15]
	s_cbranch_execnz .LBB106_17
; %bb.18:
	s_or_b64 exec, exec, s[14:15]
.LBB106_19:
	s_or_b64 exec, exec, s[10:11]
	v_cmp_lt_u32_e32 vcc, 23, v0
	s_and_saveexec_b64 s[10:11], vcc
	s_cbranch_execz .LBB106_23
; %bb.20:
	s_mov_b64 s[14:15], 0
	v_mov_b32_e32 v9, s13
	v_mov_b32_e32 v10, s7
.LBB106_21:                             ; =>This Inner Loop Header: Depth=1
	global_load_dwordx4 v[0:3], v[6:7], off
	global_load_dwordx4 v[12:15], v[6:7], off offset:16
	v_ashrrev_i32_e32 v5, 31, v4
	global_load_dwordx4 v[16:19], v[6:7], off offset:256
	global_load_dwordx4 v[20:23], v[6:7], off offset:272
	;; [unrolled: 1-line block ×6, first 2 shown]
	v_add_co_u32_e32 v6, vcc, 0x400, v6
	v_lshlrev_b64 v[52:53], 2, v[4:5]
	v_addc_co_u32_e32 v7, vcc, 0, v7, vcc
	v_add_co_u32_e32 v52, vcc, s12, v52
	v_addc_co_u32_e32 v53, vcc, v9, v53, vcc
	global_load_dword v5, v[52:53], off
	global_load_dword v11, v[52:53], off offset:32
	global_load_dword v35, v[52:53], off offset:64
	;; [unrolled: 1-line block ×3, first 2 shown]
	v_add_u32_e32 v4, 32, v4
	v_cmp_ge_i32_e32 vcc, v4, v42
	s_or_b64 s[14:15], vcc, s[14:15]
	s_waitcnt vmcnt(9)
	v_and_b32_e32 v62, 0xffff0000, v16
	s_waitcnt vmcnt(8)
	v_and_b32_e32 v66, 0xffff0000, v20
	v_lshlrev_b32_e32 v52, 16, v0
	v_and_b32_e32 v54, 0xffff0000, v0
	v_lshlrev_b32_e32 v0, 16, v12
	;; [unrolled: 2-line block ×3, first 2 shown]
	v_lshlrev_b32_e32 v16, 16, v20
	v_lshlrev_b32_e32 v53, 16, v2
	v_and_b32_e32 v55, 0xffff0000, v2
	v_lshlrev_b32_e32 v56, 16, v1
	v_and_b32_e32 v2, 0xffff0000, v1
	s_waitcnt vmcnt(3)
	v_subrev_u32_e32 v5, s18, v5
	v_lshlrev_b32_e32 v68, 2, v5
	s_waitcnt vmcnt(2)
	v_subrev_u32_e32 v11, s18, v11
	v_ashrrev_i32_e32 v69, 31, v68
	v_lshlrev_b32_e32 v70, 2, v11
	v_lshlrev_b64 v[68:69], 1, v[68:69]
	s_waitcnt vmcnt(1)
	v_subrev_u32_e32 v20, s18, v35
	v_ashrrev_i32_e32 v71, 31, v70
	v_add_co_u32_e32 v68, vcc, s6, v68
	v_lshlrev_b32_e32 v72, 2, v20
	v_lshlrev_b64 v[70:71], 1, v[70:71]
	v_addc_co_u32_e32 v69, vcc, v10, v69, vcc
	v_lshlrev_b32_e32 v1, 16, v14
	v_and_b32_e32 v59, 0xffff0000, v14
	v_lshlrev_b32_e32 v60, 16, v13
	v_and_b32_e32 v14, 0xffff0000, v13
	;; [unrolled: 2-line block ×5, first 2 shown]
	s_waitcnt vmcnt(0)
	v_subrev_u32_e32 v22, s18, v43
	v_ashrrev_i32_e32 v73, 31, v72
	v_add_co_u32_e32 v70, vcc, s6, v70
	v_lshlrev_b32_e32 v74, 2, v22
	v_lshlrev_b64 v[72:73], 1, v[72:73]
	v_addc_co_u32_e32 v71, vcc, v10, v71, vcc
	v_ashrrev_i32_e32 v75, 31, v74
	v_add_co_u32_e32 v72, vcc, s6, v72
	v_lshlrev_b64 v[74:75], 1, v[74:75]
	v_addc_co_u32_e32 v73, vcc, v10, v73, vcc
	v_add_co_u32_e32 v74, vcc, s6, v74
	v_addc_co_u32_e32 v75, vcc, v10, v75, vcc
	global_load_dwordx2 v[76:77], v[68:69], off
	global_load_dwordx2 v[78:79], v[70:71], off
	;; [unrolled: 1-line block ×4, first 2 shown]
	v_lshlrev_b32_e32 v20, 16, v24
	v_and_b32_e32 v70, 0xffff0000, v24
	v_lshlrev_b32_e32 v24, 16, v28
	v_and_b32_e32 v74, 0xffff0000, v28
	;; [unrolled: 2-line block ×4, first 2 shown]
	v_lshlrev_b32_e32 v57, 16, v3
	v_lshlrev_b32_e32 v61, 16, v15
	v_and_b32_e32 v3, 0xffff0000, v3
	v_and_b32_e32 v15, 0xffff0000, v15
	v_lshlrev_b32_e32 v65, 16, v19
	v_lshlrev_b32_e32 v69, 16, v23
	;; [unrolled: 1-line block ×3, first 2 shown]
	v_and_b32_e32 v19, 0xffff0000, v19
	v_and_b32_e32 v23, 0xffff0000, v23
	;; [unrolled: 1-line block ×3, first 2 shown]
	v_lshlrev_b32_e32 v21, 16, v26
	v_and_b32_e32 v71, 0xffff0000, v26
	v_lshlrev_b32_e32 v72, 16, v25
	v_and_b32_e32 v26, 0xffff0000, v25
	;; [unrolled: 2-line block ×3, first 2 shown]
	v_lshlrev_b32_e32 v73, 16, v27
	v_lshlrev_b32_e32 v85, 16, v31
	;; [unrolled: 1-line block ×3, first 2 shown]
	v_and_b32_e32 v27, 0xffff0000, v27
	v_and_b32_e32 v31, 0xffff0000, v31
	;; [unrolled: 1-line block ×3, first 2 shown]
	v_lshlrev_b32_e32 v29, 16, v46
	v_and_b32_e32 v87, 0xffff0000, v46
	v_lshlrev_b32_e32 v88, 16, v45
	v_and_b32_e32 v46, 0xffff0000, v45
	;; [unrolled: 2-line block ×3, first 2 shown]
	v_lshlrev_b32_e32 v89, 16, v47
	v_lshlrev_b32_e32 v93, 16, v51
	;; [unrolled: 1-line block ×3, first 2 shown]
	v_and_b32_e32 v47, 0xffff0000, v47
	v_and_b32_e32 v51, 0xffff0000, v51
	;; [unrolled: 1-line block ×3, first 2 shown]
	s_waitcnt vmcnt(3)
	v_lshlrev_b32_e32 v48, 16, v76
	v_and_b32_e32 v76, 0xffff0000, v76
	v_pk_fma_f32 v[40:41], v[52:53], v[48:49], v[40:41] op_sel_hi:[1,0,1]
	v_pk_fma_f32 v[0:1], v[0:1], v[48:49], v[38:39] op_sel_hi:[1,0,1]
	v_lshlrev_b32_e32 v94, 16, v77
	v_pk_fma_f32 v[40:41], v[54:55], v[76:77], v[40:41] op_sel_hi:[1,0,1]
	v_pk_fma_f32 v[0:1], v[58:59], v[76:77], v[0:1] op_sel_hi:[1,0,1]
	v_and_b32_e32 v96, 0xffff0000, v77
	v_pk_fma_f32 v[40:41], v[56:57], v[94:95], v[40:41] op_sel_hi:[1,0,1]
	v_pk_fma_f32 v[0:1], v[60:61], v[94:95], v[0:1] op_sel_hi:[1,0,1]
	s_waitcnt vmcnt(2)
	v_lshlrev_b32_e32 v98, 16, v78
	v_pk_fma_f32 v[2:3], v[2:3], v[96:97], v[40:41] op_sel_hi:[1,0,1]
	v_pk_fma_f32 v[0:1], v[14:15], v[96:97], v[0:1] op_sel_hi:[1,0,1]
	v_and_b32_e32 v52, 0xffff0000, v78
	v_pk_fma_f32 v[2:3], v[12:13], v[98:99], v[2:3] op_sel_hi:[1,0,1]
	v_pk_fma_f32 v[0:1], v[16:17], v[98:99], v[0:1] op_sel_hi:[1,0,1]
	v_lshlrev_b32_e32 v38, 16, v79
	v_pk_fma_f32 v[2:3], v[62:63], v[52:53], v[2:3] op_sel_hi:[1,0,1]
	v_pk_fma_f32 v[0:1], v[66:67], v[52:53], v[0:1] op_sel_hi:[1,0,1]
	v_and_b32_e32 v48, 0xffff0000, v79
	v_pk_fma_f32 v[2:3], v[64:65], v[38:39], v[2:3] op_sel_hi:[1,0,1]
	v_pk_fma_f32 v[0:1], v[68:69], v[38:39], v[0:1] op_sel_hi:[1,0,1]
	s_waitcnt vmcnt(1)
	v_lshlrev_b32_e32 v78, 16, v80
	v_pk_fma_f32 v[2:3], v[18:19], v[48:49], v[2:3] op_sel_hi:[1,0,1]
	v_pk_fma_f32 v[0:1], v[22:23], v[48:49], v[0:1] op_sel_hi:[1,0,1]
	v_and_b32_e32 v54, 0xffff0000, v80
	v_pk_fma_f32 v[2:3], v[20:21], v[78:79], v[2:3] op_sel_hi:[1,0,1]
	v_pk_fma_f32 v[0:1], v[24:25], v[78:79], v[0:1] op_sel_hi:[1,0,1]
	v_lshlrev_b32_e32 v58, 16, v81
	v_pk_fma_f32 v[2:3], v[70:71], v[54:55], v[2:3] op_sel_hi:[1,0,1]
	v_pk_fma_f32 v[0:1], v[74:75], v[54:55], v[0:1] op_sel_hi:[1,0,1]
	v_and_b32_e32 v76, 0xffff0000, v81
	v_pk_fma_f32 v[2:3], v[72:73], v[58:59], v[2:3] op_sel_hi:[1,0,1]
	v_pk_fma_f32 v[0:1], v[84:85], v[58:59], v[0:1] op_sel_hi:[1,0,1]
	s_waitcnt vmcnt(0)
	v_lshlrev_b32_e32 v80, 16, v82
	v_pk_fma_f32 v[2:3], v[26:27], v[76:77], v[2:3] op_sel_hi:[1,0,1]
	v_pk_fma_f32 v[0:1], v[30:31], v[76:77], v[0:1] op_sel_hi:[1,0,1]
	v_and_b32_e32 v56, 0xffff0000, v82
	v_pk_fma_f32 v[2:3], v[28:29], v[80:81], v[2:3] op_sel_hi:[1,0,1]
	v_pk_fma_f32 v[0:1], v[44:45], v[80:81], v[0:1] op_sel_hi:[1,0,1]
	v_lshlrev_b32_e32 v60, 16, v83
	v_pk_fma_f32 v[2:3], v[86:87], v[56:57], v[2:3] op_sel_hi:[1,0,1]
	v_pk_fma_f32 v[0:1], v[90:91], v[56:57], v[0:1] op_sel_hi:[1,0,1]
	v_and_b32_e32 v82, 0xffff0000, v83
	v_pk_fma_f32 v[2:3], v[88:89], v[60:61], v[2:3] op_sel_hi:[1,0,1]
	v_pk_fma_f32 v[0:1], v[92:93], v[60:61], v[0:1] op_sel_hi:[1,0,1]
	;; [unrolled: 1-line block ×4, first 2 shown]
	s_andn2_b64 exec, exec, s[14:15]
	s_cbranch_execnz .LBB106_21
; %bb.22:
	s_or_b64 exec, exec, s[14:15]
.LBB106_23:
	s_or_b64 exec, exec, s[10:11]
.LBB106_24:
	s_or_b64 exec, exec, s[8:9]
	s_cbranch_execz .LBB106_26
	s_branch .LBB106_37
.LBB106_25:
                                        ; implicit-def: $vgpr39
                                        ; implicit-def: $vgpr41
.LBB106_26:
	s_mov_b32 s10, 0
	v_mov_b32_e32 v39, 0
	v_mov_b32_e32 v38, 0
	;; [unrolled: 1-line block ×4, first 2 shown]
	s_and_saveexec_b64 s[8:9], s[0:1]
	s_cbranch_execz .LBB106_36
; %bb.27:
	v_add_u32_e32 v0, v8, v33
	v_subrev_u32_e32 v0, s18, v0
	v_add_u32_e32 v0, 8, v0
	v_max_i32_e32 v0, v0, v42
	v_not_b32_e32 v1, v8
	v_add3_u32 v0, v0, s18, v1
	v_sub_u32_e32 v0, v0, v33
	v_lshrrev_b32_e32 v1, 3, v0
	v_add_u32_e32 v1, 1, v1
	v_and_b32_e32 v1, 3, v1
	s_mov_b32 s11, s10
	v_cmp_ne_u32_e32 vcc, 0, v1
	v_pk_mov_b32 v[38:39], s[10:11], s[10:11] op_sel:[0,1]
	v_pk_mov_b32 v[40:41], s[10:11], s[10:11] op_sel:[0,1]
	s_and_saveexec_b64 s[0:1], vcc
	s_cbranch_execz .LBB106_31
; %bb.28:
	v_mov_b32_e32 v40, 0
	v_lshlrev_b32_e32 v1, 5, v1
	s_mov_b64 s[10:11], 0
	v_mov_b32_e32 v2, s13
	v_mov_b32_e32 v3, s7
	;; [unrolled: 1-line block ×5, first 2 shown]
.LBB106_29:                             ; =>This Inner Loop Header: Depth=1
	v_ashrrev_i32_e32 v35, 31, v34
	v_lshlrev_b64 v[4:5], 2, v[34:35]
	v_add_co_u32_e32 v8, vcc, s12, v4
	v_addc_co_u32_e32 v9, vcc, v2, v5, vcc
	global_load_dword v10, v[8:9], off
	global_load_dwordx4 v[4:7], v[36:37], off
	v_subrev_u32_e32 v1, 32, v1
	v_add_u32_e32 v34, 8, v34
	s_waitcnt vmcnt(1)
	v_subrev_u32_e32 v8, s18, v10
	v_lshlrev_b32_e32 v8, 2, v8
	v_ashrrev_i32_e32 v9, 31, v8
	v_lshlrev_b64 v[8:9], 1, v[8:9]
	v_add_co_u32_e32 v12, vcc, s6, v8
	v_addc_co_u32_e32 v13, vcc, v3, v9, vcc
	global_load_dwordx2 v[14:15], v[12:13], off
	global_load_dwordx4 v[8:11], v[36:37], off offset:16
	s_waitcnt vmcnt(2)
	v_and_b32_e32 v13, 0xffff0000, v4
	v_lshlrev_b32_e32 v12, 16, v4
	v_and_b32_e32 v17, 0xffff0000, v5
	v_lshlrev_b32_e32 v16, 16, v5
	v_add_co_u32_e32 v36, vcc, 0x100, v36
	v_and_b32_e32 v5, 0xffff0000, v6
	v_lshlrev_b32_e32 v4, 16, v6
	v_and_b32_e32 v23, 0xffff0000, v7
	v_lshlrev_b32_e32 v22, 16, v7
	v_addc_co_u32_e32 v37, vcc, 0, v37, vcc
	v_cmp_eq_u32_e32 vcc, 0, v1
	s_or_b64 s[10:11], vcc, s[10:11]
	s_waitcnt vmcnt(1)
	v_lshlrev_b32_e32 v24, 16, v15
	s_waitcnt vmcnt(0)
	v_and_b32_e32 v21, 0xffff0000, v10
	v_lshlrev_b32_e32 v20, 16, v10
	v_lshlrev_b32_e32 v10, 16, v14
	v_and_b32_e32 v19, 0xffff0000, v8
	v_lshlrev_b32_e32 v18, 16, v8
	v_and_b32_e32 v7, 0xffff0000, v9
	;; [unrolled: 2-line block ×4, first 2 shown]
	v_pk_fma_f32 v[12:13], v[12:13], v[10:11], v[40:41] op_sel_hi:[1,0,1]
	v_pk_fma_f32 v[10:11], v[16:17], v[10:11], v[38:39] op_sel_hi:[1,0,1]
	;; [unrolled: 1-line block ×4, first 2 shown]
	v_and_b32_e32 v26, 0xffff0000, v15
	v_pk_fma_f32 v[4:5], v[18:19], v[24:25], v[4:5] op_sel_hi:[1,0,1]
	v_pk_fma_f32 v[6:7], v[6:7], v[24:25], v[10:11] op_sel_hi:[1,0,1]
	;; [unrolled: 1-line block ×4, first 2 shown]
	s_andn2_b64 exec, exec, s[10:11]
	s_cbranch_execnz .LBB106_29
; %bb.30:
	s_or_b64 exec, exec, s[10:11]
.LBB106_31:
	s_or_b64 exec, exec, s[0:1]
	v_cmp_lt_u32_e32 vcc, 23, v0
	s_and_saveexec_b64 s[0:1], vcc
	s_cbranch_execz .LBB106_35
; %bb.32:
	s_mov_b64 s[10:11], 0
	v_mov_b32_e32 v43, s13
	v_mov_b32_e32 v44, s7
.LBB106_33:                             ; =>This Inner Loop Header: Depth=1
	global_load_dwordx4 v[0:3], v[36:37], off
	global_load_dwordx4 v[4:7], v[36:37], off offset:16
	global_load_dwordx4 v[12:15], v[36:37], off offset:256
	;; [unrolled: 1-line block ×7, first 2 shown]
	v_ashrrev_i32_e32 v35, 31, v34
	v_add_co_u32_e32 v36, vcc, 0x400, v36
	v_lshlrev_b64 v[46:47], 2, v[34:35]
	v_addc_co_u32_e32 v37, vcc, 0, v37, vcc
	v_add_co_u32_e32 v46, vcc, s12, v46
	v_addc_co_u32_e32 v47, vcc, v43, v47, vcc
	global_load_dword v35, v[46:47], off
	global_load_dword v45, v[46:47], off offset:32
	global_load_dword v64, v[46:47], off offset:64
	;; [unrolled: 1-line block ×3, first 2 shown]
	v_add_u32_e32 v34, 32, v34
	v_cmp_ge_i32_e32 vcc, v34, v42
	s_or_b64 s[10:11], vcc, s[10:11]
	s_waitcnt vmcnt(11)
	v_and_b32_e32 v47, 0xffff0000, v0
	v_lshlrev_b32_e32 v46, 16, v0
	v_and_b32_e32 v49, 0xffff0000, v1
	s_waitcnt vmcnt(8)
	v_and_b32_e32 v59, 0xffff0000, v8
	v_lshlrev_b32_e32 v58, 16, v8
	v_lshlrev_b32_e32 v48, 16, v1
	v_and_b32_e32 v1, 0xffff0000, v2
	v_lshlrev_b32_e32 v0, 16, v2
	v_and_b32_e32 v51, 0xffff0000, v4
	;; [unrolled: 2-line block ×5, first 2 shown]
	s_waitcnt vmcnt(3)
	v_subrev_u32_e32 v8, s18, v35
	v_lshlrev_b32_e32 v2, 16, v5
	v_and_b32_e32 v5, 0xffff0000, v7
	v_lshlrev_b32_e32 v4, 16, v7
	v_and_b32_e32 v7, 0xffff0000, v12
	;; [unrolled: 2-line block ×5, first 2 shown]
	v_lshlrev_b32_e32 v62, 16, v15
	s_waitcnt vmcnt(1)
	v_subrev_u32_e32 v15, s18, v64
	v_lshlrev_b32_e32 v14, 2, v8
	v_and_b32_e32 v61, 0xffff0000, v10
	v_lshlrev_b32_e32 v60, 16, v10
	v_subrev_u32_e32 v10, s18, v45
	v_lshlrev_b32_e32 v66, 2, v15
	v_ashrrev_i32_e32 v15, 31, v14
	v_lshlrev_b32_e32 v64, 2, v10
	v_lshlrev_b64 v[14:15], 1, v[14:15]
	s_waitcnt vmcnt(0)
	v_subrev_u32_e32 v35, s18, v65
	v_ashrrev_i32_e32 v65, 31, v64
	v_add_co_u32_e32 v14, vcc, s6, v14
	v_lshlrev_b64 v[64:65], 1, v[64:65]
	v_addc_co_u32_e32 v15, vcc, v44, v15, vcc
	v_ashrrev_i32_e32 v67, 31, v66
	v_add_co_u32_e32 v64, vcc, s6, v64
	v_lshlrev_b32_e32 v68, 2, v35
	v_lshlrev_b64 v[66:67], 1, v[66:67]
	v_addc_co_u32_e32 v65, vcc, v44, v65, vcc
	v_ashrrev_i32_e32 v69, 31, v68
	v_add_co_u32_e32 v66, vcc, s6, v66
	v_lshlrev_b64 v[68:69], 1, v[68:69]
	v_addc_co_u32_e32 v67, vcc, v44, v67, vcc
	v_add_co_u32_e32 v68, vcc, s6, v68
	v_addc_co_u32_e32 v69, vcc, v44, v69, vcc
	global_load_dwordx2 v[70:71], v[14:15], off
	global_load_dwordx2 v[72:73], v[64:65], off
	;; [unrolled: 1-line block ×4, first 2 shown]
	v_and_b32_e32 v85, 0xffff0000, v26
	v_lshlrev_b32_e32 v84, 16, v26
	v_and_b32_e32 v15, 0xffff0000, v9
	v_lshlrev_b32_e32 v14, 16, v9
	;; [unrolled: 2-line block ×18, first 2 shown]
	s_waitcnt vmcnt(3)
	v_lshlrev_b32_e32 v26, 16, v70
	v_and_b32_e32 v70, 0xffff0000, v70
	v_pk_fma_f32 v[40:41], v[46:47], v[26:27], v[40:41] op_sel_hi:[1,0,1]
	v_pk_fma_f32 v[26:27], v[48:49], v[26:27], v[38:39] op_sel_hi:[1,0,1]
	v_lshlrev_b32_e32 v88, 16, v71
	v_pk_fma_f32 v[0:1], v[0:1], v[70:71], v[40:41] op_sel_hi:[1,0,1]
	v_pk_fma_f32 v[26:27], v[54:55], v[70:71], v[26:27] op_sel_hi:[1,0,1]
	v_and_b32_e32 v90, 0xffff0000, v71
	v_pk_fma_f32 v[0:1], v[50:51], v[88:89], v[0:1] op_sel_hi:[1,0,1]
	v_pk_fma_f32 v[2:3], v[2:3], v[88:89], v[26:27] op_sel_hi:[1,0,1]
	s_waitcnt vmcnt(2)
	v_lshlrev_b32_e32 v92, 16, v72
	v_pk_fma_f32 v[0:1], v[52:53], v[90:91], v[0:1] op_sel_hi:[1,0,1]
	v_pk_fma_f32 v[2:3], v[4:5], v[90:91], v[2:3] op_sel_hi:[1,0,1]
	v_and_b32_e32 v46, 0xffff0000, v72
	v_pk_fma_f32 v[0:1], v[6:7], v[92:93], v[0:1] op_sel_hi:[1,0,1]
	v_pk_fma_f32 v[2:3], v[56:57], v[92:93], v[2:3] op_sel_hi:[1,0,1]
	v_lshlrev_b32_e32 v38, 16, v73
	v_pk_fma_f32 v[0:1], v[12:13], v[46:47], v[0:1] op_sel_hi:[1,0,1]
	v_pk_fma_f32 v[2:3], v[62:63], v[46:47], v[2:3] op_sel_hi:[1,0,1]
	v_and_b32_e32 v48, 0xffff0000, v73
	v_pk_fma_f32 v[0:1], v[58:59], v[38:39], v[0:1] op_sel_hi:[1,0,1]
	v_pk_fma_f32 v[2:3], v[14:15], v[38:39], v[2:3] op_sel_hi:[1,0,1]
	s_waitcnt vmcnt(1)
	v_lshlrev_b32_e32 v72, 16, v74
	v_pk_fma_f32 v[0:1], v[60:61], v[48:49], v[0:1] op_sel_hi:[1,0,1]
	v_pk_fma_f32 v[2:3], v[8:9], v[48:49], v[2:3] op_sel_hi:[1,0,1]
	;; [unrolled: 13-line block ×3, first 2 shown]
	v_and_b32_e32 v50, 0xffff0000, v76
	v_pk_fma_f32 v[0:1], v[18:19], v[74:75], v[0:1] op_sel_hi:[1,0,1]
	v_pk_fma_f32 v[2:3], v[80:81], v[74:75], v[2:3] op_sel_hi:[1,0,1]
	v_lshlrev_b32_e32 v26, 16, v77
	v_pk_fma_f32 v[0:1], v[28:29], v[50:51], v[0:1] op_sel_hi:[1,0,1]
	v_pk_fma_f32 v[2:3], v[82:83], v[50:51], v[2:3] op_sel_hi:[1,0,1]
	v_and_b32_e32 v76, 0xffff0000, v77
	v_pk_fma_f32 v[0:1], v[30:31], v[26:27], v[0:1] op_sel_hi:[1,0,1]
	v_pk_fma_f32 v[2:3], v[86:87], v[26:27], v[2:3] op_sel_hi:[1,0,1]
	;; [unrolled: 1-line block ×4, first 2 shown]
	s_andn2_b64 exec, exec, s[10:11]
	s_cbranch_execnz .LBB106_33
; %bb.34:
	s_or_b64 exec, exec, s[10:11]
.LBB106_35:
	s_or_b64 exec, exec, s[0:1]
.LBB106_36:
	s_or_b64 exec, exec, s[8:9]
.LBB106_37:
	v_mov_b32_dpp v0, v40 row_shr:1 row_mask:0xf bank_mask:0xf
	v_mov_b32_dpp v1, v41 row_shr:1 row_mask:0xf bank_mask:0xf
	;; [unrolled: 1-line block ×4, first 2 shown]
	v_pk_add_f32 v[0:1], v[40:41], v[0:1]
	v_pk_add_f32 v[4:5], v[38:39], v[4:5]
	v_cmp_eq_u32_e32 vcc, 7, v33
	v_mov_b32_dpp v2, v0 row_shr:2 row_mask:0xf bank_mask:0xf
	v_mov_b32_dpp v3, v1 row_shr:2 row_mask:0xf bank_mask:0xf
	;; [unrolled: 1-line block ×4, first 2 shown]
	v_pk_add_f32 v[0:1], v[0:1], v[2:3]
	v_pk_add_f32 v[4:5], v[4:5], v[6:7]
	s_nop 0
	v_mov_b32_dpp v2, v0 row_shr:4 row_mask:0xf bank_mask:0xe
	v_mov_b32_dpp v3, v1 row_shr:4 row_mask:0xf bank_mask:0xe
	;; [unrolled: 1-line block ×4, first 2 shown]
	s_and_b64 exec, exec, vcc
	s_cbranch_execz .LBB106_10
; %bb.38:
	s_load_dwordx2 s[0:1], s[4:5], 0x50
	v_cmp_eq_f32_e64 s[4:5], s16, 0
	v_pk_add_f32 v[2:3], v[0:1], v[2:3]
	v_pk_add_f32 v[0:1], v[4:5], v[6:7]
	s_and_b64 vcc, exec, s[4:5]
	v_lshlrev_b32_e32 v4, 2, v32
	s_cbranch_vccz .LBB106_40
; %bb.39:
	v_ashrrev_i32_e32 v5, 31, v4
	v_lshlrev_b64 v[6:7], 2, v[4:5]
	s_waitcnt lgkmcnt(0)
	v_mov_b32_e32 v5, s1
	v_add_co_u32_e32 v10, vcc, s0, v6
	v_addc_co_u32_e32 v11, vcc, v5, v7, vcc
	v_pk_mul_f32 v[6:7], s[2:3], v[2:3] op_sel_hi:[0,1]
	v_pk_mul_f32 v[8:9], s[2:3], v[0:1] op_sel_hi:[0,1]
	global_store_dwordx4 v[10:11], v[6:9], off
	s_cbranch_execnz .LBB106_10
	s_branch .LBB106_41
.LBB106_40:
.LBB106_41:
	v_ashrrev_i32_e32 v5, 31, v4
	v_lshlrev_b64 v[4:5], 2, v[4:5]
	s_waitcnt lgkmcnt(0)
	v_mov_b32_e32 v6, s1
	v_add_co_u32_e32 v8, vcc, s0, v4
	v_addc_co_u32_e32 v9, vcc, v6, v5, vcc
	global_load_dwordx4 v[4:7], v[8:9], off
	v_pk_mul_f32 v[2:3], s[2:3], v[2:3] op_sel_hi:[0,1]
	v_pk_mul_f32 v[10:11], s[2:3], v[0:1] op_sel_hi:[0,1]
	s_waitcnt vmcnt(0)
	v_pk_fma_f32 v[0:1], s[16:17], v[4:5], v[2:3] op_sel_hi:[0,1,1]
	v_pk_fma_f32 v[2:3], s[16:17], v[6:7], v[10:11] op_sel_hi:[0,1,1]
	global_store_dwordx4 v[8:9], v[0:3], off
	s_endpgm
	.section	.rodata,"a",@progbits
	.p2align	6, 0x0
	.amdhsa_kernel _ZN9rocsparseL18bsrxmvn_4x4_kernelILj128ELj8Efii18rocsparse_bfloat16S1_fEEvT3_20rocsparse_direction_NS_24const_host_device_scalarIT1_EES2_PKS2_PKT2_SB_S8_PKT4_PKT5_S6_PT6_21rocsparse_index_base_b
		.amdhsa_group_segment_fixed_size 0
		.amdhsa_private_segment_fixed_size 0
		.amdhsa_kernarg_size 96
		.amdhsa_user_sgpr_count 6
		.amdhsa_user_sgpr_private_segment_buffer 1
		.amdhsa_user_sgpr_dispatch_ptr 0
		.amdhsa_user_sgpr_queue_ptr 0
		.amdhsa_user_sgpr_kernarg_segment_ptr 1
		.amdhsa_user_sgpr_dispatch_id 0
		.amdhsa_user_sgpr_flat_scratch_init 0
		.amdhsa_user_sgpr_kernarg_preload_length 0
		.amdhsa_user_sgpr_kernarg_preload_offset 0
		.amdhsa_user_sgpr_private_segment_size 0
		.amdhsa_uses_dynamic_stack 0
		.amdhsa_system_sgpr_private_segment_wavefront_offset 0
		.amdhsa_system_sgpr_workgroup_id_x 1
		.amdhsa_system_sgpr_workgroup_id_y 0
		.amdhsa_system_sgpr_workgroup_id_z 0
		.amdhsa_system_sgpr_workgroup_info 0
		.amdhsa_system_vgpr_workitem_id 0
		.amdhsa_next_free_vgpr 100
		.amdhsa_next_free_sgpr 20
		.amdhsa_accum_offset 100
		.amdhsa_reserve_vcc 1
		.amdhsa_reserve_flat_scratch 0
		.amdhsa_float_round_mode_32 0
		.amdhsa_float_round_mode_16_64 0
		.amdhsa_float_denorm_mode_32 3
		.amdhsa_float_denorm_mode_16_64 3
		.amdhsa_dx10_clamp 1
		.amdhsa_ieee_mode 1
		.amdhsa_fp16_overflow 0
		.amdhsa_tg_split 0
		.amdhsa_exception_fp_ieee_invalid_op 0
		.amdhsa_exception_fp_denorm_src 0
		.amdhsa_exception_fp_ieee_div_zero 0
		.amdhsa_exception_fp_ieee_overflow 0
		.amdhsa_exception_fp_ieee_underflow 0
		.amdhsa_exception_fp_ieee_inexact 0
		.amdhsa_exception_int_div_zero 0
	.end_amdhsa_kernel
	.section	.text._ZN9rocsparseL18bsrxmvn_4x4_kernelILj128ELj8Efii18rocsparse_bfloat16S1_fEEvT3_20rocsparse_direction_NS_24const_host_device_scalarIT1_EES2_PKS2_PKT2_SB_S8_PKT4_PKT5_S6_PT6_21rocsparse_index_base_b,"axG",@progbits,_ZN9rocsparseL18bsrxmvn_4x4_kernelILj128ELj8Efii18rocsparse_bfloat16S1_fEEvT3_20rocsparse_direction_NS_24const_host_device_scalarIT1_EES2_PKS2_PKT2_SB_S8_PKT4_PKT5_S6_PT6_21rocsparse_index_base_b,comdat
.Lfunc_end106:
	.size	_ZN9rocsparseL18bsrxmvn_4x4_kernelILj128ELj8Efii18rocsparse_bfloat16S1_fEEvT3_20rocsparse_direction_NS_24const_host_device_scalarIT1_EES2_PKS2_PKT2_SB_S8_PKT4_PKT5_S6_PT6_21rocsparse_index_base_b, .Lfunc_end106-_ZN9rocsparseL18bsrxmvn_4x4_kernelILj128ELj8Efii18rocsparse_bfloat16S1_fEEvT3_20rocsparse_direction_NS_24const_host_device_scalarIT1_EES2_PKS2_PKT2_SB_S8_PKT4_PKT5_S6_PT6_21rocsparse_index_base_b
                                        ; -- End function
	.section	.AMDGPU.csdata,"",@progbits
; Kernel info:
; codeLenInByte = 3920
; NumSgprs: 24
; NumVgprs: 100
; NumAgprs: 0
; TotalNumVgprs: 100
; ScratchSize: 0
; MemoryBound: 0
; FloatMode: 240
; IeeeMode: 1
; LDSByteSize: 0 bytes/workgroup (compile time only)
; SGPRBlocks: 2
; VGPRBlocks: 12
; NumSGPRsForWavesPerEU: 24
; NumVGPRsForWavesPerEU: 100
; AccumOffset: 100
; Occupancy: 4
; WaveLimiterHint : 1
; COMPUTE_PGM_RSRC2:SCRATCH_EN: 0
; COMPUTE_PGM_RSRC2:USER_SGPR: 6
; COMPUTE_PGM_RSRC2:TRAP_HANDLER: 0
; COMPUTE_PGM_RSRC2:TGID_X_EN: 1
; COMPUTE_PGM_RSRC2:TGID_Y_EN: 0
; COMPUTE_PGM_RSRC2:TGID_Z_EN: 0
; COMPUTE_PGM_RSRC2:TIDIG_COMP_CNT: 0
; COMPUTE_PGM_RSRC3_GFX90A:ACCUM_OFFSET: 24
; COMPUTE_PGM_RSRC3_GFX90A:TG_SPLIT: 0
	.section	.text._ZN9rocsparseL18bsrxmvn_4x4_kernelILj128ELj16Efii18rocsparse_bfloat16S1_fEEvT3_20rocsparse_direction_NS_24const_host_device_scalarIT1_EES2_PKS2_PKT2_SB_S8_PKT4_PKT5_S6_PT6_21rocsparse_index_base_b,"axG",@progbits,_ZN9rocsparseL18bsrxmvn_4x4_kernelILj128ELj16Efii18rocsparse_bfloat16S1_fEEvT3_20rocsparse_direction_NS_24const_host_device_scalarIT1_EES2_PKS2_PKT2_SB_S8_PKT4_PKT5_S6_PT6_21rocsparse_index_base_b,comdat
	.globl	_ZN9rocsparseL18bsrxmvn_4x4_kernelILj128ELj16Efii18rocsparse_bfloat16S1_fEEvT3_20rocsparse_direction_NS_24const_host_device_scalarIT1_EES2_PKS2_PKT2_SB_S8_PKT4_PKT5_S6_PT6_21rocsparse_index_base_b ; -- Begin function _ZN9rocsparseL18bsrxmvn_4x4_kernelILj128ELj16Efii18rocsparse_bfloat16S1_fEEvT3_20rocsparse_direction_NS_24const_host_device_scalarIT1_EES2_PKS2_PKT2_SB_S8_PKT4_PKT5_S6_PT6_21rocsparse_index_base_b
	.p2align	8
	.type	_ZN9rocsparseL18bsrxmvn_4x4_kernelILj128ELj16Efii18rocsparse_bfloat16S1_fEEvT3_20rocsparse_direction_NS_24const_host_device_scalarIT1_EES2_PKS2_PKT2_SB_S8_PKT4_PKT5_S6_PT6_21rocsparse_index_base_b,@function
_ZN9rocsparseL18bsrxmvn_4x4_kernelILj128ELj16Efii18rocsparse_bfloat16S1_fEEvT3_20rocsparse_direction_NS_24const_host_device_scalarIT1_EES2_PKS2_PKT2_SB_S8_PKT4_PKT5_S6_PT6_21rocsparse_index_base_b: ; @_ZN9rocsparseL18bsrxmvn_4x4_kernelILj128ELj16Efii18rocsparse_bfloat16S1_fEEvT3_20rocsparse_direction_NS_24const_host_device_scalarIT1_EES2_PKS2_PKT2_SB_S8_PKT4_PKT5_S6_PT6_21rocsparse_index_base_b
; %bb.0:
	s_load_dwordx2 s[18:19], s[4:5], 0x58
	s_load_dwordx2 s[2:3], s[4:5], 0x8
	;; [unrolled: 1-line block ×3, first 2 shown]
	s_waitcnt lgkmcnt(0)
	s_bitcmp1_b32 s19, 0
	s_cselect_b64 s[8:9], -1, 0
	s_xor_b64 s[0:1], s[8:9], -1
	s_and_b64 vcc, exec, s[8:9]
	s_cbranch_vccnz .LBB107_2
; %bb.1:
	s_load_dword s2, s[2:3], 0x0
.LBB107_2:
	s_andn2_b64 vcc, exec, s[0:1]
	s_cbranch_vccnz .LBB107_4
; %bb.3:
	s_load_dword s16, s[16:17], 0x0
.LBB107_4:
	s_waitcnt lgkmcnt(0)
	v_cmp_neq_f32_e64 s[0:1], s2, 0
	v_cmp_neq_f32_e64 s[8:9], s16, 1.0
	s_or_b64 s[0:1], s[0:1], s[8:9]
	s_andn2_b64 vcc, exec, s[0:1]
	s_cbranch_vccnz .LBB107_10
; %bb.5:
	s_load_dwordx2 s[8:9], s[4:5], 0x18
	s_load_dwordx2 s[0:1], s[4:5], 0x0
	v_lshrrev_b32_e32 v1, 4, v0
	v_lshl_or_b32 v32, s6, 3, v1
	s_mov_b64 s[6:7], 0
	s_waitcnt lgkmcnt(0)
	s_cmp_lg_u64 s[8:9], 0
	s_cbranch_scc0 .LBB107_11
; %bb.6:
	s_load_dword s3, s[4:5], 0x10
                                        ; implicit-def: $vgpr1
	s_waitcnt lgkmcnt(0)
	v_cmp_gt_i32_e32 vcc, s3, v32
	s_and_saveexec_b64 s[10:11], vcc
	s_xor_b64 s[10:11], exec, s[10:11]
	s_cbranch_execz .LBB107_8
; %bb.7:
	v_ashrrev_i32_e32 v33, 31, v32
	v_lshlrev_b64 v[2:3], 2, v[32:33]
	v_mov_b32_e32 v1, s9
	v_add_co_u32_e32 v2, vcc, s8, v2
	v_addc_co_u32_e32 v3, vcc, v1, v3, vcc
	global_load_dword v1, v[2:3], off
	s_mov_b64 s[6:7], exec
	s_waitcnt vmcnt(0)
	v_subrev_u32_e32 v1, s18, v1
.LBB107_8:
	s_or_b64 exec, exec, s[10:11]
	s_branch .LBB107_12
.LBB107_9:
	v_cmp_gt_i32_e32 vcc, s0, v32
	s_andn2_b64 s[6:7], s[6:7], exec
	s_and_b64 s[8:9], vcc, exec
	s_or_b64 s[6:7], s[6:7], s[8:9]
	s_and_saveexec_b64 s[8:9], s[6:7]
	s_cbranch_execnz .LBB107_13
.LBB107_10:
	s_endpgm
.LBB107_11:
                                        ; implicit-def: $vgpr1
	s_cbranch_execnz .LBB107_9
.LBB107_12:
	v_mov_b32_e32 v32, v1
	s_and_saveexec_b64 s[8:9], s[6:7]
	s_cbranch_execz .LBB107_10
.LBB107_13:
	s_load_dwordx8 s[8:15], s[4:5], 0x20
	v_ashrrev_i32_e32 v33, 31, v32
	v_lshlrev_b64 v[2:3], 2, v[32:33]
	v_and_b32_e32 v33, 15, v0
	s_load_dwordx2 s[6:7], s[4:5], 0x40
	s_waitcnt lgkmcnt(0)
	v_mov_b32_e32 v1, s9
	v_add_co_u32_e32 v4, vcc, s8, v2
	v_addc_co_u32_e32 v5, vcc, v1, v3, vcc
	v_add_co_u32_e32 v1, vcc, 4, v4
	global_load_dword v8, v[4:5], off
	v_addc_co_u32_e32 v4, vcc, 0, v5, vcc
	v_mov_b32_e32 v5, s11
	v_add_co_u32_e32 v2, vcc, s10, v2
	s_cmp_eq_u64 s[10:11], 0
	v_addc_co_u32_e32 v3, vcc, v5, v3, vcc
	s_cselect_b64 vcc, -1, 0
	v_cndmask_b32_e32 v3, v3, v4, vcc
	v_cndmask_b32_e32 v2, v2, v1, vcc
	global_load_dword v1, v[2:3], off
	v_mov_b32_e32 v2, s15
	s_cmp_eq_u32 s1, 1
	s_waitcnt vmcnt(1)
	v_subrev_u32_e32 v0, s18, v8
	v_add_u32_e32 v34, v0, v33
	v_ashrrev_i32_e32 v35, 31, v34
	s_waitcnt vmcnt(0)
	v_subrev_u32_e32 v42, s18, v1
	v_lshlrev_b64 v[0:1], 5, v[34:35]
	v_add_co_u32_e32 v36, vcc, s14, v0
	v_addc_co_u32_e32 v37, vcc, v2, v1, vcc
	v_cmp_lt_i32_e64 s[0:1], v34, v42
	s_cbranch_scc1 .LBB107_25
; %bb.14:
	v_mov_b32_e32 v39, 0
	v_mov_b32_e32 v38, 0
	;; [unrolled: 1-line block ×4, first 2 shown]
	s_and_saveexec_b64 s[8:9], s[0:1]
	s_cbranch_execz .LBB107_24
; %bb.15:
	v_add_u32_e32 v0, v8, v33
	v_subrev_u32_e32 v0, s18, v0
	v_add_u32_e32 v0, 16, v0
	v_max_i32_e32 v0, v0, v42
	v_not_b32_e32 v1, v8
	v_add3_u32 v0, v0, s18, v1
	v_sub_u32_e32 v0, v0, v33
	v_lshrrev_b32_e32 v1, 4, v0
	v_add_u32_e32 v1, 1, v1
	v_and_b32_e32 v1, 3, v1
	v_mov_b32_e32 v40, 0
	v_cmp_ne_u32_e32 vcc, 0, v1
	v_mov_b32_e32 v41, v40
	v_mov_b32_e32 v38, v40
	;; [unrolled: 1-line block ×4, first 2 shown]
	v_pk_mov_b32 v[6:7], v[36:37], v[36:37] op_sel:[0,1]
	s_and_saveexec_b64 s[10:11], vcc
	s_cbranch_execz .LBB107_19
; %bb.16:
	v_mov_b32_e32 v39, 0
	v_lshlrev_b32_e32 v1, 5, v1
	s_mov_b64 s[14:15], 0
	v_mov_b32_e32 v2, s13
	v_mov_b32_e32 v3, s7
	v_pk_mov_b32 v[6:7], v[36:37], v[36:37] op_sel:[0,1]
	v_mov_b32_e32 v4, v34
	v_mov_b32_e32 v38, v39
	;; [unrolled: 1-line block ×4, first 2 shown]
.LBB107_17:                             ; =>This Inner Loop Header: Depth=1
	v_ashrrev_i32_e32 v5, 31, v4
	v_lshlrev_b64 v[10:11], 2, v[4:5]
	v_add_co_u32_e32 v18, vcc, s12, v10
	v_addc_co_u32_e32 v19, vcc, v2, v11, vcc
	global_load_dword v5, v[18:19], off
	global_load_dwordx4 v[10:13], v[6:7], off
	global_load_dwordx4 v[14:17], v[6:7], off offset:16
	v_subrev_u32_e32 v1, 32, v1
	v_add_u32_e32 v4, 16, v4
	s_waitcnt vmcnt(2)
	v_subrev_u32_e32 v5, s18, v5
	v_lshlrev_b32_e32 v18, 2, v5
	v_ashrrev_i32_e32 v19, 31, v18
	v_lshlrev_b64 v[18:19], 1, v[18:19]
	v_add_co_u32_e32 v18, vcc, s6, v18
	v_addc_co_u32_e32 v19, vcc, v3, v19, vcc
	global_load_dwordx2 v[18:19], v[18:19], off
	s_waitcnt vmcnt(2)
	v_and_b32_e32 v20, 0xffff0000, v10
	v_lshlrev_b32_e32 v23, 16, v12
	v_lshlrev_b32_e32 v22, 16, v10
	s_waitcnt vmcnt(1)
	v_and_b32_e32 v10, 0xffff0000, v14
	v_lshlrev_b32_e32 v27, 16, v16
	v_lshlrev_b32_e32 v26, 16, v14
	v_add_co_u32_e32 v6, vcc, 0x200, v6
	v_and_b32_e32 v21, 0xffff0000, v12
	v_lshlrev_b32_e32 v24, 16, v11
	v_and_b32_e32 v12, 0xffff0000, v11
	v_and_b32_e32 v11, 0xffff0000, v16
	v_lshlrev_b32_e32 v28, 16, v15
	v_and_b32_e32 v16, 0xffff0000, v15
	v_addc_co_u32_e32 v7, vcc, 0, v7, vcc
	v_lshlrev_b32_e32 v25, 16, v13
	v_lshlrev_b32_e32 v29, 16, v17
	v_cmp_eq_u32_e32 vcc, 0, v1
	v_and_b32_e32 v13, 0xffff0000, v13
	v_and_b32_e32 v17, 0xffff0000, v17
	s_or_b64 s[14:15], vcc, s[14:15]
	s_waitcnt vmcnt(0)
	v_lshlrev_b32_e32 v14, 16, v18
	v_and_b32_e32 v18, 0xffff0000, v18
	v_pk_fma_f32 v[22:23], v[22:23], v[14:15], v[40:41] op_sel_hi:[1,0,1]
	v_pk_fma_f32 v[14:15], v[26:27], v[14:15], v[38:39] op_sel_hi:[1,0,1]
	v_lshlrev_b32_e32 v30, 16, v19
	v_pk_fma_f32 v[20:21], v[20:21], v[18:19], v[22:23] op_sel_hi:[1,0,1]
	v_pk_fma_f32 v[10:11], v[10:11], v[18:19], v[14:15] op_sel_hi:[1,0,1]
	v_and_b32_e32 v44, 0xffff0000, v19
	v_pk_fma_f32 v[14:15], v[24:25], v[30:31], v[20:21] op_sel_hi:[1,0,1]
	v_pk_fma_f32 v[10:11], v[28:29], v[30:31], v[10:11] op_sel_hi:[1,0,1]
	;; [unrolled: 1-line block ×4, first 2 shown]
	s_andn2_b64 exec, exec, s[14:15]
	s_cbranch_execnz .LBB107_17
; %bb.18:
	s_or_b64 exec, exec, s[14:15]
.LBB107_19:
	s_or_b64 exec, exec, s[10:11]
	v_cmp_lt_u32_e32 vcc, 47, v0
	s_and_saveexec_b64 s[10:11], vcc
	s_cbranch_execz .LBB107_23
; %bb.20:
	s_mov_b64 s[14:15], 0
	v_mov_b32_e32 v9, s13
	v_mov_b32_e32 v10, s7
.LBB107_21:                             ; =>This Inner Loop Header: Depth=1
	global_load_dwordx4 v[0:3], v[6:7], off
	global_load_dwordx4 v[12:15], v[6:7], off offset:16
	v_ashrrev_i32_e32 v5, 31, v4
	global_load_dwordx4 v[16:19], v[6:7], off offset:512
	global_load_dwordx4 v[20:23], v[6:7], off offset:528
	;; [unrolled: 1-line block ×6, first 2 shown]
	v_add_co_u32_e32 v6, vcc, 0x800, v6
	v_lshlrev_b64 v[52:53], 2, v[4:5]
	v_addc_co_u32_e32 v7, vcc, 0, v7, vcc
	v_add_co_u32_e32 v52, vcc, s12, v52
	v_addc_co_u32_e32 v53, vcc, v9, v53, vcc
	global_load_dword v5, v[52:53], off
	global_load_dword v11, v[52:53], off offset:64
	global_load_dword v35, v[52:53], off offset:128
	;; [unrolled: 1-line block ×3, first 2 shown]
	v_add_u32_e32 v4, 64, v4
	v_cmp_ge_i32_e32 vcc, v4, v42
	s_or_b64 s[14:15], vcc, s[14:15]
	s_waitcnt vmcnt(9)
	v_lshlrev_b32_e32 v62, 16, v16
	s_waitcnt vmcnt(8)
	v_lshlrev_b32_e32 v66, 16, v20
	v_and_b32_e32 v52, 0xffff0000, v0
	v_lshlrev_b32_e32 v54, 16, v0
	v_and_b32_e32 v0, 0xffff0000, v12
	;; [unrolled: 2-line block ×3, first 2 shown]
	v_and_b32_e32 v16, 0xffff0000, v20
	v_lshlrev_b32_e32 v55, 16, v2
	v_and_b32_e32 v53, 0xffff0000, v2
	v_lshlrev_b32_e32 v56, 16, v1
	v_and_b32_e32 v2, 0xffff0000, v1
	s_waitcnt vmcnt(3)
	v_subrev_u32_e32 v5, s18, v5
	v_lshlrev_b32_e32 v68, 2, v5
	s_waitcnt vmcnt(2)
	v_subrev_u32_e32 v11, s18, v11
	v_ashrrev_i32_e32 v69, 31, v68
	v_lshlrev_b32_e32 v70, 2, v11
	v_lshlrev_b64 v[68:69], 1, v[68:69]
	s_waitcnt vmcnt(1)
	v_subrev_u32_e32 v20, s18, v35
	v_ashrrev_i32_e32 v71, 31, v70
	v_add_co_u32_e32 v68, vcc, s6, v68
	v_lshlrev_b32_e32 v72, 2, v20
	v_lshlrev_b64 v[70:71], 1, v[70:71]
	v_addc_co_u32_e32 v69, vcc, v10, v69, vcc
	v_lshlrev_b32_e32 v59, 16, v14
	v_and_b32_e32 v1, 0xffff0000, v14
	v_lshlrev_b32_e32 v60, 16, v13
	v_and_b32_e32 v14, 0xffff0000, v13
	;; [unrolled: 2-line block ×5, first 2 shown]
	s_waitcnt vmcnt(0)
	v_subrev_u32_e32 v22, s18, v43
	v_ashrrev_i32_e32 v73, 31, v72
	v_add_co_u32_e32 v70, vcc, s6, v70
	v_lshlrev_b32_e32 v74, 2, v22
	v_lshlrev_b64 v[72:73], 1, v[72:73]
	v_addc_co_u32_e32 v71, vcc, v10, v71, vcc
	v_ashrrev_i32_e32 v75, 31, v74
	v_add_co_u32_e32 v72, vcc, s6, v72
	v_lshlrev_b64 v[74:75], 1, v[74:75]
	v_addc_co_u32_e32 v73, vcc, v10, v73, vcc
	v_add_co_u32_e32 v74, vcc, s6, v74
	v_addc_co_u32_e32 v75, vcc, v10, v75, vcc
	global_load_dwordx2 v[76:77], v[68:69], off
	global_load_dwordx2 v[78:79], v[70:71], off
	;; [unrolled: 1-line block ×4, first 2 shown]
	v_and_b32_e32 v20, 0xffff0000, v24
	v_lshlrev_b32_e32 v70, 16, v24
	v_and_b32_e32 v24, 0xffff0000, v28
	v_lshlrev_b32_e32 v74, 16, v28
	v_and_b32_e32 v28, 0xffff0000, v44
	v_lshlrev_b32_e32 v86, 16, v44
	v_and_b32_e32 v44, 0xffff0000, v48
	v_lshlrev_b32_e32 v90, 16, v48
	v_lshlrev_b32_e32 v57, 16, v3
	v_lshlrev_b32_e32 v61, 16, v15
	v_and_b32_e32 v3, 0xffff0000, v3
	v_and_b32_e32 v15, 0xffff0000, v15
	v_lshlrev_b32_e32 v65, 16, v19
	v_lshlrev_b32_e32 v69, 16, v23
	;; [unrolled: 1-line block ×3, first 2 shown]
	v_and_b32_e32 v19, 0xffff0000, v19
	v_and_b32_e32 v23, 0xffff0000, v23
	;; [unrolled: 1-line block ×3, first 2 shown]
	v_lshlrev_b32_e32 v71, 16, v26
	v_lshlrev_b32_e32 v75, 16, v30
	v_and_b32_e32 v21, 0xffff0000, v26
	v_lshlrev_b32_e32 v72, 16, v25
	v_and_b32_e32 v26, 0xffff0000, v25
	v_and_b32_e32 v25, 0xffff0000, v30
	v_lshlrev_b32_e32 v73, 16, v27
	v_lshlrev_b32_e32 v85, 16, v31
	;; [unrolled: 1-line block ×3, first 2 shown]
	v_and_b32_e32 v27, 0xffff0000, v27
	v_and_b32_e32 v31, 0xffff0000, v31
	;; [unrolled: 1-line block ×3, first 2 shown]
	v_lshlrev_b32_e32 v87, 16, v46
	v_lshlrev_b32_e32 v91, 16, v50
	v_and_b32_e32 v29, 0xffff0000, v46
	v_lshlrev_b32_e32 v88, 16, v45
	v_and_b32_e32 v46, 0xffff0000, v45
	v_and_b32_e32 v45, 0xffff0000, v50
	v_lshlrev_b32_e32 v89, 16, v47
	v_lshlrev_b32_e32 v93, 16, v51
	;; [unrolled: 1-line block ×3, first 2 shown]
	v_and_b32_e32 v47, 0xffff0000, v47
	v_and_b32_e32 v51, 0xffff0000, v51
	;; [unrolled: 1-line block ×3, first 2 shown]
	s_waitcnt vmcnt(3)
	v_lshlrev_b32_e32 v48, 16, v76
	v_and_b32_e32 v76, 0xffff0000, v76
	v_pk_fma_f32 v[40:41], v[54:55], v[48:49], v[40:41] op_sel_hi:[1,0,1]
	v_pk_fma_f32 v[38:39], v[58:59], v[48:49], v[38:39] op_sel_hi:[1,0,1]
	v_lshlrev_b32_e32 v94, 16, v77
	v_pk_fma_f32 v[40:41], v[52:53], v[76:77], v[40:41] op_sel_hi:[1,0,1]
	v_pk_fma_f32 v[0:1], v[0:1], v[76:77], v[38:39] op_sel_hi:[1,0,1]
	v_and_b32_e32 v96, 0xffff0000, v77
	v_pk_fma_f32 v[40:41], v[56:57], v[94:95], v[40:41] op_sel_hi:[1,0,1]
	v_pk_fma_f32 v[0:1], v[60:61], v[94:95], v[0:1] op_sel_hi:[1,0,1]
	s_waitcnt vmcnt(2)
	v_lshlrev_b32_e32 v98, 16, v78
	v_pk_fma_f32 v[2:3], v[2:3], v[96:97], v[40:41] op_sel_hi:[1,0,1]
	v_pk_fma_f32 v[0:1], v[14:15], v[96:97], v[0:1] op_sel_hi:[1,0,1]
	v_and_b32_e32 v54, 0xffff0000, v78
	v_pk_fma_f32 v[2:3], v[62:63], v[98:99], v[2:3] op_sel_hi:[1,0,1]
	v_pk_fma_f32 v[0:1], v[66:67], v[98:99], v[0:1] op_sel_hi:[1,0,1]
	v_lshlrev_b32_e32 v48, 16, v79
	v_pk_fma_f32 v[2:3], v[12:13], v[54:55], v[2:3] op_sel_hi:[1,0,1]
	v_pk_fma_f32 v[0:1], v[16:17], v[54:55], v[0:1] op_sel_hi:[1,0,1]
	v_and_b32_e32 v58, 0xffff0000, v79
	v_pk_fma_f32 v[2:3], v[64:65], v[48:49], v[2:3] op_sel_hi:[1,0,1]
	v_pk_fma_f32 v[0:1], v[68:69], v[48:49], v[0:1] op_sel_hi:[1,0,1]
	s_waitcnt vmcnt(1)
	v_lshlrev_b32_e32 v78, 16, v80
	v_pk_fma_f32 v[2:3], v[18:19], v[58:59], v[2:3] op_sel_hi:[1,0,1]
	v_pk_fma_f32 v[0:1], v[22:23], v[58:59], v[0:1] op_sel_hi:[1,0,1]
	;; [unrolled: 13-line block ×3, first 2 shown]
	v_and_b32_e32 v56, 0xffff0000, v82
	v_pk_fma_f32 v[2:3], v[86:87], v[80:81], v[2:3] op_sel_hi:[1,0,1]
	v_pk_fma_f32 v[0:1], v[90:91], v[80:81], v[0:1] op_sel_hi:[1,0,1]
	v_lshlrev_b32_e32 v60, 16, v83
	v_pk_fma_f32 v[2:3], v[28:29], v[56:57], v[2:3] op_sel_hi:[1,0,1]
	v_pk_fma_f32 v[0:1], v[44:45], v[56:57], v[0:1] op_sel_hi:[1,0,1]
	v_and_b32_e32 v82, 0xffff0000, v83
	v_pk_fma_f32 v[2:3], v[88:89], v[60:61], v[2:3] op_sel_hi:[1,0,1]
	v_pk_fma_f32 v[0:1], v[92:93], v[60:61], v[0:1] op_sel_hi:[1,0,1]
	;; [unrolled: 1-line block ×4, first 2 shown]
	s_andn2_b64 exec, exec, s[14:15]
	s_cbranch_execnz .LBB107_21
; %bb.22:
	s_or_b64 exec, exec, s[14:15]
.LBB107_23:
	s_or_b64 exec, exec, s[10:11]
.LBB107_24:
	s_or_b64 exec, exec, s[8:9]
	s_cbranch_execz .LBB107_26
	s_branch .LBB107_37
.LBB107_25:
                                        ; implicit-def: $vgpr39
                                        ; implicit-def: $vgpr41
.LBB107_26:
	v_mov_b32_e32 v39, 0
	v_mov_b32_e32 v38, 0
	;; [unrolled: 1-line block ×4, first 2 shown]
	s_and_saveexec_b64 s[8:9], s[0:1]
	s_cbranch_execz .LBB107_36
; %bb.27:
	v_add_u32_e32 v0, v8, v33
	v_subrev_u32_e32 v0, s18, v0
	v_add_u32_e32 v0, 16, v0
	v_max_i32_e32 v0, v0, v42
	v_not_b32_e32 v1, v8
	v_add3_u32 v0, v0, s18, v1
	v_sub_u32_e32 v0, v0, v33
	v_lshrrev_b32_e32 v1, 4, v0
	v_add_u32_e32 v1, 1, v1
	v_and_b32_e32 v1, 3, v1
	v_mov_b32_e32 v40, 0
	v_cmp_ne_u32_e32 vcc, 0, v1
	v_mov_b32_e32 v41, v40
	v_mov_b32_e32 v38, v40
	;; [unrolled: 1-line block ×3, first 2 shown]
	s_and_saveexec_b64 s[0:1], vcc
	s_cbranch_execz .LBB107_31
; %bb.28:
	v_mov_b32_e32 v39, 0
	v_lshlrev_b32_e32 v1, 5, v1
	s_mov_b64 s[10:11], 0
	v_mov_b32_e32 v2, s13
	v_mov_b32_e32 v3, s7
	;; [unrolled: 1-line block ×5, first 2 shown]
.LBB107_29:                             ; =>This Inner Loop Header: Depth=1
	v_ashrrev_i32_e32 v35, 31, v34
	v_lshlrev_b64 v[4:5], 2, v[34:35]
	v_add_co_u32_e32 v8, vcc, s12, v4
	v_addc_co_u32_e32 v9, vcc, v2, v5, vcc
	global_load_dword v10, v[8:9], off
	global_load_dwordx4 v[4:7], v[36:37], off
	v_subrev_u32_e32 v1, 32, v1
	v_add_u32_e32 v34, 16, v34
	s_waitcnt vmcnt(1)
	v_subrev_u32_e32 v8, s18, v10
	v_lshlrev_b32_e32 v8, 2, v8
	v_ashrrev_i32_e32 v9, 31, v8
	v_lshlrev_b64 v[8:9], 1, v[8:9]
	v_add_co_u32_e32 v12, vcc, s6, v8
	v_addc_co_u32_e32 v13, vcc, v3, v9, vcc
	global_load_dwordx2 v[14:15], v[12:13], off
	global_load_dwordx4 v[8:11], v[36:37], off offset:16
	s_waitcnt vmcnt(2)
	v_and_b32_e32 v13, 0xffff0000, v4
	v_lshlrev_b32_e32 v12, 16, v4
	v_and_b32_e32 v17, 0xffff0000, v5
	v_lshlrev_b32_e32 v16, 16, v5
	v_add_co_u32_e32 v36, vcc, 0x200, v36
	v_and_b32_e32 v5, 0xffff0000, v6
	v_lshlrev_b32_e32 v4, 16, v6
	v_and_b32_e32 v19, 0xffff0000, v7
	v_lshlrev_b32_e32 v18, 16, v7
	v_addc_co_u32_e32 v37, vcc, 0, v37, vcc
	v_cmp_eq_u32_e32 vcc, 0, v1
	s_or_b64 s[10:11], vcc, s[10:11]
	s_waitcnt vmcnt(1)
	v_lshlrev_b32_e32 v24, 16, v15
	s_waitcnt vmcnt(0)
	v_and_b32_e32 v21, 0xffff0000, v10
	v_lshlrev_b32_e32 v20, 16, v10
	v_lshlrev_b32_e32 v10, 16, v14
	v_and_b32_e32 v7, 0xffff0000, v8
	v_lshlrev_b32_e32 v6, 16, v8
	v_and_b32_e32 v23, 0xffff0000, v9
	;; [unrolled: 2-line block ×4, first 2 shown]
	v_pk_fma_f32 v[12:13], v[12:13], v[10:11], v[40:41] op_sel_hi:[1,0,1]
	v_pk_fma_f32 v[10:11], v[16:17], v[10:11], v[38:39] op_sel_hi:[1,0,1]
	;; [unrolled: 1-line block ×4, first 2 shown]
	v_and_b32_e32 v26, 0xffff0000, v15
	v_pk_fma_f32 v[4:5], v[6:7], v[24:25], v[4:5] op_sel_hi:[1,0,1]
	v_pk_fma_f32 v[6:7], v[22:23], v[24:25], v[10:11] op_sel_hi:[1,0,1]
	;; [unrolled: 1-line block ×4, first 2 shown]
	s_andn2_b64 exec, exec, s[10:11]
	s_cbranch_execnz .LBB107_29
; %bb.30:
	s_or_b64 exec, exec, s[10:11]
.LBB107_31:
	s_or_b64 exec, exec, s[0:1]
	v_cmp_lt_u32_e32 vcc, 47, v0
	s_and_saveexec_b64 s[0:1], vcc
	s_cbranch_execz .LBB107_35
; %bb.32:
	s_mov_b64 s[10:11], 0
	v_mov_b32_e32 v43, s13
	v_mov_b32_e32 v44, s7
.LBB107_33:                             ; =>This Inner Loop Header: Depth=1
	global_load_dwordx4 v[0:3], v[36:37], off
	global_load_dwordx4 v[4:7], v[36:37], off offset:16
	global_load_dwordx4 v[12:15], v[36:37], off offset:512
	;; [unrolled: 1-line block ×7, first 2 shown]
	v_ashrrev_i32_e32 v35, 31, v34
	v_add_co_u32_e32 v36, vcc, 0x800, v36
	v_lshlrev_b64 v[46:47], 2, v[34:35]
	v_addc_co_u32_e32 v37, vcc, 0, v37, vcc
	v_add_co_u32_e32 v46, vcc, s12, v46
	v_addc_co_u32_e32 v47, vcc, v43, v47, vcc
	global_load_dword v35, v[46:47], off
	global_load_dword v45, v[46:47], off offset:64
	global_load_dword v62, v[46:47], off offset:128
	;; [unrolled: 1-line block ×3, first 2 shown]
	v_add_u32_e32 v34, 64, v34
	v_cmp_ge_i32_e32 vcc, v34, v42
	s_or_b64 s[10:11], vcc, s[10:11]
	s_waitcnt vmcnt(11)
	v_and_b32_e32 v47, 0xffff0000, v0
	v_lshlrev_b32_e32 v46, 16, v0
	v_and_b32_e32 v49, 0xffff0000, v1
	v_lshlrev_b32_e32 v48, 16, v1
	v_and_b32_e32 v1, 0xffff0000, v2
	v_lshlrev_b32_e32 v0, 16, v2
	v_and_b32_e32 v51, 0xffff0000, v3
	v_lshlrev_b32_e32 v50, 16, v3
	s_waitcnt vmcnt(10)
	v_and_b32_e32 v3, 0xffff0000, v4
	v_lshlrev_b32_e32 v2, 16, v4
	v_and_b32_e32 v53, 0xffff0000, v6
	v_lshlrev_b32_e32 v52, 16, v6
	v_and_b32_e32 v55, 0xffff0000, v5
	v_lshlrev_b32_e32 v54, 16, v5
	v_and_b32_e32 v5, 0xffff0000, v7
	v_lshlrev_b32_e32 v4, 16, v7
	;; [unrolled: 9-line block ×3, first 2 shown]
	s_waitcnt vmcnt(8)
	v_and_b32_e32 v15, 0xffff0000, v8
	v_lshlrev_b32_e32 v14, 16, v8
	s_waitcnt vmcnt(3)
	v_subrev_u32_e32 v8, s18, v35
	s_waitcnt vmcnt(1)
	v_subrev_u32_e32 v35, s18, v62
	v_lshlrev_b32_e32 v62, 2, v8
	v_and_b32_e32 v61, 0xffff0000, v10
	v_lshlrev_b32_e32 v60, 16, v10
	v_subrev_u32_e32 v10, s18, v45
	s_waitcnt vmcnt(0)
	v_subrev_u32_e32 v45, s18, v63
	v_ashrrev_i32_e32 v63, 31, v62
	v_lshlrev_b32_e32 v64, 2, v10
	v_lshlrev_b64 v[62:63], 1, v[62:63]
	v_ashrrev_i32_e32 v65, 31, v64
	v_add_co_u32_e32 v62, vcc, s6, v62
	v_lshlrev_b32_e32 v66, 2, v35
	v_lshlrev_b64 v[64:65], 1, v[64:65]
	v_addc_co_u32_e32 v63, vcc, v44, v63, vcc
	v_ashrrev_i32_e32 v67, 31, v66
	v_add_co_u32_e32 v64, vcc, s6, v64
	v_lshlrev_b32_e32 v68, 2, v45
	v_lshlrev_b64 v[66:67], 1, v[66:67]
	v_addc_co_u32_e32 v65, vcc, v44, v65, vcc
	v_ashrrev_i32_e32 v69, 31, v68
	v_add_co_u32_e32 v66, vcc, s6, v66
	v_lshlrev_b64 v[68:69], 1, v[68:69]
	v_addc_co_u32_e32 v67, vcc, v44, v67, vcc
	v_add_co_u32_e32 v68, vcc, s6, v68
	v_addc_co_u32_e32 v69, vcc, v44, v69, vcc
	global_load_dwordx2 v[70:71], v[62:63], off
	global_load_dwordx2 v[72:73], v[64:65], off
	;; [unrolled: 1-line block ×4, first 2 shown]
	v_and_b32_e32 v85, 0xffff0000, v26
	v_lshlrev_b32_e32 v84, 16, v26
	v_and_b32_e32 v63, 0xffff0000, v9
	v_lshlrev_b32_e32 v62, 16, v9
	;; [unrolled: 2-line block ×18, first 2 shown]
	s_waitcnt vmcnt(3)
	v_lshlrev_b32_e32 v26, 16, v70
	v_and_b32_e32 v70, 0xffff0000, v70
	v_pk_fma_f32 v[40:41], v[46:47], v[26:27], v[40:41] op_sel_hi:[1,0,1]
	v_pk_fma_f32 v[26:27], v[48:49], v[26:27], v[38:39] op_sel_hi:[1,0,1]
	v_lshlrev_b32_e32 v88, 16, v71
	v_pk_fma_f32 v[0:1], v[0:1], v[70:71], v[40:41] op_sel_hi:[1,0,1]
	v_pk_fma_f32 v[26:27], v[50:51], v[70:71], v[26:27] op_sel_hi:[1,0,1]
	v_and_b32_e32 v90, 0xffff0000, v71
	v_pk_fma_f32 v[0:1], v[2:3], v[88:89], v[0:1] op_sel_hi:[1,0,1]
	v_pk_fma_f32 v[26:27], v[54:55], v[88:89], v[26:27] op_sel_hi:[1,0,1]
	s_waitcnt vmcnt(2)
	v_lshlrev_b32_e32 v92, 16, v72
	v_pk_fma_f32 v[0:1], v[52:53], v[90:91], v[0:1] op_sel_hi:[1,0,1]
	v_pk_fma_f32 v[4:5], v[4:5], v[90:91], v[26:27] op_sel_hi:[1,0,1]
	v_and_b32_e32 v46, 0xffff0000, v72
	v_pk_fma_f32 v[0:1], v[6:7], v[92:93], v[0:1] op_sel_hi:[1,0,1]
	v_pk_fma_f32 v[4:5], v[56:57], v[92:93], v[4:5] op_sel_hi:[1,0,1]
	v_lshlrev_b32_e32 v38, 16, v73
	v_pk_fma_f32 v[0:1], v[12:13], v[46:47], v[0:1] op_sel_hi:[1,0,1]
	v_pk_fma_f32 v[4:5], v[58:59], v[46:47], v[4:5] op_sel_hi:[1,0,1]
	v_and_b32_e32 v48, 0xffff0000, v73
	v_pk_fma_f32 v[0:1], v[14:15], v[38:39], v[0:1] op_sel_hi:[1,0,1]
	v_pk_fma_f32 v[4:5], v[62:63], v[38:39], v[4:5] op_sel_hi:[1,0,1]
	s_waitcnt vmcnt(1)
	v_lshlrev_b32_e32 v72, 16, v74
	v_pk_fma_f32 v[0:1], v[60:61], v[48:49], v[0:1] op_sel_hi:[1,0,1]
	v_pk_fma_f32 v[4:5], v[8:9], v[48:49], v[4:5] op_sel_hi:[1,0,1]
	;; [unrolled: 13-line block ×3, first 2 shown]
	v_and_b32_e32 v2, 0xffff0000, v76
	v_pk_fma_f32 v[0:1], v[22:23], v[74:75], v[0:1] op_sel_hi:[1,0,1]
	v_pk_fma_f32 v[4:5], v[80:81], v[74:75], v[4:5] op_sel_hi:[1,0,1]
	v_lshlrev_b32_e32 v54, 16, v77
	v_pk_fma_f32 v[0:1], v[28:29], v[2:3], v[0:1] op_sel_hi:[1,0,1]
	v_pk_fma_f32 v[2:3], v[82:83], v[2:3], v[4:5] op_sel_hi:[1,0,1]
	v_and_b32_e32 v76, 0xffff0000, v77
	v_pk_fma_f32 v[0:1], v[30:31], v[54:55], v[0:1] op_sel_hi:[1,0,1]
	v_pk_fma_f32 v[2:3], v[86:87], v[54:55], v[2:3] op_sel_hi:[1,0,1]
	;; [unrolled: 1-line block ×4, first 2 shown]
	s_andn2_b64 exec, exec, s[10:11]
	s_cbranch_execnz .LBB107_33
; %bb.34:
	s_or_b64 exec, exec, s[10:11]
.LBB107_35:
	s_or_b64 exec, exec, s[0:1]
.LBB107_36:
	s_or_b64 exec, exec, s[8:9]
.LBB107_37:
	v_mov_b32_dpp v0, v40 row_shr:1 row_mask:0xf bank_mask:0xf
	v_mov_b32_dpp v1, v41 row_shr:1 row_mask:0xf bank_mask:0xf
	;; [unrolled: 1-line block ×4, first 2 shown]
	v_pk_add_f32 v[0:1], v[40:41], v[0:1]
	v_pk_add_f32 v[4:5], v[38:39], v[4:5]
	v_cmp_eq_u32_e32 vcc, 15, v33
	v_mov_b32_dpp v2, v0 row_shr:2 row_mask:0xf bank_mask:0xf
	v_mov_b32_dpp v3, v1 row_shr:2 row_mask:0xf bank_mask:0xf
	;; [unrolled: 1-line block ×4, first 2 shown]
	v_pk_add_f32 v[0:1], v[0:1], v[2:3]
	v_pk_add_f32 v[4:5], v[4:5], v[6:7]
	s_nop 0
	v_mov_b32_dpp v2, v0 row_shr:4 row_mask:0xf bank_mask:0xe
	v_mov_b32_dpp v3, v1 row_shr:4 row_mask:0xf bank_mask:0xe
	;; [unrolled: 1-line block ×4, first 2 shown]
	v_pk_add_f32 v[0:1], v[0:1], v[2:3]
	v_pk_add_f32 v[4:5], v[4:5], v[6:7]
	s_nop 0
	v_mov_b32_dpp v2, v0 row_shr:8 row_mask:0xf bank_mask:0xc
	v_mov_b32_dpp v3, v1 row_shr:8 row_mask:0xf bank_mask:0xc
	;; [unrolled: 1-line block ×4, first 2 shown]
	s_and_b64 exec, exec, vcc
	s_cbranch_execz .LBB107_10
; %bb.38:
	s_load_dwordx2 s[0:1], s[4:5], 0x50
	v_cmp_eq_f32_e64 s[4:5], s16, 0
	v_pk_add_f32 v[2:3], v[0:1], v[2:3]
	v_pk_add_f32 v[0:1], v[4:5], v[6:7]
	s_and_b64 vcc, exec, s[4:5]
	v_lshlrev_b32_e32 v4, 2, v32
	s_cbranch_vccz .LBB107_40
; %bb.39:
	v_ashrrev_i32_e32 v5, 31, v4
	v_lshlrev_b64 v[6:7], 2, v[4:5]
	s_waitcnt lgkmcnt(0)
	v_mov_b32_e32 v5, s1
	v_add_co_u32_e32 v10, vcc, s0, v6
	v_addc_co_u32_e32 v11, vcc, v5, v7, vcc
	v_pk_mul_f32 v[6:7], s[2:3], v[2:3] op_sel_hi:[0,1]
	v_pk_mul_f32 v[8:9], s[2:3], v[0:1] op_sel_hi:[0,1]
	global_store_dwordx4 v[10:11], v[6:9], off
	s_cbranch_execnz .LBB107_10
	s_branch .LBB107_41
.LBB107_40:
.LBB107_41:
	v_ashrrev_i32_e32 v5, 31, v4
	v_lshlrev_b64 v[4:5], 2, v[4:5]
	s_waitcnt lgkmcnt(0)
	v_mov_b32_e32 v6, s1
	v_add_co_u32_e32 v8, vcc, s0, v4
	v_addc_co_u32_e32 v9, vcc, v6, v5, vcc
	global_load_dwordx4 v[4:7], v[8:9], off
	v_pk_mul_f32 v[2:3], s[2:3], v[2:3] op_sel_hi:[0,1]
	v_pk_mul_f32 v[10:11], s[2:3], v[0:1] op_sel_hi:[0,1]
	s_waitcnt vmcnt(0)
	v_pk_fma_f32 v[0:1], s[16:17], v[4:5], v[2:3] op_sel_hi:[0,1,1]
	v_pk_fma_f32 v[2:3], s[16:17], v[6:7], v[10:11] op_sel_hi:[0,1,1]
	global_store_dwordx4 v[8:9], v[0:3], off
	s_endpgm
	.section	.rodata,"a",@progbits
	.p2align	6, 0x0
	.amdhsa_kernel _ZN9rocsparseL18bsrxmvn_4x4_kernelILj128ELj16Efii18rocsparse_bfloat16S1_fEEvT3_20rocsparse_direction_NS_24const_host_device_scalarIT1_EES2_PKS2_PKT2_SB_S8_PKT4_PKT5_S6_PT6_21rocsparse_index_base_b
		.amdhsa_group_segment_fixed_size 0
		.amdhsa_private_segment_fixed_size 0
		.amdhsa_kernarg_size 96
		.amdhsa_user_sgpr_count 6
		.amdhsa_user_sgpr_private_segment_buffer 1
		.amdhsa_user_sgpr_dispatch_ptr 0
		.amdhsa_user_sgpr_queue_ptr 0
		.amdhsa_user_sgpr_kernarg_segment_ptr 1
		.amdhsa_user_sgpr_dispatch_id 0
		.amdhsa_user_sgpr_flat_scratch_init 0
		.amdhsa_user_sgpr_kernarg_preload_length 0
		.amdhsa_user_sgpr_kernarg_preload_offset 0
		.amdhsa_user_sgpr_private_segment_size 0
		.amdhsa_uses_dynamic_stack 0
		.amdhsa_system_sgpr_private_segment_wavefront_offset 0
		.amdhsa_system_sgpr_workgroup_id_x 1
		.amdhsa_system_sgpr_workgroup_id_y 0
		.amdhsa_system_sgpr_workgroup_id_z 0
		.amdhsa_system_sgpr_workgroup_info 0
		.amdhsa_system_vgpr_workitem_id 0
		.amdhsa_next_free_vgpr 100
		.amdhsa_next_free_sgpr 20
		.amdhsa_accum_offset 100
		.amdhsa_reserve_vcc 1
		.amdhsa_reserve_flat_scratch 0
		.amdhsa_float_round_mode_32 0
		.amdhsa_float_round_mode_16_64 0
		.amdhsa_float_denorm_mode_32 3
		.amdhsa_float_denorm_mode_16_64 3
		.amdhsa_dx10_clamp 1
		.amdhsa_ieee_mode 1
		.amdhsa_fp16_overflow 0
		.amdhsa_tg_split 0
		.amdhsa_exception_fp_ieee_invalid_op 0
		.amdhsa_exception_fp_denorm_src 0
		.amdhsa_exception_fp_ieee_div_zero 0
		.amdhsa_exception_fp_ieee_overflow 0
		.amdhsa_exception_fp_ieee_underflow 0
		.amdhsa_exception_fp_ieee_inexact 0
		.amdhsa_exception_int_div_zero 0
	.end_amdhsa_kernel
	.section	.text._ZN9rocsparseL18bsrxmvn_4x4_kernelILj128ELj16Efii18rocsparse_bfloat16S1_fEEvT3_20rocsparse_direction_NS_24const_host_device_scalarIT1_EES2_PKS2_PKT2_SB_S8_PKT4_PKT5_S6_PT6_21rocsparse_index_base_b,"axG",@progbits,_ZN9rocsparseL18bsrxmvn_4x4_kernelILj128ELj16Efii18rocsparse_bfloat16S1_fEEvT3_20rocsparse_direction_NS_24const_host_device_scalarIT1_EES2_PKS2_PKT2_SB_S8_PKT4_PKT5_S6_PT6_21rocsparse_index_base_b,comdat
.Lfunc_end107:
	.size	_ZN9rocsparseL18bsrxmvn_4x4_kernelILj128ELj16Efii18rocsparse_bfloat16S1_fEEvT3_20rocsparse_direction_NS_24const_host_device_scalarIT1_EES2_PKS2_PKT2_SB_S8_PKT4_PKT5_S6_PT6_21rocsparse_index_base_b, .Lfunc_end107-_ZN9rocsparseL18bsrxmvn_4x4_kernelILj128ELj16Efii18rocsparse_bfloat16S1_fEEvT3_20rocsparse_direction_NS_24const_host_device_scalarIT1_EES2_PKS2_PKT2_SB_S8_PKT4_PKT5_S6_PT6_21rocsparse_index_base_b
                                        ; -- End function
	.section	.AMDGPU.csdata,"",@progbits
; Kernel info:
; codeLenInByte = 3964
; NumSgprs: 24
; NumVgprs: 100
; NumAgprs: 0
; TotalNumVgprs: 100
; ScratchSize: 0
; MemoryBound: 0
; FloatMode: 240
; IeeeMode: 1
; LDSByteSize: 0 bytes/workgroup (compile time only)
; SGPRBlocks: 2
; VGPRBlocks: 12
; NumSGPRsForWavesPerEU: 24
; NumVGPRsForWavesPerEU: 100
; AccumOffset: 100
; Occupancy: 4
; WaveLimiterHint : 1
; COMPUTE_PGM_RSRC2:SCRATCH_EN: 0
; COMPUTE_PGM_RSRC2:USER_SGPR: 6
; COMPUTE_PGM_RSRC2:TRAP_HANDLER: 0
; COMPUTE_PGM_RSRC2:TGID_X_EN: 1
; COMPUTE_PGM_RSRC2:TGID_Y_EN: 0
; COMPUTE_PGM_RSRC2:TGID_Z_EN: 0
; COMPUTE_PGM_RSRC2:TIDIG_COMP_CNT: 0
; COMPUTE_PGM_RSRC3_GFX90A:ACCUM_OFFSET: 24
; COMPUTE_PGM_RSRC3_GFX90A:TG_SPLIT: 0
	.section	.text._ZN9rocsparseL18bsrxmvn_4x4_kernelILj128ELj32Efii18rocsparse_bfloat16S1_fEEvT3_20rocsparse_direction_NS_24const_host_device_scalarIT1_EES2_PKS2_PKT2_SB_S8_PKT4_PKT5_S6_PT6_21rocsparse_index_base_b,"axG",@progbits,_ZN9rocsparseL18bsrxmvn_4x4_kernelILj128ELj32Efii18rocsparse_bfloat16S1_fEEvT3_20rocsparse_direction_NS_24const_host_device_scalarIT1_EES2_PKS2_PKT2_SB_S8_PKT4_PKT5_S6_PT6_21rocsparse_index_base_b,comdat
	.globl	_ZN9rocsparseL18bsrxmvn_4x4_kernelILj128ELj32Efii18rocsparse_bfloat16S1_fEEvT3_20rocsparse_direction_NS_24const_host_device_scalarIT1_EES2_PKS2_PKT2_SB_S8_PKT4_PKT5_S6_PT6_21rocsparse_index_base_b ; -- Begin function _ZN9rocsparseL18bsrxmvn_4x4_kernelILj128ELj32Efii18rocsparse_bfloat16S1_fEEvT3_20rocsparse_direction_NS_24const_host_device_scalarIT1_EES2_PKS2_PKT2_SB_S8_PKT4_PKT5_S6_PT6_21rocsparse_index_base_b
	.p2align	8
	.type	_ZN9rocsparseL18bsrxmvn_4x4_kernelILj128ELj32Efii18rocsparse_bfloat16S1_fEEvT3_20rocsparse_direction_NS_24const_host_device_scalarIT1_EES2_PKS2_PKT2_SB_S8_PKT4_PKT5_S6_PT6_21rocsparse_index_base_b,@function
_ZN9rocsparseL18bsrxmvn_4x4_kernelILj128ELj32Efii18rocsparse_bfloat16S1_fEEvT3_20rocsparse_direction_NS_24const_host_device_scalarIT1_EES2_PKS2_PKT2_SB_S8_PKT4_PKT5_S6_PT6_21rocsparse_index_base_b: ; @_ZN9rocsparseL18bsrxmvn_4x4_kernelILj128ELj32Efii18rocsparse_bfloat16S1_fEEvT3_20rocsparse_direction_NS_24const_host_device_scalarIT1_EES2_PKS2_PKT2_SB_S8_PKT4_PKT5_S6_PT6_21rocsparse_index_base_b
; %bb.0:
	s_load_dwordx2 s[18:19], s[4:5], 0x58
	s_load_dwordx2 s[2:3], s[4:5], 0x8
	;; [unrolled: 1-line block ×3, first 2 shown]
	s_waitcnt lgkmcnt(0)
	s_bitcmp1_b32 s19, 0
	s_cselect_b64 s[8:9], -1, 0
	s_xor_b64 s[0:1], s[8:9], -1
	s_and_b64 vcc, exec, s[8:9]
	s_cbranch_vccnz .LBB108_2
; %bb.1:
	s_load_dword s2, s[2:3], 0x0
.LBB108_2:
	s_andn2_b64 vcc, exec, s[0:1]
	s_cbranch_vccnz .LBB108_4
; %bb.3:
	s_load_dword s16, s[16:17], 0x0
.LBB108_4:
	s_waitcnt lgkmcnt(0)
	v_cmp_neq_f32_e64 s[0:1], s2, 0
	v_cmp_neq_f32_e64 s[8:9], s16, 1.0
	s_or_b64 s[0:1], s[0:1], s[8:9]
	s_andn2_b64 vcc, exec, s[0:1]
	s_cbranch_vccnz .LBB108_10
; %bb.5:
	s_load_dwordx2 s[8:9], s[4:5], 0x18
	s_load_dwordx2 s[0:1], s[4:5], 0x0
	v_lshrrev_b32_e32 v1, 5, v0
	v_lshl_or_b32 v32, s6, 2, v1
	s_mov_b64 s[6:7], 0
	s_waitcnt lgkmcnt(0)
	s_cmp_lg_u64 s[8:9], 0
	s_cbranch_scc0 .LBB108_11
; %bb.6:
	s_load_dword s3, s[4:5], 0x10
                                        ; implicit-def: $vgpr1
	s_waitcnt lgkmcnt(0)
	v_cmp_gt_i32_e32 vcc, s3, v32
	s_and_saveexec_b64 s[10:11], vcc
	s_xor_b64 s[10:11], exec, s[10:11]
	s_cbranch_execz .LBB108_8
; %bb.7:
	v_ashrrev_i32_e32 v33, 31, v32
	v_lshlrev_b64 v[2:3], 2, v[32:33]
	v_mov_b32_e32 v1, s9
	v_add_co_u32_e32 v2, vcc, s8, v2
	v_addc_co_u32_e32 v3, vcc, v1, v3, vcc
	global_load_dword v1, v[2:3], off
	s_mov_b64 s[6:7], exec
	s_waitcnt vmcnt(0)
	v_subrev_u32_e32 v1, s18, v1
.LBB108_8:
	s_or_b64 exec, exec, s[10:11]
	s_branch .LBB108_12
.LBB108_9:
	v_cmp_gt_i32_e32 vcc, s0, v32
	s_andn2_b64 s[6:7], s[6:7], exec
	s_and_b64 s[8:9], vcc, exec
	s_or_b64 s[6:7], s[6:7], s[8:9]
	s_and_saveexec_b64 s[8:9], s[6:7]
	s_cbranch_execnz .LBB108_13
.LBB108_10:
	s_endpgm
.LBB108_11:
                                        ; implicit-def: $vgpr1
	s_cbranch_execnz .LBB108_9
.LBB108_12:
	v_mov_b32_e32 v32, v1
	s_and_saveexec_b64 s[8:9], s[6:7]
	s_cbranch_execz .LBB108_10
.LBB108_13:
	s_load_dwordx8 s[8:15], s[4:5], 0x20
	v_ashrrev_i32_e32 v33, 31, v32
	v_lshlrev_b64 v[2:3], 2, v[32:33]
	v_and_b32_e32 v33, 31, v0
	s_load_dwordx2 s[6:7], s[4:5], 0x40
	s_waitcnt lgkmcnt(0)
	v_mov_b32_e32 v1, s9
	v_add_co_u32_e32 v4, vcc, s8, v2
	v_addc_co_u32_e32 v5, vcc, v1, v3, vcc
	v_add_co_u32_e32 v1, vcc, 4, v4
	global_load_dword v8, v[4:5], off
	v_addc_co_u32_e32 v4, vcc, 0, v5, vcc
	v_mov_b32_e32 v5, s11
	v_add_co_u32_e32 v2, vcc, s10, v2
	s_cmp_eq_u64 s[10:11], 0
	v_addc_co_u32_e32 v3, vcc, v5, v3, vcc
	s_cselect_b64 vcc, -1, 0
	v_cndmask_b32_e32 v3, v3, v4, vcc
	v_cndmask_b32_e32 v2, v2, v1, vcc
	global_load_dword v1, v[2:3], off
	v_mov_b32_e32 v2, s15
	s_cmp_eq_u32 s1, 1
	s_waitcnt vmcnt(1)
	v_subrev_u32_e32 v0, s18, v8
	v_add_u32_e32 v34, v0, v33
	v_ashrrev_i32_e32 v35, 31, v34
	s_waitcnt vmcnt(0)
	v_subrev_u32_e32 v42, s18, v1
	v_lshlrev_b64 v[0:1], 5, v[34:35]
	v_add_co_u32_e32 v36, vcc, s14, v0
	v_addc_co_u32_e32 v37, vcc, v2, v1, vcc
	v_cmp_lt_i32_e64 s[0:1], v34, v42
	s_cbranch_scc1 .LBB108_25
; %bb.14:
	s_mov_b32 s10, 0
	v_mov_b32_e32 v39, 0
	v_mov_b32_e32 v38, 0
	;; [unrolled: 1-line block ×4, first 2 shown]
	s_and_saveexec_b64 s[8:9], s[0:1]
	s_cbranch_execz .LBB108_24
; %bb.15:
	v_add_u32_e32 v0, v8, v33
	v_subrev_u32_e32 v0, s18, v0
	v_add_u32_e32 v0, 32, v0
	v_max_i32_e32 v0, v0, v42
	v_not_b32_e32 v1, v8
	v_add3_u32 v0, v0, s18, v1
	v_sub_u32_e32 v0, v0, v33
	v_lshrrev_b32_e32 v1, 5, v0
	v_add_u32_e32 v1, 1, v1
	v_and_b32_e32 v1, 3, v1
	s_mov_b32 s11, s10
	v_cmp_ne_u32_e32 vcc, 0, v1
	v_pk_mov_b32 v[40:41], s[10:11], s[10:11] op_sel:[0,1]
	v_pk_mov_b32 v[38:39], s[10:11], s[10:11] op_sel:[0,1]
	v_mov_b32_e32 v4, v34
	v_pk_mov_b32 v[6:7], v[36:37], v[36:37] op_sel:[0,1]
	s_and_saveexec_b64 s[10:11], vcc
	s_cbranch_execz .LBB108_19
; %bb.16:
	v_mov_b32_e32 v38, 0
	v_lshlrev_b32_e32 v1, 5, v1
	s_mov_b64 s[14:15], 0
	v_mov_b32_e32 v2, s13
	v_mov_b32_e32 v3, s7
	v_pk_mov_b32 v[6:7], v[36:37], v[36:37] op_sel:[0,1]
	v_mov_b32_e32 v4, v34
	v_mov_b32_e32 v39, v38
	;; [unrolled: 1-line block ×4, first 2 shown]
.LBB108_17:                             ; =>This Inner Loop Header: Depth=1
	v_ashrrev_i32_e32 v5, 31, v4
	v_lshlrev_b64 v[10:11], 2, v[4:5]
	v_add_co_u32_e32 v18, vcc, s12, v10
	v_addc_co_u32_e32 v19, vcc, v2, v11, vcc
	global_load_dword v5, v[18:19], off
	global_load_dwordx4 v[10:13], v[6:7], off
	global_load_dwordx4 v[14:17], v[6:7], off offset:16
	v_subrev_u32_e32 v1, 32, v1
	v_add_u32_e32 v4, 32, v4
	s_waitcnt vmcnt(2)
	v_subrev_u32_e32 v5, s18, v5
	v_lshlrev_b32_e32 v18, 2, v5
	v_ashrrev_i32_e32 v19, 31, v18
	v_lshlrev_b64 v[18:19], 1, v[18:19]
	v_add_co_u32_e32 v18, vcc, s6, v18
	v_addc_co_u32_e32 v19, vcc, v3, v19, vcc
	global_load_dwordx2 v[18:19], v[18:19], off
	s_waitcnt vmcnt(2)
	v_lshlrev_b32_e32 v23, 16, v12
	v_lshlrev_b32_e32 v22, 16, v10
	s_waitcnt vmcnt(1)
	v_lshlrev_b32_e32 v27, 16, v16
	v_lshlrev_b32_e32 v26, 16, v14
	v_and_b32_e32 v28, 0xffff0000, v14
	v_add_co_u32_e32 v6, vcc, 0x400, v6
	v_and_b32_e32 v25, 0xffff0000, v12
	v_and_b32_e32 v24, 0xffff0000, v10
	v_lshlrev_b32_e32 v10, 16, v15
	v_and_b32_e32 v29, 0xffff0000, v16
	v_and_b32_e32 v16, 0xffff0000, v15
	v_addc_co_u32_e32 v7, vcc, 0, v7, vcc
	v_lshlrev_b32_e32 v20, 16, v11
	v_lshlrev_b32_e32 v21, 16, v13
	v_and_b32_e32 v12, 0xffff0000, v11
	v_lshlrev_b32_e32 v11, 16, v17
	v_cmp_eq_u32_e32 vcc, 0, v1
	v_and_b32_e32 v13, 0xffff0000, v13
	v_and_b32_e32 v17, 0xffff0000, v17
	s_or_b64 s[14:15], vcc, s[14:15]
	s_waitcnt vmcnt(0)
	v_lshlrev_b32_e32 v14, 16, v18
	v_and_b32_e32 v18, 0xffff0000, v18
	v_pk_fma_f32 v[22:23], v[22:23], v[14:15], v[40:41] op_sel_hi:[1,0,1]
	v_pk_fma_f32 v[14:15], v[26:27], v[14:15], v[38:39] op_sel_hi:[1,0,1]
	v_lshlrev_b32_e32 v30, 16, v19
	v_pk_fma_f32 v[22:23], v[24:25], v[18:19], v[22:23] op_sel_hi:[1,0,1]
	v_pk_fma_f32 v[14:15], v[28:29], v[18:19], v[14:15] op_sel_hi:[1,0,1]
	v_and_b32_e32 v44, 0xffff0000, v19
	v_pk_fma_f32 v[18:19], v[20:21], v[30:31], v[22:23] op_sel_hi:[1,0,1]
	v_pk_fma_f32 v[10:11], v[10:11], v[30:31], v[14:15] op_sel_hi:[1,0,1]
	;; [unrolled: 1-line block ×4, first 2 shown]
	s_andn2_b64 exec, exec, s[14:15]
	s_cbranch_execnz .LBB108_17
; %bb.18:
	s_or_b64 exec, exec, s[14:15]
.LBB108_19:
	s_or_b64 exec, exec, s[10:11]
	s_movk_i32 s3, 0x5f
	v_cmp_lt_u32_e32 vcc, s3, v0
	s_and_saveexec_b64 s[10:11], vcc
	s_cbranch_execz .LBB108_23
; %bb.20:
	s_mov_b64 s[14:15], 0
	v_mov_b32_e32 v9, s13
	v_mov_b32_e32 v10, s7
.LBB108_21:                             ; =>This Inner Loop Header: Depth=1
	global_load_dwordx4 v[0:3], v[6:7], off
	global_load_dwordx4 v[12:15], v[6:7], off offset:16
	v_ashrrev_i32_e32 v5, 31, v4
	global_load_dwordx4 v[16:19], v[6:7], off offset:1024
	global_load_dwordx4 v[20:23], v[6:7], off offset:1040
	;; [unrolled: 1-line block ×6, first 2 shown]
	v_add_co_u32_e32 v6, vcc, 0x1000, v6
	v_lshlrev_b64 v[52:53], 2, v[4:5]
	v_addc_co_u32_e32 v7, vcc, 0, v7, vcc
	v_add_co_u32_e32 v52, vcc, s12, v52
	v_addc_co_u32_e32 v53, vcc, v9, v53, vcc
	global_load_dword v5, v[52:53], off
	global_load_dword v11, v[52:53], off offset:128
	global_load_dword v35, v[52:53], off offset:256
	;; [unrolled: 1-line block ×3, first 2 shown]
	v_add_u32_e32 v4, 0x80, v4
	v_cmp_ge_i32_e32 vcc, v4, v42
	s_or_b64 s[14:15], vcc, s[14:15]
	s_waitcnt vmcnt(9)
	v_lshlrev_b32_e32 v63, 16, v18
	v_and_b32_e32 v65, 0xffff0000, v18
	v_and_b32_e32 v18, 0xffff0000, v17
	v_lshlrev_b32_e32 v58, 16, v12
	v_and_b32_e32 v60, 0xffff0000, v12
	v_lshlrev_b32_e32 v12, 16, v17
	s_waitcnt vmcnt(8)
	v_lshlrev_b32_e32 v67, 16, v22
	v_and_b32_e32 v69, 0xffff0000, v22
	v_lshlrev_b32_e32 v55, 16, v2
	v_lshlrev_b32_e32 v54, 16, v0
	;; [unrolled: 1-line block ×3, first 2 shown]
	s_waitcnt vmcnt(4)
	v_lshlrev_b32_e32 v90, 16, v48
	s_waitcnt vmcnt(3)
	v_subrev_u32_e32 v5, s18, v5
	v_lshlrev_b32_e32 v70, 2, v5
	s_waitcnt vmcnt(2)
	v_subrev_u32_e32 v11, s18, v11
	v_ashrrev_i32_e32 v71, 31, v70
	v_lshlrev_b32_e32 v72, 2, v11
	v_lshlrev_b64 v[70:71], 1, v[70:71]
	s_waitcnt vmcnt(1)
	v_subrev_u32_e32 v17, s18, v35
	v_ashrrev_i32_e32 v73, 31, v72
	v_add_co_u32_e32 v70, vcc, s6, v70
	v_lshlrev_b32_e32 v74, 2, v17
	v_lshlrev_b64 v[72:73], 1, v[72:73]
	v_addc_co_u32_e32 v71, vcc, v10, v71, vcc
	s_waitcnt vmcnt(0)
	v_subrev_u32_e32 v22, s18, v43
	v_ashrrev_i32_e32 v75, 31, v74
	v_add_co_u32_e32 v72, vcc, s6, v72
	v_lshlrev_b32_e32 v76, 2, v22
	v_lshlrev_b64 v[74:75], 1, v[74:75]
	v_addc_co_u32_e32 v73, vcc, v10, v73, vcc
	v_ashrrev_i32_e32 v77, 31, v76
	v_add_co_u32_e32 v74, vcc, s6, v74
	v_lshlrev_b64 v[76:77], 1, v[76:77]
	v_addc_co_u32_e32 v75, vcc, v10, v75, vcc
	v_add_co_u32_e32 v76, vcc, s6, v76
	v_addc_co_u32_e32 v77, vcc, v10, v77, vcc
	global_load_dwordx2 v[78:79], v[70:71], off
	global_load_dwordx2 v[80:81], v[72:73], off
	;; [unrolled: 1-line block ×4, first 2 shown]
	v_and_b32_e32 v92, 0xffff0000, v48
	v_and_b32_e32 v57, 0xffff0000, v2
	;; [unrolled: 1-line block ×4, first 2 shown]
	v_lshlrev_b32_e32 v52, 16, v1
	v_lshlrev_b32_e32 v53, 16, v3
	v_and_b32_e32 v2, 0xffff0000, v1
	v_lshlrev_b32_e32 v0, 16, v13
	v_lshlrev_b32_e32 v1, 16, v15
	v_and_b32_e32 v3, 0xffff0000, v3
	v_and_b32_e32 v15, 0xffff0000, v15
	;; [unrolled: 1-line block ×3, first 2 shown]
	v_lshlrev_b32_e32 v62, 16, v16
	v_lshlrev_b32_e32 v66, 16, v20
	v_and_b32_e32 v64, 0xffff0000, v16
	v_and_b32_e32 v68, 0xffff0000, v20
	v_lshlrev_b32_e32 v13, 16, v19
	v_lshlrev_b32_e32 v16, 16, v21
	;; [unrolled: 1-line block ×3, first 2 shown]
	v_and_b32_e32 v19, 0xffff0000, v19
	v_and_b32_e32 v23, 0xffff0000, v23
	;; [unrolled: 1-line block ×3, first 2 shown]
	v_lshlrev_b32_e32 v71, 16, v26
	v_lshlrev_b32_e32 v70, 16, v24
	;; [unrolled: 1-line block ×4, first 2 shown]
	v_and_b32_e32 v73, 0xffff0000, v26
	v_and_b32_e32 v72, 0xffff0000, v24
	;; [unrolled: 1-line block ×4, first 2 shown]
	v_lshlrev_b32_e32 v20, 16, v25
	v_lshlrev_b32_e32 v21, 16, v27
	v_and_b32_e32 v26, 0xffff0000, v25
	v_lshlrev_b32_e32 v24, 16, v29
	v_lshlrev_b32_e32 v25, 16, v31
	v_and_b32_e32 v27, 0xffff0000, v27
	v_and_b32_e32 v31, 0xffff0000, v31
	;; [unrolled: 1-line block ×3, first 2 shown]
	v_lshlrev_b32_e32 v87, 16, v46
	v_lshlrev_b32_e32 v86, 16, v44
	;; [unrolled: 1-line block ×3, first 2 shown]
	v_and_b32_e32 v89, 0xffff0000, v46
	v_and_b32_e32 v88, 0xffff0000, v44
	;; [unrolled: 1-line block ×3, first 2 shown]
	v_lshlrev_b32_e32 v28, 16, v45
	v_lshlrev_b32_e32 v29, 16, v47
	v_and_b32_e32 v46, 0xffff0000, v45
	v_lshlrev_b32_e32 v44, 16, v49
	v_lshlrev_b32_e32 v45, 16, v51
	v_and_b32_e32 v47, 0xffff0000, v47
	v_and_b32_e32 v51, 0xffff0000, v51
	v_and_b32_e32 v50, 0xffff0000, v49
	s_waitcnt vmcnt(3)
	v_lshlrev_b32_e32 v48, 16, v78
	v_and_b32_e32 v78, 0xffff0000, v78
	v_pk_fma_f32 v[40:41], v[54:55], v[48:49], v[40:41] op_sel_hi:[1,0,1]
	v_pk_fma_f32 v[38:39], v[58:59], v[48:49], v[38:39] op_sel_hi:[1,0,1]
	v_lshlrev_b32_e32 v94, 16, v79
	v_pk_fma_f32 v[40:41], v[56:57], v[78:79], v[40:41] op_sel_hi:[1,0,1]
	v_pk_fma_f32 v[38:39], v[60:61], v[78:79], v[38:39] op_sel_hi:[1,0,1]
	v_and_b32_e32 v96, 0xffff0000, v79
	v_pk_fma_f32 v[40:41], v[52:53], v[94:95], v[40:41] op_sel_hi:[1,0,1]
	v_pk_fma_f32 v[0:1], v[0:1], v[94:95], v[38:39] op_sel_hi:[1,0,1]
	s_waitcnt vmcnt(2)
	v_lshlrev_b32_e32 v98, 16, v80
	v_pk_fma_f32 v[2:3], v[2:3], v[96:97], v[40:41] op_sel_hi:[1,0,1]
	v_pk_fma_f32 v[0:1], v[14:15], v[96:97], v[0:1] op_sel_hi:[1,0,1]
	v_and_b32_e32 v54, 0xffff0000, v80
	v_pk_fma_f32 v[2:3], v[62:63], v[98:99], v[2:3] op_sel_hi:[1,0,1]
	v_pk_fma_f32 v[0:1], v[66:67], v[98:99], v[0:1] op_sel_hi:[1,0,1]
	v_lshlrev_b32_e32 v48, 16, v81
	v_pk_fma_f32 v[2:3], v[64:65], v[54:55], v[2:3] op_sel_hi:[1,0,1]
	v_pk_fma_f32 v[0:1], v[68:69], v[54:55], v[0:1] op_sel_hi:[1,0,1]
	v_and_b32_e32 v58, 0xffff0000, v81
	v_pk_fma_f32 v[2:3], v[12:13], v[48:49], v[2:3] op_sel_hi:[1,0,1]
	v_pk_fma_f32 v[0:1], v[16:17], v[48:49], v[0:1] op_sel_hi:[1,0,1]
	s_waitcnt vmcnt(1)
	v_lshlrev_b32_e32 v80, 16, v82
	v_pk_fma_f32 v[2:3], v[18:19], v[58:59], v[2:3] op_sel_hi:[1,0,1]
	v_pk_fma_f32 v[0:1], v[22:23], v[58:59], v[0:1] op_sel_hi:[1,0,1]
	;; [unrolled: 13-line block ×3, first 2 shown]
	v_and_b32_e32 v52, 0xffff0000, v84
	v_pk_fma_f32 v[2:3], v[86:87], v[82:83], v[2:3] op_sel_hi:[1,0,1]
	v_pk_fma_f32 v[0:1], v[90:91], v[82:83], v[0:1] op_sel_hi:[1,0,1]
	v_lshlrev_b32_e32 v38, 16, v85
	v_pk_fma_f32 v[2:3], v[88:89], v[52:53], v[2:3] op_sel_hi:[1,0,1]
	v_pk_fma_f32 v[0:1], v[92:93], v[52:53], v[0:1] op_sel_hi:[1,0,1]
	v_and_b32_e32 v84, 0xffff0000, v85
	v_pk_fma_f32 v[2:3], v[28:29], v[38:39], v[2:3] op_sel_hi:[1,0,1]
	v_pk_fma_f32 v[0:1], v[44:45], v[38:39], v[0:1] op_sel_hi:[1,0,1]
	;; [unrolled: 1-line block ×4, first 2 shown]
	s_andn2_b64 exec, exec, s[14:15]
	s_cbranch_execnz .LBB108_21
; %bb.22:
	s_or_b64 exec, exec, s[14:15]
.LBB108_23:
	s_or_b64 exec, exec, s[10:11]
.LBB108_24:
	s_or_b64 exec, exec, s[8:9]
	s_cbranch_execz .LBB108_26
	s_branch .LBB108_37
.LBB108_25:
                                        ; implicit-def: $vgpr39
                                        ; implicit-def: $vgpr41
.LBB108_26:
	s_mov_b32 s10, 0
	v_mov_b32_e32 v39, 0
	v_mov_b32_e32 v38, 0
	v_mov_b32_e32 v41, 0
	v_mov_b32_e32 v40, 0
	s_and_saveexec_b64 s[8:9], s[0:1]
	s_cbranch_execz .LBB108_36
; %bb.27:
	v_add_u32_e32 v0, v8, v33
	v_subrev_u32_e32 v0, s18, v0
	v_add_u32_e32 v0, 32, v0
	v_max_i32_e32 v0, v0, v42
	v_not_b32_e32 v1, v8
	v_add3_u32 v0, v0, s18, v1
	v_sub_u32_e32 v0, v0, v33
	v_lshrrev_b32_e32 v1, 5, v0
	v_add_u32_e32 v1, 1, v1
	v_and_b32_e32 v1, 3, v1
	s_mov_b32 s11, s10
	v_cmp_ne_u32_e32 vcc, 0, v1
	v_pk_mov_b32 v[40:41], s[10:11], s[10:11] op_sel:[0,1]
	v_pk_mov_b32 v[38:39], s[10:11], s[10:11] op_sel:[0,1]
	s_and_saveexec_b64 s[0:1], vcc
	s_cbranch_execz .LBB108_31
; %bb.28:
	v_mov_b32_e32 v38, 0
	v_lshlrev_b32_e32 v1, 5, v1
	s_mov_b64 s[10:11], 0
	v_mov_b32_e32 v2, s13
	v_mov_b32_e32 v3, s7
	;; [unrolled: 1-line block ×5, first 2 shown]
.LBB108_29:                             ; =>This Inner Loop Header: Depth=1
	v_ashrrev_i32_e32 v35, 31, v34
	v_lshlrev_b64 v[4:5], 2, v[34:35]
	v_add_co_u32_e32 v8, vcc, s12, v4
	v_addc_co_u32_e32 v9, vcc, v2, v5, vcc
	global_load_dword v10, v[8:9], off
	global_load_dwordx4 v[4:7], v[36:37], off
	v_subrev_u32_e32 v1, 32, v1
	v_add_u32_e32 v34, 32, v34
	s_waitcnt vmcnt(1)
	v_subrev_u32_e32 v8, s18, v10
	v_lshlrev_b32_e32 v8, 2, v8
	v_ashrrev_i32_e32 v9, 31, v8
	v_lshlrev_b64 v[8:9], 1, v[8:9]
	v_add_co_u32_e32 v12, vcc, s6, v8
	v_addc_co_u32_e32 v13, vcc, v3, v9, vcc
	global_load_dwordx2 v[14:15], v[12:13], off
	global_load_dwordx4 v[8:11], v[36:37], off offset:16
	s_waitcnt vmcnt(2)
	v_and_b32_e32 v13, 0xffff0000, v4
	v_lshlrev_b32_e32 v12, 16, v4
	v_and_b32_e32 v17, 0xffff0000, v5
	v_lshlrev_b32_e32 v16, 16, v5
	v_and_b32_e32 v5, 0xffff0000, v6
	v_lshlrev_b32_e32 v4, 16, v6
	v_and_b32_e32 v19, 0xffff0000, v7
	v_lshlrev_b32_e32 v18, 16, v7
	v_add_co_u32_e32 v36, vcc, 0x400, v36
	v_addc_co_u32_e32 v37, vcc, 0, v37, vcc
	v_cmp_eq_u32_e32 vcc, 0, v1
	s_or_b64 s[10:11], vcc, s[10:11]
	s_waitcnt vmcnt(1)
	v_lshlrev_b32_e32 v24, 16, v15
	s_waitcnt vmcnt(0)
	v_and_b32_e32 v7, 0xffff0000, v8
	v_lshlrev_b32_e32 v6, 16, v8
	v_and_b32_e32 v21, 0xffff0000, v9
	v_lshlrev_b32_e32 v20, 16, v9
	;; [unrolled: 2-line block ×3, first 2 shown]
	v_lshlrev_b32_e32 v10, 16, v14
	v_and_b32_e32 v23, 0xffff0000, v11
	v_lshlrev_b32_e32 v22, 16, v11
	v_and_b32_e32 v14, 0xffff0000, v14
	v_pk_fma_f32 v[12:13], v[12:13], v[10:11], v[40:41] op_sel_hi:[1,0,1]
	v_pk_fma_f32 v[10:11], v[16:17], v[10:11], v[38:39] op_sel_hi:[1,0,1]
	;; [unrolled: 1-line block ×4, first 2 shown]
	v_and_b32_e32 v26, 0xffff0000, v15
	v_pk_fma_f32 v[4:5], v[6:7], v[24:25], v[4:5] op_sel_hi:[1,0,1]
	v_pk_fma_f32 v[6:7], v[20:21], v[24:25], v[10:11] op_sel_hi:[1,0,1]
	;; [unrolled: 1-line block ×4, first 2 shown]
	s_andn2_b64 exec, exec, s[10:11]
	s_cbranch_execnz .LBB108_29
; %bb.30:
	s_or_b64 exec, exec, s[10:11]
.LBB108_31:
	s_or_b64 exec, exec, s[0:1]
	s_movk_i32 s0, 0x5f
	v_cmp_lt_u32_e32 vcc, s0, v0
	s_and_saveexec_b64 s[0:1], vcc
	s_cbranch_execz .LBB108_35
; %bb.32:
	s_mov_b64 s[10:11], 0
	v_mov_b32_e32 v43, s13
	v_mov_b32_e32 v44, s7
.LBB108_33:                             ; =>This Inner Loop Header: Depth=1
	global_load_dwordx4 v[0:3], v[36:37], off
	global_load_dwordx4 v[4:7], v[36:37], off offset:16
	global_load_dwordx4 v[12:15], v[36:37], off offset:1024
	;; [unrolled: 1-line block ×7, first 2 shown]
	v_ashrrev_i32_e32 v35, 31, v34
	v_add_co_u32_e32 v36, vcc, 0x1000, v36
	v_lshlrev_b64 v[46:47], 2, v[34:35]
	v_addc_co_u32_e32 v37, vcc, 0, v37, vcc
	v_add_co_u32_e32 v46, vcc, s12, v46
	v_addc_co_u32_e32 v47, vcc, v43, v47, vcc
	global_load_dword v35, v[46:47], off
	global_load_dword v45, v[46:47], off offset:128
	global_load_dword v62, v[46:47], off offset:256
	;; [unrolled: 1-line block ×3, first 2 shown]
	v_add_u32_e32 v34, 0x80, v34
	v_cmp_ge_i32_e32 vcc, v34, v42
	s_or_b64 s[10:11], vcc, s[10:11]
	s_waitcnt vmcnt(11)
	v_and_b32_e32 v47, 0xffff0000, v0
	v_lshlrev_b32_e32 v46, 16, v0
	v_and_b32_e32 v49, 0xffff0000, v1
	v_lshlrev_b32_e32 v48, 16, v1
	v_and_b32_e32 v1, 0xffff0000, v2
	v_lshlrev_b32_e32 v0, 16, v2
	v_and_b32_e32 v51, 0xffff0000, v3
	v_lshlrev_b32_e32 v50, 16, v3
	s_waitcnt vmcnt(10)
	v_and_b32_e32 v3, 0xffff0000, v4
	v_lshlrev_b32_e32 v2, 16, v4
	v_and_b32_e32 v53, 0xffff0000, v5
	v_lshlrev_b32_e32 v52, 16, v5
	v_and_b32_e32 v5, 0xffff0000, v6
	v_lshlrev_b32_e32 v4, 16, v6
	v_and_b32_e32 v55, 0xffff0000, v7
	v_lshlrev_b32_e32 v54, 16, v7
	;; [unrolled: 9-line block ×3, first 2 shown]
	s_waitcnt vmcnt(8)
	v_and_b32_e32 v15, 0xffff0000, v8
	v_lshlrev_b32_e32 v14, 16, v8
	s_waitcnt vmcnt(3)
	v_subrev_u32_e32 v8, s18, v35
	v_and_b32_e32 v61, 0xffff0000, v9
	v_lshlrev_b32_e32 v60, 16, v9
	s_waitcnt vmcnt(2)
	v_subrev_u32_e32 v9, s18, v45
	v_lshlrev_b32_e32 v8, 2, v8
	s_waitcnt vmcnt(1)
	v_subrev_u32_e32 v35, s18, v62
	v_lshlrev_b32_e32 v62, 2, v9
	v_ashrrev_i32_e32 v9, 31, v8
	v_lshlrev_b64 v[8:9], 1, v[8:9]
	s_waitcnt vmcnt(0)
	v_subrev_u32_e32 v45, s18, v63
	v_ashrrev_i32_e32 v63, 31, v62
	v_add_co_u32_e32 v8, vcc, s6, v8
	v_lshlrev_b32_e32 v64, 2, v35
	v_lshlrev_b64 v[62:63], 1, v[62:63]
	v_addc_co_u32_e32 v9, vcc, v44, v9, vcc
	v_ashrrev_i32_e32 v65, 31, v64
	v_add_co_u32_e32 v62, vcc, s6, v62
	v_lshlrev_b32_e32 v66, 2, v45
	v_lshlrev_b64 v[64:65], 1, v[64:65]
	v_addc_co_u32_e32 v63, vcc, v44, v63, vcc
	v_ashrrev_i32_e32 v67, 31, v66
	v_add_co_u32_e32 v64, vcc, s6, v64
	v_lshlrev_b64 v[66:67], 1, v[66:67]
	v_addc_co_u32_e32 v65, vcc, v44, v65, vcc
	v_add_co_u32_e32 v66, vcc, s6, v66
	v_addc_co_u32_e32 v67, vcc, v44, v67, vcc
	global_load_dwordx2 v[68:69], v[8:9], off
	global_load_dwordx2 v[70:71], v[62:63], off
	;; [unrolled: 1-line block ×4, first 2 shown]
	v_and_b32_e32 v9, 0xffff0000, v10
	v_lshlrev_b32_e32 v8, 16, v10
	v_and_b32_e32 v63, 0xffff0000, v11
	v_lshlrev_b32_e32 v62, 16, v11
	;; [unrolled: 2-line block ×18, first 2 shown]
	s_waitcnt vmcnt(3)
	v_lshlrev_b32_e32 v26, 16, v68
	v_and_b32_e32 v68, 0xffff0000, v68
	v_pk_fma_f32 v[40:41], v[46:47], v[26:27], v[40:41] op_sel_hi:[1,0,1]
	v_pk_fma_f32 v[26:27], v[48:49], v[26:27], v[38:39] op_sel_hi:[1,0,1]
	v_lshlrev_b32_e32 v88, 16, v69
	v_pk_fma_f32 v[0:1], v[0:1], v[68:69], v[40:41] op_sel_hi:[1,0,1]
	v_pk_fma_f32 v[26:27], v[50:51], v[68:69], v[26:27] op_sel_hi:[1,0,1]
	v_and_b32_e32 v90, 0xffff0000, v69
	v_pk_fma_f32 v[0:1], v[2:3], v[88:89], v[0:1] op_sel_hi:[1,0,1]
	v_pk_fma_f32 v[26:27], v[52:53], v[88:89], v[26:27] op_sel_hi:[1,0,1]
	s_waitcnt vmcnt(2)
	v_lshlrev_b32_e32 v92, 16, v70
	v_pk_fma_f32 v[0:1], v[4:5], v[90:91], v[0:1] op_sel_hi:[1,0,1]
	v_pk_fma_f32 v[4:5], v[54:55], v[90:91], v[26:27] op_sel_hi:[1,0,1]
	v_and_b32_e32 v46, 0xffff0000, v70
	v_pk_fma_f32 v[0:1], v[6:7], v[92:93], v[0:1] op_sel_hi:[1,0,1]
	v_pk_fma_f32 v[4:5], v[56:57], v[92:93], v[4:5] op_sel_hi:[1,0,1]
	v_lshlrev_b32_e32 v38, 16, v71
	v_pk_fma_f32 v[0:1], v[12:13], v[46:47], v[0:1] op_sel_hi:[1,0,1]
	v_pk_fma_f32 v[4:5], v[58:59], v[46:47], v[4:5] op_sel_hi:[1,0,1]
	v_and_b32_e32 v48, 0xffff0000, v71
	v_pk_fma_f32 v[0:1], v[14:15], v[38:39], v[0:1] op_sel_hi:[1,0,1]
	v_pk_fma_f32 v[4:5], v[60:61], v[38:39], v[4:5] op_sel_hi:[1,0,1]
	s_waitcnt vmcnt(1)
	v_lshlrev_b32_e32 v70, 16, v72
	v_pk_fma_f32 v[0:1], v[8:9], v[48:49], v[0:1] op_sel_hi:[1,0,1]
	v_pk_fma_f32 v[4:5], v[62:63], v[48:49], v[4:5] op_sel_hi:[1,0,1]
	;; [unrolled: 13-line block ×3, first 2 shown]
	v_and_b32_e32 v2, 0xffff0000, v74
	v_pk_fma_f32 v[0:1], v[22:23], v[72:73], v[0:1] op_sel_hi:[1,0,1]
	v_pk_fma_f32 v[4:5], v[80:81], v[72:73], v[4:5] op_sel_hi:[1,0,1]
	v_lshlrev_b32_e32 v52, 16, v75
	v_pk_fma_f32 v[0:1], v[28:29], v[2:3], v[0:1] op_sel_hi:[1,0,1]
	v_pk_fma_f32 v[2:3], v[82:83], v[2:3], v[4:5] op_sel_hi:[1,0,1]
	v_and_b32_e32 v74, 0xffff0000, v75
	v_pk_fma_f32 v[0:1], v[30:31], v[52:53], v[0:1] op_sel_hi:[1,0,1]
	v_pk_fma_f32 v[2:3], v[84:85], v[52:53], v[2:3] op_sel_hi:[1,0,1]
	;; [unrolled: 1-line block ×4, first 2 shown]
	s_andn2_b64 exec, exec, s[10:11]
	s_cbranch_execnz .LBB108_33
; %bb.34:
	s_or_b64 exec, exec, s[10:11]
.LBB108_35:
	s_or_b64 exec, exec, s[0:1]
.LBB108_36:
	s_or_b64 exec, exec, s[8:9]
.LBB108_37:
	v_mov_b32_dpp v0, v40 row_shr:1 row_mask:0xf bank_mask:0xf
	v_mov_b32_dpp v1, v41 row_shr:1 row_mask:0xf bank_mask:0xf
	;; [unrolled: 1-line block ×4, first 2 shown]
	v_pk_add_f32 v[0:1], v[40:41], v[0:1]
	v_pk_add_f32 v[4:5], v[38:39], v[4:5]
	v_cmp_eq_u32_e32 vcc, 31, v33
	v_mov_b32_dpp v2, v0 row_shr:2 row_mask:0xf bank_mask:0xf
	v_mov_b32_dpp v3, v1 row_shr:2 row_mask:0xf bank_mask:0xf
	v_mov_b32_dpp v6, v4 row_shr:2 row_mask:0xf bank_mask:0xf
	v_mov_b32_dpp v7, v5 row_shr:2 row_mask:0xf bank_mask:0xf
	v_pk_add_f32 v[0:1], v[0:1], v[2:3]
	v_pk_add_f32 v[4:5], v[4:5], v[6:7]
	s_nop 0
	v_mov_b32_dpp v2, v0 row_shr:4 row_mask:0xf bank_mask:0xe
	v_mov_b32_dpp v3, v1 row_shr:4 row_mask:0xf bank_mask:0xe
	v_mov_b32_dpp v6, v4 row_shr:4 row_mask:0xf bank_mask:0xe
	v_mov_b32_dpp v7, v5 row_shr:4 row_mask:0xf bank_mask:0xe
	v_pk_add_f32 v[0:1], v[0:1], v[2:3]
	v_pk_add_f32 v[4:5], v[4:5], v[6:7]
	s_nop 0
	;; [unrolled: 7-line block ×3, first 2 shown]
	v_mov_b32_dpp v2, v0 row_bcast:15 row_mask:0xa bank_mask:0xf
	v_mov_b32_dpp v3, v1 row_bcast:15 row_mask:0xa bank_mask:0xf
	;; [unrolled: 1-line block ×4, first 2 shown]
	s_and_b64 exec, exec, vcc
	s_cbranch_execz .LBB108_10
; %bb.38:
	s_load_dwordx2 s[0:1], s[4:5], 0x50
	v_cmp_eq_f32_e64 s[4:5], s16, 0
	v_pk_add_f32 v[2:3], v[0:1], v[2:3]
	v_pk_add_f32 v[0:1], v[4:5], v[6:7]
	s_and_b64 vcc, exec, s[4:5]
	v_lshlrev_b32_e32 v4, 2, v32
	s_cbranch_vccz .LBB108_40
; %bb.39:
	v_ashrrev_i32_e32 v5, 31, v4
	v_lshlrev_b64 v[6:7], 2, v[4:5]
	s_waitcnt lgkmcnt(0)
	v_mov_b32_e32 v5, s1
	v_add_co_u32_e32 v10, vcc, s0, v6
	v_addc_co_u32_e32 v11, vcc, v5, v7, vcc
	v_pk_mul_f32 v[6:7], s[2:3], v[2:3] op_sel_hi:[0,1]
	v_pk_mul_f32 v[8:9], s[2:3], v[0:1] op_sel_hi:[0,1]
	global_store_dwordx4 v[10:11], v[6:9], off
	s_cbranch_execnz .LBB108_10
	s_branch .LBB108_41
.LBB108_40:
.LBB108_41:
	v_ashrrev_i32_e32 v5, 31, v4
	v_lshlrev_b64 v[4:5], 2, v[4:5]
	s_waitcnt lgkmcnt(0)
	v_mov_b32_e32 v6, s1
	v_add_co_u32_e32 v8, vcc, s0, v4
	v_addc_co_u32_e32 v9, vcc, v6, v5, vcc
	global_load_dwordx4 v[4:7], v[8:9], off
	v_pk_mul_f32 v[2:3], s[2:3], v[2:3] op_sel_hi:[0,1]
	v_pk_mul_f32 v[10:11], s[2:3], v[0:1] op_sel_hi:[0,1]
	s_waitcnt vmcnt(0)
	v_pk_fma_f32 v[0:1], s[16:17], v[4:5], v[2:3] op_sel_hi:[0,1,1]
	v_pk_fma_f32 v[2:3], s[16:17], v[6:7], v[10:11] op_sel_hi:[0,1,1]
	global_store_dwordx4 v[8:9], v[0:3], off
	s_endpgm
	.section	.rodata,"a",@progbits
	.p2align	6, 0x0
	.amdhsa_kernel _ZN9rocsparseL18bsrxmvn_4x4_kernelILj128ELj32Efii18rocsparse_bfloat16S1_fEEvT3_20rocsparse_direction_NS_24const_host_device_scalarIT1_EES2_PKS2_PKT2_SB_S8_PKT4_PKT5_S6_PT6_21rocsparse_index_base_b
		.amdhsa_group_segment_fixed_size 0
		.amdhsa_private_segment_fixed_size 0
		.amdhsa_kernarg_size 96
		.amdhsa_user_sgpr_count 6
		.amdhsa_user_sgpr_private_segment_buffer 1
		.amdhsa_user_sgpr_dispatch_ptr 0
		.amdhsa_user_sgpr_queue_ptr 0
		.amdhsa_user_sgpr_kernarg_segment_ptr 1
		.amdhsa_user_sgpr_dispatch_id 0
		.amdhsa_user_sgpr_flat_scratch_init 0
		.amdhsa_user_sgpr_kernarg_preload_length 0
		.amdhsa_user_sgpr_kernarg_preload_offset 0
		.amdhsa_user_sgpr_private_segment_size 0
		.amdhsa_uses_dynamic_stack 0
		.amdhsa_system_sgpr_private_segment_wavefront_offset 0
		.amdhsa_system_sgpr_workgroup_id_x 1
		.amdhsa_system_sgpr_workgroup_id_y 0
		.amdhsa_system_sgpr_workgroup_id_z 0
		.amdhsa_system_sgpr_workgroup_info 0
		.amdhsa_system_vgpr_workitem_id 0
		.amdhsa_next_free_vgpr 100
		.amdhsa_next_free_sgpr 20
		.amdhsa_accum_offset 100
		.amdhsa_reserve_vcc 1
		.amdhsa_reserve_flat_scratch 0
		.amdhsa_float_round_mode_32 0
		.amdhsa_float_round_mode_16_64 0
		.amdhsa_float_denorm_mode_32 3
		.amdhsa_float_denorm_mode_16_64 3
		.amdhsa_dx10_clamp 1
		.amdhsa_ieee_mode 1
		.amdhsa_fp16_overflow 0
		.amdhsa_tg_split 0
		.amdhsa_exception_fp_ieee_invalid_op 0
		.amdhsa_exception_fp_denorm_src 0
		.amdhsa_exception_fp_ieee_div_zero 0
		.amdhsa_exception_fp_ieee_overflow 0
		.amdhsa_exception_fp_ieee_underflow 0
		.amdhsa_exception_fp_ieee_inexact 0
		.amdhsa_exception_int_div_zero 0
	.end_amdhsa_kernel
	.section	.text._ZN9rocsparseL18bsrxmvn_4x4_kernelILj128ELj32Efii18rocsparse_bfloat16S1_fEEvT3_20rocsparse_direction_NS_24const_host_device_scalarIT1_EES2_PKS2_PKT2_SB_S8_PKT4_PKT5_S6_PT6_21rocsparse_index_base_b,"axG",@progbits,_ZN9rocsparseL18bsrxmvn_4x4_kernelILj128ELj32Efii18rocsparse_bfloat16S1_fEEvT3_20rocsparse_direction_NS_24const_host_device_scalarIT1_EES2_PKS2_PKT2_SB_S8_PKT4_PKT5_S6_PT6_21rocsparse_index_base_b,comdat
.Lfunc_end108:
	.size	_ZN9rocsparseL18bsrxmvn_4x4_kernelILj128ELj32Efii18rocsparse_bfloat16S1_fEEvT3_20rocsparse_direction_NS_24const_host_device_scalarIT1_EES2_PKS2_PKT2_SB_S8_PKT4_PKT5_S6_PT6_21rocsparse_index_base_b, .Lfunc_end108-_ZN9rocsparseL18bsrxmvn_4x4_kernelILj128ELj32Efii18rocsparse_bfloat16S1_fEEvT3_20rocsparse_direction_NS_24const_host_device_scalarIT1_EES2_PKS2_PKT2_SB_S8_PKT4_PKT5_S6_PT6_21rocsparse_index_base_b
                                        ; -- End function
	.section	.AMDGPU.csdata,"",@progbits
; Kernel info:
; codeLenInByte = 4056
; NumSgprs: 24
; NumVgprs: 100
; NumAgprs: 0
; TotalNumVgprs: 100
; ScratchSize: 0
; MemoryBound: 0
; FloatMode: 240
; IeeeMode: 1
; LDSByteSize: 0 bytes/workgroup (compile time only)
; SGPRBlocks: 2
; VGPRBlocks: 12
; NumSGPRsForWavesPerEU: 24
; NumVGPRsForWavesPerEU: 100
; AccumOffset: 100
; Occupancy: 4
; WaveLimiterHint : 1
; COMPUTE_PGM_RSRC2:SCRATCH_EN: 0
; COMPUTE_PGM_RSRC2:USER_SGPR: 6
; COMPUTE_PGM_RSRC2:TRAP_HANDLER: 0
; COMPUTE_PGM_RSRC2:TGID_X_EN: 1
; COMPUTE_PGM_RSRC2:TGID_Y_EN: 0
; COMPUTE_PGM_RSRC2:TGID_Z_EN: 0
; COMPUTE_PGM_RSRC2:TIDIG_COMP_CNT: 0
; COMPUTE_PGM_RSRC3_GFX90A:ACCUM_OFFSET: 24
; COMPUTE_PGM_RSRC3_GFX90A:TG_SPLIT: 0
	.section	.text._ZN9rocsparseL18bsrxmvn_4x4_kernelILj128ELj64Efii18rocsparse_bfloat16S1_fEEvT3_20rocsparse_direction_NS_24const_host_device_scalarIT1_EES2_PKS2_PKT2_SB_S8_PKT4_PKT5_S6_PT6_21rocsparse_index_base_b,"axG",@progbits,_ZN9rocsparseL18bsrxmvn_4x4_kernelILj128ELj64Efii18rocsparse_bfloat16S1_fEEvT3_20rocsparse_direction_NS_24const_host_device_scalarIT1_EES2_PKS2_PKT2_SB_S8_PKT4_PKT5_S6_PT6_21rocsparse_index_base_b,comdat
	.globl	_ZN9rocsparseL18bsrxmvn_4x4_kernelILj128ELj64Efii18rocsparse_bfloat16S1_fEEvT3_20rocsparse_direction_NS_24const_host_device_scalarIT1_EES2_PKS2_PKT2_SB_S8_PKT4_PKT5_S6_PT6_21rocsparse_index_base_b ; -- Begin function _ZN9rocsparseL18bsrxmvn_4x4_kernelILj128ELj64Efii18rocsparse_bfloat16S1_fEEvT3_20rocsparse_direction_NS_24const_host_device_scalarIT1_EES2_PKS2_PKT2_SB_S8_PKT4_PKT5_S6_PT6_21rocsparse_index_base_b
	.p2align	8
	.type	_ZN9rocsparseL18bsrxmvn_4x4_kernelILj128ELj64Efii18rocsparse_bfloat16S1_fEEvT3_20rocsparse_direction_NS_24const_host_device_scalarIT1_EES2_PKS2_PKT2_SB_S8_PKT4_PKT5_S6_PT6_21rocsparse_index_base_b,@function
_ZN9rocsparseL18bsrxmvn_4x4_kernelILj128ELj64Efii18rocsparse_bfloat16S1_fEEvT3_20rocsparse_direction_NS_24const_host_device_scalarIT1_EES2_PKS2_PKT2_SB_S8_PKT4_PKT5_S6_PT6_21rocsparse_index_base_b: ; @_ZN9rocsparseL18bsrxmvn_4x4_kernelILj128ELj64Efii18rocsparse_bfloat16S1_fEEvT3_20rocsparse_direction_NS_24const_host_device_scalarIT1_EES2_PKS2_PKT2_SB_S8_PKT4_PKT5_S6_PT6_21rocsparse_index_base_b
; %bb.0:
	s_load_dwordx2 s[18:19], s[4:5], 0x58
	s_load_dwordx2 s[2:3], s[4:5], 0x8
	;; [unrolled: 1-line block ×3, first 2 shown]
	s_waitcnt lgkmcnt(0)
	s_bitcmp1_b32 s19, 0
	s_cselect_b64 s[8:9], -1, 0
	s_xor_b64 s[0:1], s[8:9], -1
	s_and_b64 vcc, exec, s[8:9]
	s_cbranch_vccnz .LBB109_2
; %bb.1:
	s_load_dword s2, s[2:3], 0x0
.LBB109_2:
	s_andn2_b64 vcc, exec, s[0:1]
	s_cbranch_vccnz .LBB109_4
; %bb.3:
	s_load_dword s16, s[16:17], 0x0
.LBB109_4:
	s_waitcnt lgkmcnt(0)
	v_cmp_neq_f32_e64 s[0:1], s2, 0
	v_cmp_neq_f32_e64 s[8:9], s16, 1.0
	s_or_b64 s[0:1], s[0:1], s[8:9]
	s_andn2_b64 vcc, exec, s[0:1]
	s_cbranch_vccnz .LBB109_10
; %bb.5:
	s_load_dwordx2 s[8:9], s[4:5], 0x18
	s_load_dwordx2 s[0:1], s[4:5], 0x0
	v_lshrrev_b32_e32 v1, 6, v0
	v_lshl_or_b32 v16, s6, 1, v1
	s_mov_b64 s[6:7], 0
	s_waitcnt lgkmcnt(0)
	s_cmp_lg_u64 s[8:9], 0
	s_cbranch_scc0 .LBB109_11
; %bb.6:
	s_load_dword s3, s[4:5], 0x10
                                        ; implicit-def: $vgpr1
	s_waitcnt lgkmcnt(0)
	v_cmp_gt_i32_e32 vcc, s3, v16
	s_and_saveexec_b64 s[10:11], vcc
	s_xor_b64 s[10:11], exec, s[10:11]
	s_cbranch_execz .LBB109_8
; %bb.7:
	v_ashrrev_i32_e32 v17, 31, v16
	v_lshlrev_b64 v[2:3], 2, v[16:17]
	v_mov_b32_e32 v1, s9
	v_add_co_u32_e32 v2, vcc, s8, v2
	v_addc_co_u32_e32 v3, vcc, v1, v3, vcc
	global_load_dword v1, v[2:3], off
	s_mov_b64 s[6:7], exec
	s_waitcnt vmcnt(0)
	v_subrev_u32_e32 v1, s18, v1
.LBB109_8:
	s_or_b64 exec, exec, s[10:11]
	s_branch .LBB109_12
.LBB109_9:
	v_cmp_gt_i32_e32 vcc, s0, v16
	s_andn2_b64 s[6:7], s[6:7], exec
	s_and_b64 s[8:9], vcc, exec
	s_or_b64 s[6:7], s[6:7], s[8:9]
	s_and_saveexec_b64 s[8:9], s[6:7]
	s_cbranch_execnz .LBB109_13
.LBB109_10:
	s_endpgm
.LBB109_11:
                                        ; implicit-def: $vgpr1
	s_cbranch_execnz .LBB109_9
.LBB109_12:
	v_mov_b32_e32 v16, v1
	s_and_saveexec_b64 s[8:9], s[6:7]
	s_cbranch_execz .LBB109_10
.LBB109_13:
	s_load_dwordx8 s[8:15], s[4:5], 0x20
	v_ashrrev_i32_e32 v17, 31, v16
	v_lshlrev_b64 v[2:3], 2, v[16:17]
	v_and_b32_e32 v17, 63, v0
	s_load_dwordx2 s[6:7], s[4:5], 0x40
	s_waitcnt lgkmcnt(0)
	v_mov_b32_e32 v1, s9
	v_add_co_u32_e32 v4, vcc, s8, v2
	v_addc_co_u32_e32 v5, vcc, v1, v3, vcc
	v_add_co_u32_e32 v1, vcc, 4, v4
	global_load_dword v8, v[4:5], off
	v_addc_co_u32_e32 v4, vcc, 0, v5, vcc
	v_mov_b32_e32 v5, s11
	v_add_co_u32_e32 v2, vcc, s10, v2
	s_cmp_eq_u64 s[10:11], 0
	v_addc_co_u32_e32 v3, vcc, v5, v3, vcc
	s_cselect_b64 vcc, -1, 0
	v_cndmask_b32_e32 v3, v3, v4, vcc
	v_cndmask_b32_e32 v2, v2, v1, vcc
	global_load_dword v1, v[2:3], off
	v_mov_b32_e32 v2, s15
	s_cmp_eq_u32 s1, 1
	s_waitcnt vmcnt(1)
	v_subrev_u32_e32 v0, s18, v8
	v_add_u32_e32 v18, v0, v17
	v_ashrrev_i32_e32 v19, 31, v18
	s_waitcnt vmcnt(0)
	v_subrev_u32_e32 v28, s18, v1
	v_lshlrev_b64 v[0:1], 5, v[18:19]
	v_add_co_u32_e32 v20, vcc, s14, v0
	v_addc_co_u32_e32 v21, vcc, v2, v1, vcc
	v_cmp_lt_i32_e64 s[0:1], v18, v28
	s_cbranch_scc1 .LBB109_25
; %bb.14:
	s_mov_b32 s10, 0
	v_mov_b32_e32 v23, 0
	v_mov_b32_e32 v22, 0
	;; [unrolled: 1-line block ×4, first 2 shown]
	s_and_saveexec_b64 s[8:9], s[0:1]
	s_cbranch_execz .LBB109_24
; %bb.15:
	v_add_u32_e32 v0, v8, v17
	v_subrev_u32_e32 v0, s18, v0
	v_add_u32_e32 v0, 64, v0
	v_max_i32_e32 v0, v0, v28
	v_not_b32_e32 v1, v8
	v_add3_u32 v0, v0, s18, v1
	v_sub_u32_e32 v0, v0, v17
	v_lshrrev_b32_e32 v1, 6, v0
	v_add_u32_e32 v1, 1, v1
	v_and_b32_e32 v1, 3, v1
	s_mov_b32 s11, s10
	v_cmp_ne_u32_e32 vcc, 0, v1
	v_pk_mov_b32 v[24:25], s[10:11], s[10:11] op_sel:[0,1]
	v_pk_mov_b32 v[22:23], s[10:11], s[10:11] op_sel:[0,1]
	v_mov_b32_e32 v4, v18
	v_pk_mov_b32 v[6:7], v[20:21], v[20:21] op_sel:[0,1]
	s_and_saveexec_b64 s[10:11], vcc
	s_cbranch_execz .LBB109_19
; %bb.16:
	v_mov_b32_e32 v22, 0
	v_lshlrev_b32_e32 v1, 5, v1
	s_mov_b64 s[14:15], 0
	v_mov_b32_e32 v2, s13
	v_mov_b32_e32 v3, s7
	v_pk_mov_b32 v[6:7], v[20:21], v[20:21] op_sel:[0,1]
	v_mov_b32_e32 v4, v18
	v_mov_b32_e32 v23, v22
	;; [unrolled: 1-line block ×4, first 2 shown]
.LBB109_17:                             ; =>This Inner Loop Header: Depth=1
	v_ashrrev_i32_e32 v5, 31, v4
	v_lshlrev_b64 v[10:11], 2, v[4:5]
	v_add_co_u32_e32 v14, vcc, s12, v10
	v_addc_co_u32_e32 v15, vcc, v2, v11, vcc
	global_load_dword v5, v[14:15], off
	global_load_dwordx4 v[10:13], v[6:7], off
	global_load_dwordx4 v[30:33], v[6:7], off offset:16
	v_subrev_u32_e32 v1, 32, v1
	v_add_u32_e32 v4, 64, v4
	s_waitcnt vmcnt(2)
	v_subrev_u32_e32 v5, s18, v5
	v_lshlrev_b32_e32 v14, 2, v5
	v_ashrrev_i32_e32 v15, 31, v14
	v_lshlrev_b64 v[14:15], 1, v[14:15]
	v_add_co_u32_e32 v14, vcc, s6, v14
	v_addc_co_u32_e32 v15, vcc, v3, v15, vcc
	global_load_dwordx2 v[14:15], v[14:15], off
	s_waitcnt vmcnt(2)
	v_lshlrev_b32_e32 v35, 16, v12
	v_lshlrev_b32_e32 v34, 16, v10
	v_and_b32_e32 v37, 0xffff0000, v12
	v_lshlrev_b32_e32 v39, 16, v13
	v_and_b32_e32 v27, 0xffff0000, v13
	s_waitcnt vmcnt(1)
	v_lshlrev_b32_e32 v13, 16, v32
	v_lshlrev_b32_e32 v12, 16, v30
	v_and_b32_e32 v40, 0xffff0000, v30
	v_add_co_u32_e32 v6, vcc, 0x800, v6
	v_and_b32_e32 v36, 0xffff0000, v10
	v_and_b32_e32 v41, 0xffff0000, v32
	v_addc_co_u32_e32 v7, vcc, 0, v7, vcc
	v_lshlrev_b32_e32 v38, 16, v11
	v_lshlrev_b32_e32 v43, 16, v33
	;; [unrolled: 1-line block ×3, first 2 shown]
	v_cmp_eq_u32_e32 vcc, 0, v1
	v_and_b32_e32 v26, 0xffff0000, v11
	v_and_b32_e32 v10, 0xffff0000, v31
	;; [unrolled: 1-line block ×3, first 2 shown]
	s_or_b64 s[14:15], vcc, s[14:15]
	s_waitcnt vmcnt(0)
	v_lshlrev_b32_e32 v30, 16, v14
	v_and_b32_e32 v14, 0xffff0000, v14
	v_pk_fma_f32 v[24:25], v[34:35], v[30:31], v[24:25] op_sel_hi:[1,0,1]
	v_pk_fma_f32 v[12:13], v[12:13], v[30:31], v[22:23] op_sel_hi:[1,0,1]
	v_lshlrev_b32_e32 v32, 16, v15
	v_pk_fma_f32 v[22:23], v[36:37], v[14:15], v[24:25] op_sel_hi:[1,0,1]
	v_pk_fma_f32 v[12:13], v[40:41], v[14:15], v[12:13] op_sel_hi:[1,0,1]
	v_and_b32_e32 v44, 0xffff0000, v15
	v_pk_fma_f32 v[14:15], v[38:39], v[32:33], v[22:23] op_sel_hi:[1,0,1]
	v_pk_fma_f32 v[12:13], v[42:43], v[32:33], v[12:13] op_sel_hi:[1,0,1]
	;; [unrolled: 1-line block ×4, first 2 shown]
	s_andn2_b64 exec, exec, s[14:15]
	s_cbranch_execnz .LBB109_17
; %bb.18:
	s_or_b64 exec, exec, s[14:15]
.LBB109_19:
	s_or_b64 exec, exec, s[10:11]
	s_movk_i32 s3, 0xbf
	v_cmp_lt_u32_e32 vcc, s3, v0
	s_and_saveexec_b64 s[10:11], vcc
	s_cbranch_execz .LBB109_23
; %bb.20:
	s_mov_b64 s[14:15], 0
	v_mov_b32_e32 v9, s13
	v_mov_b32_e32 v10, s7
	s_movk_i32 s3, 0x1000
.LBB109_21:                             ; =>This Inner Loop Header: Depth=1
	v_add_co_u32_e32 v26, vcc, s3, v6
	v_addc_co_u32_e32 v27, vcc, 0, v7, vcc
	global_load_dwordx4 v[0:3], v[6:7], off
	v_ashrrev_i32_e32 v5, 31, v4
	global_load_dwordx4 v[12:15], v[6:7], off offset:16
	global_load_dwordx4 v[30:33], v[6:7], off offset:2048
	;; [unrolled: 1-line block ×3, first 2 shown]
	v_add_co_u32_e32 v6, vcc, 0x2000, v6
	v_lshlrev_b64 v[54:55], 2, v[4:5]
	v_addc_co_u32_e32 v7, vcc, 0, v7, vcc
	global_load_dwordx4 v[38:41], v[26:27], off
	global_load_dwordx4 v[42:45], v[26:27], off offset:16
	global_load_dwordx4 v[46:49], v[26:27], off offset:2048
	;; [unrolled: 1-line block ×3, first 2 shown]
	v_add_co_u32_e32 v26, vcc, s12, v54
	v_addc_co_u32_e32 v27, vcc, v9, v55, vcc
	global_load_dword v5, v[26:27], off
	global_load_dword v11, v[26:27], off offset:256
	global_load_dword v19, v[26:27], off offset:512
	;; [unrolled: 1-line block ×3, first 2 shown]
	v_add_u32_e32 v4, 0x100, v4
	v_cmp_ge_i32_e32 vcc, v4, v28
	s_or_b64 s[14:15], vcc, s[14:15]
	s_waitcnt vmcnt(10)
	v_lshlrev_b32_e32 v63, 16, v15
	v_and_b32_e32 v26, 0xffff0000, v1
	v_lshlrev_b32_e32 v55, 16, v2
	v_lshlrev_b32_e32 v54, 16, v0
	v_and_b32_e32 v57, 0xffff0000, v2
	v_lshlrev_b32_e32 v59, 16, v3
	;; [unrolled: 3-line block ×3, first 2 shown]
	v_lshlrev_b32_e32 v2, 16, v12
	s_waitcnt vmcnt(3)
	v_subrev_u32_e32 v5, s18, v5
	v_lshlrev_b32_e32 v70, 2, v5
	s_waitcnt vmcnt(2)
	v_subrev_u32_e32 v11, s18, v11
	v_ashrrev_i32_e32 v71, 31, v70
	v_lshlrev_b32_e32 v72, 2, v11
	v_lshlrev_b64 v[70:71], 1, v[70:71]
	s_waitcnt vmcnt(1)
	v_subrev_u32_e32 v19, s18, v19
	v_ashrrev_i32_e32 v73, 31, v72
	v_add_co_u32_e32 v70, vcc, s6, v70
	v_lshlrev_b32_e32 v74, 2, v19
	v_lshlrev_b64 v[72:73], 1, v[72:73]
	v_addc_co_u32_e32 v71, vcc, v10, v71, vcc
	s_waitcnt vmcnt(0)
	v_subrev_u32_e32 v29, s18, v29
	v_ashrrev_i32_e32 v75, 31, v74
	v_add_co_u32_e32 v72, vcc, s6, v72
	v_lshlrev_b32_e32 v76, 2, v29
	v_lshlrev_b64 v[74:75], 1, v[74:75]
	v_addc_co_u32_e32 v73, vcc, v10, v73, vcc
	v_ashrrev_i32_e32 v77, 31, v76
	v_add_co_u32_e32 v74, vcc, s6, v74
	v_lshlrev_b64 v[76:77], 1, v[76:77]
	v_addc_co_u32_e32 v75, vcc, v10, v75, vcc
	v_add_co_u32_e32 v76, vcc, s6, v76
	v_addc_co_u32_e32 v77, vcc, v10, v77, vcc
	global_load_dwordx2 v[78:79], v[70:71], off
	global_load_dwordx2 v[80:81], v[72:73], off
	;; [unrolled: 1-line block ×4, first 2 shown]
	v_and_b32_e32 v1, 0xffff0000, v15
	v_lshlrev_b32_e32 v15, 16, v32
	v_and_b32_e32 v65, 0xffff0000, v32
	v_lshlrev_b32_e32 v32, 16, v34
	v_and_b32_e32 v68, 0xffff0000, v34
	v_and_b32_e32 v34, 0xffff0000, v39
	v_lshlrev_b32_e32 v74, 16, v39
	v_lshlrev_b32_e32 v87, 16, v45
	v_and_b32_e32 v39, 0xffff0000, v45
	v_lshlrev_b32_e32 v45, 16, v48
	v_and_b32_e32 v89, 0xffff0000, v48
	;; [unrolled: 2-line block ×3, first 2 shown]
	v_and_b32_e32 v56, 0xffff0000, v0
	v_and_b32_e32 v0, 0xffff0000, v13
	;; [unrolled: 1-line block ×4, first 2 shown]
	v_lshlrev_b32_e32 v62, 16, v13
	v_lshlrev_b32_e32 v67, 16, v33
	v_and_b32_e32 v13, 0xffff0000, v33
	v_lshlrev_b32_e32 v33, 16, v36
	v_and_b32_e32 v69, 0xffff0000, v36
	;; [unrolled: 2-line block ×3, first 2 shown]
	v_and_b32_e32 v38, 0xffff0000, v43
	v_lshlrev_b32_e32 v86, 16, v43
	v_lshlrev_b32_e32 v91, 16, v49
	v_and_b32_e32 v43, 0xffff0000, v49
	v_lshlrev_b32_e32 v49, 16, v52
	v_and_b32_e32 v93, 0xffff0000, v52
	;; [unrolled: 2-line block ×3, first 2 shown]
	v_lshlrev_b32_e32 v66, 16, v31
	v_lshlrev_b32_e32 v71, 16, v37
	;; [unrolled: 1-line block ×3, first 2 shown]
	v_and_b32_e32 v12, 0xffff0000, v31
	v_and_b32_e32 v30, 0xffff0000, v35
	;; [unrolled: 1-line block ×3, first 2 shown]
	v_lshlrev_b32_e32 v37, 16, v40
	v_and_b32_e32 v73, 0xffff0000, v40
	v_lshlrev_b32_e32 v75, 16, v41
	v_and_b32_e32 v35, 0xffff0000, v41
	v_lshlrev_b32_e32 v41, 16, v44
	v_lshlrev_b32_e32 v40, 16, v42
	v_and_b32_e32 v77, 0xffff0000, v44
	v_and_b32_e32 v76, 0xffff0000, v42
	v_lshlrev_b32_e32 v44, 16, v46
	v_and_b32_e32 v88, 0xffff0000, v46
	v_lshlrev_b32_e32 v90, 16, v47
	v_lshlrev_b32_e32 v95, 16, v53
	;; [unrolled: 1-line block ×3, first 2 shown]
	v_and_b32_e32 v42, 0xffff0000, v47
	v_and_b32_e32 v46, 0xffff0000, v51
	;; [unrolled: 1-line block ×3, first 2 shown]
	s_waitcnt vmcnt(3)
	v_lshlrev_b32_e32 v50, 16, v78
	v_and_b32_e32 v52, 0xffff0000, v78
	v_pk_fma_f32 v[24:25], v[54:55], v[50:51], v[24:25] op_sel_hi:[1,0,1]
	v_pk_fma_f32 v[2:3], v[2:3], v[50:51], v[22:23] op_sel_hi:[1,0,1]
	v_lshlrev_b32_e32 v78, 16, v79
	v_pk_fma_f32 v[24:25], v[56:57], v[52:53], v[24:25] op_sel_hi:[1,0,1]
	v_pk_fma_f32 v[2:3], v[60:61], v[52:53], v[2:3] op_sel_hi:[1,0,1]
	v_and_b32_e32 v96, 0xffff0000, v79
	v_pk_fma_f32 v[24:25], v[58:59], v[78:79], v[24:25] op_sel_hi:[1,0,1]
	v_pk_fma_f32 v[2:3], v[62:63], v[78:79], v[2:3] op_sel_hi:[1,0,1]
	s_waitcnt vmcnt(2)
	v_lshlrev_b32_e32 v98, 16, v80
	v_pk_fma_f32 v[24:25], v[26:27], v[96:97], v[24:25] op_sel_hi:[1,0,1]
	v_pk_fma_f32 v[0:1], v[0:1], v[96:97], v[2:3] op_sel_hi:[1,0,1]
	v_and_b32_e32 v54, 0xffff0000, v80
	v_pk_fma_f32 v[2:3], v[14:15], v[98:99], v[24:25] op_sel_hi:[1,0,1]
	v_pk_fma_f32 v[0:1], v[32:33], v[98:99], v[0:1] op_sel_hi:[1,0,1]
	v_lshlrev_b32_e32 v22, 16, v81
	v_pk_fma_f32 v[2:3], v[64:65], v[54:55], v[2:3] op_sel_hi:[1,0,1]
	v_pk_fma_f32 v[0:1], v[68:69], v[54:55], v[0:1] op_sel_hi:[1,0,1]
	v_and_b32_e32 v50, 0xffff0000, v81
	v_pk_fma_f32 v[2:3], v[66:67], v[22:23], v[2:3] op_sel_hi:[1,0,1]
	v_pk_fma_f32 v[0:1], v[70:71], v[22:23], v[0:1] op_sel_hi:[1,0,1]
	s_waitcnt vmcnt(1)
	v_lshlrev_b32_e32 v80, 16, v82
	v_pk_fma_f32 v[2:3], v[12:13], v[50:51], v[2:3] op_sel_hi:[1,0,1]
	v_pk_fma_f32 v[0:1], v[30:31], v[50:51], v[0:1] op_sel_hi:[1,0,1]
	;; [unrolled: 13-line block ×3, first 2 shown]
	v_and_b32_e32 v58, 0xffff0000, v84
	v_pk_fma_f32 v[2:3], v[44:45], v[82:83], v[2:3] op_sel_hi:[1,0,1]
	v_pk_fma_f32 v[0:1], v[48:49], v[82:83], v[0:1] op_sel_hi:[1,0,1]
	v_lshlrev_b32_e32 v62, 16, v85
	v_pk_fma_f32 v[2:3], v[88:89], v[58:59], v[2:3] op_sel_hi:[1,0,1]
	v_pk_fma_f32 v[0:1], v[92:93], v[58:59], v[0:1] op_sel_hi:[1,0,1]
	v_and_b32_e32 v78, 0xffff0000, v85
	v_pk_fma_f32 v[2:3], v[90:91], v[62:63], v[2:3] op_sel_hi:[1,0,1]
	v_pk_fma_f32 v[0:1], v[94:95], v[62:63], v[0:1] op_sel_hi:[1,0,1]
	;; [unrolled: 1-line block ×4, first 2 shown]
	s_andn2_b64 exec, exec, s[14:15]
	s_cbranch_execnz .LBB109_21
; %bb.22:
	s_or_b64 exec, exec, s[14:15]
.LBB109_23:
	s_or_b64 exec, exec, s[10:11]
.LBB109_24:
	s_or_b64 exec, exec, s[8:9]
	s_cbranch_execz .LBB109_26
	s_branch .LBB109_37
.LBB109_25:
                                        ; implicit-def: $vgpr23
                                        ; implicit-def: $vgpr25
.LBB109_26:
	s_mov_b32 s10, 0
	v_mov_b32_e32 v23, 0
	v_mov_b32_e32 v22, 0
	;; [unrolled: 1-line block ×4, first 2 shown]
	s_and_saveexec_b64 s[8:9], s[0:1]
	s_cbranch_execz .LBB109_36
; %bb.27:
	v_add_u32_e32 v0, v8, v17
	v_subrev_u32_e32 v0, s18, v0
	v_add_u32_e32 v0, 64, v0
	v_max_i32_e32 v0, v0, v28
	v_not_b32_e32 v1, v8
	v_add3_u32 v0, v0, s18, v1
	v_sub_u32_e32 v0, v0, v17
	v_lshrrev_b32_e32 v1, 6, v0
	v_add_u32_e32 v1, 1, v1
	v_and_b32_e32 v1, 3, v1
	s_mov_b32 s11, s10
	v_cmp_ne_u32_e32 vcc, 0, v1
	v_pk_mov_b32 v[24:25], s[10:11], s[10:11] op_sel:[0,1]
	v_pk_mov_b32 v[22:23], s[10:11], s[10:11] op_sel:[0,1]
	s_and_saveexec_b64 s[0:1], vcc
	s_cbranch_execz .LBB109_31
; %bb.28:
	v_mov_b32_e32 v22, 0
	v_lshlrev_b32_e32 v1, 5, v1
	s_mov_b64 s[10:11], 0
	v_mov_b32_e32 v2, s13
	v_mov_b32_e32 v3, s7
	;; [unrolled: 1-line block ×5, first 2 shown]
.LBB109_29:                             ; =>This Inner Loop Header: Depth=1
	v_ashrrev_i32_e32 v19, 31, v18
	v_lshlrev_b64 v[4:5], 2, v[18:19]
	v_add_co_u32_e32 v8, vcc, s12, v4
	v_addc_co_u32_e32 v9, vcc, v2, v5, vcc
	global_load_dword v10, v[8:9], off
	global_load_dwordx4 v[4:7], v[20:21], off
	v_subrev_u32_e32 v1, 32, v1
	v_add_u32_e32 v18, 64, v18
	s_waitcnt vmcnt(1)
	v_subrev_u32_e32 v8, s18, v10
	v_lshlrev_b32_e32 v8, 2, v8
	v_ashrrev_i32_e32 v9, 31, v8
	v_lshlrev_b64 v[8:9], 1, v[8:9]
	v_add_co_u32_e32 v12, vcc, s6, v8
	v_addc_co_u32_e32 v13, vcc, v3, v9, vcc
	global_load_dwordx2 v[14:15], v[12:13], off
	global_load_dwordx4 v[8:11], v[20:21], off offset:16
	s_waitcnt vmcnt(2)
	v_and_b32_e32 v13, 0xffff0000, v4
	v_lshlrev_b32_e32 v12, 16, v4
	v_and_b32_e32 v27, 0xffff0000, v6
	v_lshlrev_b32_e32 v26, 16, v6
	;; [unrolled: 2-line block ×4, first 2 shown]
	v_add_co_u32_e32 v20, vcc, 0x800, v20
	v_addc_co_u32_e32 v21, vcc, 0, v21, vcc
	v_cmp_eq_u32_e32 vcc, 0, v1
	s_or_b64 s[10:11], vcc, s[10:11]
	s_waitcnt vmcnt(1)
	v_lshlrev_b32_e32 v36, 16, v15
	s_waitcnt vmcnt(0)
	v_and_b32_e32 v7, 0xffff0000, v8
	v_lshlrev_b32_e32 v6, 16, v8
	v_and_b32_e32 v33, 0xffff0000, v9
	v_lshlrev_b32_e32 v32, 16, v9
	;; [unrolled: 2-line block ×3, first 2 shown]
	v_lshlrev_b32_e32 v10, 16, v14
	v_and_b32_e32 v35, 0xffff0000, v11
	v_lshlrev_b32_e32 v34, 16, v11
	v_and_b32_e32 v14, 0xffff0000, v14
	v_pk_fma_f32 v[12:13], v[12:13], v[10:11], v[24:25] op_sel_hi:[1,0,1]
	v_pk_fma_f32 v[10:11], v[30:31], v[10:11], v[22:23] op_sel_hi:[1,0,1]
	;; [unrolled: 1-line block ×4, first 2 shown]
	v_and_b32_e32 v38, 0xffff0000, v15
	v_pk_fma_f32 v[6:7], v[6:7], v[36:37], v[12:13] op_sel_hi:[1,0,1]
	v_pk_fma_f32 v[4:5], v[32:33], v[36:37], v[4:5] op_sel_hi:[1,0,1]
	;; [unrolled: 1-line block ×4, first 2 shown]
	s_andn2_b64 exec, exec, s[10:11]
	s_cbranch_execnz .LBB109_29
; %bb.30:
	s_or_b64 exec, exec, s[10:11]
.LBB109_31:
	s_or_b64 exec, exec, s[0:1]
	s_movk_i32 s0, 0xbf
	v_cmp_lt_u32_e32 vcc, s0, v0
	s_and_saveexec_b64 s[0:1], vcc
	s_cbranch_execz .LBB109_35
; %bb.32:
	s_mov_b64 s[10:11], 0
	v_mov_b32_e32 v29, s13
	v_mov_b32_e32 v30, s7
	s_movk_i32 s3, 0x1000
.LBB109_33:                             ; =>This Inner Loop Header: Depth=1
	v_add_co_u32_e32 v26, vcc, s3, v20
	v_addc_co_u32_e32 v27, vcc, 0, v21, vcc
	global_load_dwordx4 v[0:3], v[20:21], off
	global_load_dwordx4 v[4:7], v[20:21], off offset:16
	global_load_dwordx4 v[12:15], v[20:21], off offset:2048
	;; [unrolled: 1-line block ×3, first 2 shown]
	v_ashrrev_i32_e32 v19, 31, v18
	v_add_co_u32_e32 v20, vcc, 0x2000, v20
	global_load_dwordx4 v[32:35], v[26:27], off
	global_load_dwordx4 v[36:39], v[26:27], off offset:16
	global_load_dwordx4 v[40:43], v[26:27], off offset:2048
	;; [unrolled: 1-line block ×3, first 2 shown]
	v_lshlrev_b64 v[26:27], 2, v[18:19]
	v_addc_co_u32_e32 v21, vcc, 0, v21, vcc
	v_add_co_u32_e32 v26, vcc, s12, v26
	v_addc_co_u32_e32 v27, vcc, v29, v27, vcc
	global_load_dword v19, v[26:27], off
	global_load_dword v31, v[26:27], off offset:256
	global_load_dword v62, v[26:27], off offset:512
	;; [unrolled: 1-line block ×3, first 2 shown]
	v_add_u32_e32 v18, 0x100, v18
	v_cmp_ge_i32_e32 vcc, v18, v28
	s_or_b64 s[10:11], vcc, s[10:11]
	s_waitcnt vmcnt(11)
	v_and_b32_e32 v27, 0xffff0000, v0
	v_lshlrev_b32_e32 v26, 16, v0
	v_and_b32_e32 v49, 0xffff0000, v2
	v_lshlrev_b32_e32 v48, 16, v2
	v_and_b32_e32 v51, 0xffff0000, v1
	v_lshlrev_b32_e32 v50, 16, v1
	v_and_b32_e32 v1, 0xffff0000, v3
	v_lshlrev_b32_e32 v0, 16, v3
	s_waitcnt vmcnt(10)
	v_and_b32_e32 v3, 0xffff0000, v4
	v_lshlrev_b32_e32 v2, 16, v4
	v_and_b32_e32 v53, 0xffff0000, v5
	v_lshlrev_b32_e32 v52, 16, v5
	v_and_b32_e32 v5, 0xffff0000, v6
	v_lshlrev_b32_e32 v4, 16, v6
	v_and_b32_e32 v55, 0xffff0000, v7
	v_lshlrev_b32_e32 v54, 16, v7
	;; [unrolled: 9-line block ×3, first 2 shown]
	s_waitcnt vmcnt(8)
	v_and_b32_e32 v15, 0xffff0000, v8
	v_lshlrev_b32_e32 v14, 16, v8
	s_waitcnt vmcnt(3)
	v_subrev_u32_e32 v8, s18, v19
	v_and_b32_e32 v61, 0xffff0000, v9
	v_lshlrev_b32_e32 v60, 16, v9
	s_waitcnt vmcnt(2)
	v_subrev_u32_e32 v9, s18, v31
	v_lshlrev_b32_e32 v8, 2, v8
	s_waitcnt vmcnt(1)
	v_subrev_u32_e32 v19, s18, v62
	v_lshlrev_b32_e32 v62, 2, v9
	v_ashrrev_i32_e32 v9, 31, v8
	v_lshlrev_b64 v[8:9], 1, v[8:9]
	s_waitcnt vmcnt(0)
	v_subrev_u32_e32 v31, s18, v63
	v_ashrrev_i32_e32 v63, 31, v62
	v_add_co_u32_e32 v8, vcc, s6, v8
	v_lshlrev_b32_e32 v64, 2, v19
	v_lshlrev_b64 v[62:63], 1, v[62:63]
	v_addc_co_u32_e32 v9, vcc, v30, v9, vcc
	v_ashrrev_i32_e32 v65, 31, v64
	v_add_co_u32_e32 v62, vcc, s6, v62
	v_lshlrev_b32_e32 v66, 2, v31
	v_lshlrev_b64 v[64:65], 1, v[64:65]
	v_addc_co_u32_e32 v63, vcc, v30, v63, vcc
	v_ashrrev_i32_e32 v67, 31, v66
	v_add_co_u32_e32 v64, vcc, s6, v64
	v_lshlrev_b64 v[66:67], 1, v[66:67]
	v_addc_co_u32_e32 v65, vcc, v30, v65, vcc
	v_add_co_u32_e32 v66, vcc, s6, v66
	v_addc_co_u32_e32 v67, vcc, v30, v67, vcc
	global_load_dwordx2 v[68:69], v[8:9], off
	global_load_dwordx2 v[70:71], v[62:63], off
	global_load_dwordx2 v[72:73], v[64:65], off
	global_load_dwordx2 v[74:75], v[66:67], off
	v_and_b32_e32 v9, 0xffff0000, v10
	v_lshlrev_b32_e32 v8, 16, v10
	v_and_b32_e32 v63, 0xffff0000, v11
	v_lshlrev_b32_e32 v62, 16, v11
	;; [unrolled: 2-line block ×18, first 2 shown]
	s_waitcnt vmcnt(3)
	v_lshlrev_b32_e32 v46, 16, v68
	v_and_b32_e32 v68, 0xffff0000, v68
	v_pk_fma_f32 v[24:25], v[26:27], v[46:47], v[24:25] op_sel_hi:[1,0,1]
	v_pk_fma_f32 v[22:23], v[50:51], v[46:47], v[22:23] op_sel_hi:[1,0,1]
	v_lshlrev_b32_e32 v88, 16, v69
	v_pk_fma_f32 v[24:25], v[48:49], v[68:69], v[24:25] op_sel_hi:[1,0,1]
	v_pk_fma_f32 v[0:1], v[0:1], v[68:69], v[22:23] op_sel_hi:[1,0,1]
	v_and_b32_e32 v90, 0xffff0000, v69
	v_pk_fma_f32 v[2:3], v[2:3], v[88:89], v[24:25] op_sel_hi:[1,0,1]
	v_pk_fma_f32 v[0:1], v[52:53], v[88:89], v[0:1] op_sel_hi:[1,0,1]
	s_waitcnt vmcnt(2)
	v_lshlrev_b32_e32 v92, 16, v70
	v_pk_fma_f32 v[2:3], v[4:5], v[90:91], v[2:3] op_sel_hi:[1,0,1]
	v_pk_fma_f32 v[0:1], v[54:55], v[90:91], v[0:1] op_sel_hi:[1,0,1]
	v_and_b32_e32 v26, 0xffff0000, v70
	v_pk_fma_f32 v[2:3], v[6:7], v[92:93], v[2:3] op_sel_hi:[1,0,1]
	v_pk_fma_f32 v[0:1], v[58:59], v[92:93], v[0:1] op_sel_hi:[1,0,1]
	v_lshlrev_b32_e32 v46, 16, v71
	v_pk_fma_f32 v[2:3], v[56:57], v[26:27], v[2:3] op_sel_hi:[1,0,1]
	v_pk_fma_f32 v[0:1], v[12:13], v[26:27], v[0:1] op_sel_hi:[1,0,1]
	v_and_b32_e32 v50, 0xffff0000, v71
	v_pk_fma_f32 v[2:3], v[14:15], v[46:47], v[2:3] op_sel_hi:[1,0,1]
	v_pk_fma_f32 v[0:1], v[60:61], v[46:47], v[0:1] op_sel_hi:[1,0,1]
	s_waitcnt vmcnt(1)
	v_lshlrev_b32_e32 v70, 16, v72
	v_pk_fma_f32 v[2:3], v[8:9], v[50:51], v[2:3] op_sel_hi:[1,0,1]
	v_pk_fma_f32 v[0:1], v[62:63], v[50:51], v[0:1] op_sel_hi:[1,0,1]
	;; [unrolled: 13-line block ×3, first 2 shown]
	v_and_b32_e32 v24, 0xffff0000, v74
	v_pk_fma_f32 v[2:3], v[38:39], v[72:73], v[2:3] op_sel_hi:[1,0,1]
	v_pk_fma_f32 v[0:1], v[82:83], v[72:73], v[0:1] op_sel_hi:[1,0,1]
	v_lshlrev_b32_e32 v52, 16, v75
	v_pk_fma_f32 v[2:3], v[80:81], v[24:25], v[2:3] op_sel_hi:[1,0,1]
	v_pk_fma_f32 v[0:1], v[40:41], v[24:25], v[0:1] op_sel_hi:[1,0,1]
	v_and_b32_e32 v74, 0xffff0000, v75
	v_pk_fma_f32 v[2:3], v[42:43], v[52:53], v[2:3] op_sel_hi:[1,0,1]
	v_pk_fma_f32 v[0:1], v[84:85], v[52:53], v[0:1] op_sel_hi:[1,0,1]
	v_pk_fma_f32 v[24:25], v[44:45], v[74:75], v[2:3] op_sel_hi:[1,0,1]
	v_pk_fma_f32 v[22:23], v[86:87], v[74:75], v[0:1] op_sel_hi:[1,0,1]
	s_andn2_b64 exec, exec, s[10:11]
	s_cbranch_execnz .LBB109_33
; %bb.34:
	s_or_b64 exec, exec, s[10:11]
.LBB109_35:
	s_or_b64 exec, exec, s[0:1]
.LBB109_36:
	s_or_b64 exec, exec, s[8:9]
.LBB109_37:
	v_mov_b32_dpp v0, v24 row_shr:1 row_mask:0xf bank_mask:0xf
	v_mov_b32_dpp v1, v25 row_shr:1 row_mask:0xf bank_mask:0xf
	;; [unrolled: 1-line block ×4, first 2 shown]
	v_pk_add_f32 v[0:1], v[24:25], v[0:1]
	v_pk_add_f32 v[4:5], v[22:23], v[4:5]
	v_cmp_eq_u32_e32 vcc, 63, v17
	v_mov_b32_dpp v2, v0 row_shr:2 row_mask:0xf bank_mask:0xf
	v_mov_b32_dpp v3, v1 row_shr:2 row_mask:0xf bank_mask:0xf
	v_mov_b32_dpp v6, v4 row_shr:2 row_mask:0xf bank_mask:0xf
	v_mov_b32_dpp v7, v5 row_shr:2 row_mask:0xf bank_mask:0xf
	v_pk_add_f32 v[0:1], v[0:1], v[2:3]
	v_pk_add_f32 v[4:5], v[4:5], v[6:7]
	s_nop 0
	v_mov_b32_dpp v2, v0 row_shr:4 row_mask:0xf bank_mask:0xe
	v_mov_b32_dpp v3, v1 row_shr:4 row_mask:0xf bank_mask:0xe
	v_mov_b32_dpp v6, v4 row_shr:4 row_mask:0xf bank_mask:0xe
	v_mov_b32_dpp v7, v5 row_shr:4 row_mask:0xf bank_mask:0xe
	v_pk_add_f32 v[0:1], v[0:1], v[2:3]
	v_pk_add_f32 v[4:5], v[4:5], v[6:7]
	s_nop 0
	;; [unrolled: 7-line block ×3, first 2 shown]
	v_mov_b32_dpp v2, v0 row_bcast:15 row_mask:0xa bank_mask:0xf
	v_mov_b32_dpp v3, v1 row_bcast:15 row_mask:0xa bank_mask:0xf
	;; [unrolled: 1-line block ×4, first 2 shown]
	v_pk_add_f32 v[0:1], v[0:1], v[2:3]
	v_pk_add_f32 v[4:5], v[4:5], v[6:7]
	s_nop 0
	v_mov_b32_dpp v2, v0 row_bcast:31 row_mask:0xc bank_mask:0xf
	v_mov_b32_dpp v3, v1 row_bcast:31 row_mask:0xc bank_mask:0xf
	;; [unrolled: 1-line block ×4, first 2 shown]
	s_and_b64 exec, exec, vcc
	s_cbranch_execz .LBB109_10
; %bb.38:
	s_load_dwordx2 s[0:1], s[4:5], 0x50
	v_cmp_eq_f32_e64 s[4:5], s16, 0
	v_pk_add_f32 v[2:3], v[0:1], v[2:3]
	v_pk_add_f32 v[0:1], v[4:5], v[6:7]
	s_and_b64 vcc, exec, s[4:5]
	v_lshlrev_b32_e32 v4, 2, v16
	s_cbranch_vccz .LBB109_40
; %bb.39:
	v_ashrrev_i32_e32 v5, 31, v4
	v_lshlrev_b64 v[6:7], 2, v[4:5]
	s_waitcnt lgkmcnt(0)
	v_mov_b32_e32 v5, s1
	v_add_co_u32_e32 v10, vcc, s0, v6
	v_addc_co_u32_e32 v11, vcc, v5, v7, vcc
	v_pk_mul_f32 v[6:7], s[2:3], v[2:3] op_sel_hi:[0,1]
	v_pk_mul_f32 v[8:9], s[2:3], v[0:1] op_sel_hi:[0,1]
	global_store_dwordx4 v[10:11], v[6:9], off
	s_cbranch_execnz .LBB109_10
	s_branch .LBB109_41
.LBB109_40:
.LBB109_41:
	v_ashrrev_i32_e32 v5, 31, v4
	v_lshlrev_b64 v[4:5], 2, v[4:5]
	s_waitcnt lgkmcnt(0)
	v_mov_b32_e32 v6, s1
	v_add_co_u32_e32 v8, vcc, s0, v4
	v_addc_co_u32_e32 v9, vcc, v6, v5, vcc
	global_load_dwordx4 v[4:7], v[8:9], off
	v_pk_mul_f32 v[2:3], s[2:3], v[2:3] op_sel_hi:[0,1]
	v_pk_mul_f32 v[10:11], s[2:3], v[0:1] op_sel_hi:[0,1]
	s_waitcnt vmcnt(0)
	v_pk_fma_f32 v[0:1], s[16:17], v[4:5], v[2:3] op_sel_hi:[0,1,1]
	v_pk_fma_f32 v[2:3], s[16:17], v[6:7], v[10:11] op_sel_hi:[0,1,1]
	global_store_dwordx4 v[8:9], v[0:3], off
	s_endpgm
	.section	.rodata,"a",@progbits
	.p2align	6, 0x0
	.amdhsa_kernel _ZN9rocsparseL18bsrxmvn_4x4_kernelILj128ELj64Efii18rocsparse_bfloat16S1_fEEvT3_20rocsparse_direction_NS_24const_host_device_scalarIT1_EES2_PKS2_PKT2_SB_S8_PKT4_PKT5_S6_PT6_21rocsparse_index_base_b
		.amdhsa_group_segment_fixed_size 0
		.amdhsa_private_segment_fixed_size 0
		.amdhsa_kernarg_size 96
		.amdhsa_user_sgpr_count 6
		.amdhsa_user_sgpr_private_segment_buffer 1
		.amdhsa_user_sgpr_dispatch_ptr 0
		.amdhsa_user_sgpr_queue_ptr 0
		.amdhsa_user_sgpr_kernarg_segment_ptr 1
		.amdhsa_user_sgpr_dispatch_id 0
		.amdhsa_user_sgpr_flat_scratch_init 0
		.amdhsa_user_sgpr_kernarg_preload_length 0
		.amdhsa_user_sgpr_kernarg_preload_offset 0
		.amdhsa_user_sgpr_private_segment_size 0
		.amdhsa_uses_dynamic_stack 0
		.amdhsa_system_sgpr_private_segment_wavefront_offset 0
		.amdhsa_system_sgpr_workgroup_id_x 1
		.amdhsa_system_sgpr_workgroup_id_y 0
		.amdhsa_system_sgpr_workgroup_id_z 0
		.amdhsa_system_sgpr_workgroup_info 0
		.amdhsa_system_vgpr_workitem_id 0
		.amdhsa_next_free_vgpr 100
		.amdhsa_next_free_sgpr 20
		.amdhsa_accum_offset 100
		.amdhsa_reserve_vcc 1
		.amdhsa_reserve_flat_scratch 0
		.amdhsa_float_round_mode_32 0
		.amdhsa_float_round_mode_16_64 0
		.amdhsa_float_denorm_mode_32 3
		.amdhsa_float_denorm_mode_16_64 3
		.amdhsa_dx10_clamp 1
		.amdhsa_ieee_mode 1
		.amdhsa_fp16_overflow 0
		.amdhsa_tg_split 0
		.amdhsa_exception_fp_ieee_invalid_op 0
		.amdhsa_exception_fp_denorm_src 0
		.amdhsa_exception_fp_ieee_div_zero 0
		.amdhsa_exception_fp_ieee_overflow 0
		.amdhsa_exception_fp_ieee_underflow 0
		.amdhsa_exception_fp_ieee_inexact 0
		.amdhsa_exception_int_div_zero 0
	.end_amdhsa_kernel
	.section	.text._ZN9rocsparseL18bsrxmvn_4x4_kernelILj128ELj64Efii18rocsparse_bfloat16S1_fEEvT3_20rocsparse_direction_NS_24const_host_device_scalarIT1_EES2_PKS2_PKT2_SB_S8_PKT4_PKT5_S6_PT6_21rocsparse_index_base_b,"axG",@progbits,_ZN9rocsparseL18bsrxmvn_4x4_kernelILj128ELj64Efii18rocsparse_bfloat16S1_fEEvT3_20rocsparse_direction_NS_24const_host_device_scalarIT1_EES2_PKS2_PKT2_SB_S8_PKT4_PKT5_S6_PT6_21rocsparse_index_base_b,comdat
.Lfunc_end109:
	.size	_ZN9rocsparseL18bsrxmvn_4x4_kernelILj128ELj64Efii18rocsparse_bfloat16S1_fEEvT3_20rocsparse_direction_NS_24const_host_device_scalarIT1_EES2_PKS2_PKT2_SB_S8_PKT4_PKT5_S6_PT6_21rocsparse_index_base_b, .Lfunc_end109-_ZN9rocsparseL18bsrxmvn_4x4_kernelILj128ELj64Efii18rocsparse_bfloat16S1_fEEvT3_20rocsparse_direction_NS_24const_host_device_scalarIT1_EES2_PKS2_PKT2_SB_S8_PKT4_PKT5_S6_PT6_21rocsparse_index_base_b
                                        ; -- End function
	.section	.AMDGPU.csdata,"",@progbits
; Kernel info:
; codeLenInByte = 4124
; NumSgprs: 24
; NumVgprs: 100
; NumAgprs: 0
; TotalNumVgprs: 100
; ScratchSize: 0
; MemoryBound: 0
; FloatMode: 240
; IeeeMode: 1
; LDSByteSize: 0 bytes/workgroup (compile time only)
; SGPRBlocks: 2
; VGPRBlocks: 12
; NumSGPRsForWavesPerEU: 24
; NumVGPRsForWavesPerEU: 100
; AccumOffset: 100
; Occupancy: 4
; WaveLimiterHint : 1
; COMPUTE_PGM_RSRC2:SCRATCH_EN: 0
; COMPUTE_PGM_RSRC2:USER_SGPR: 6
; COMPUTE_PGM_RSRC2:TRAP_HANDLER: 0
; COMPUTE_PGM_RSRC2:TGID_X_EN: 1
; COMPUTE_PGM_RSRC2:TGID_Y_EN: 0
; COMPUTE_PGM_RSRC2:TGID_Z_EN: 0
; COMPUTE_PGM_RSRC2:TIDIG_COMP_CNT: 0
; COMPUTE_PGM_RSRC3_GFX90A:ACCUM_OFFSET: 24
; COMPUTE_PGM_RSRC3_GFX90A:TG_SPLIT: 0
	.section	.text._ZN9rocsparseL18bsrxmvn_4x4_kernelILj128ELj4Efli18rocsparse_bfloat16S1_fEEvT3_20rocsparse_direction_NS_24const_host_device_scalarIT1_EES2_PKS2_PKT2_SB_S8_PKT4_PKT5_S6_PT6_21rocsparse_index_base_b,"axG",@progbits,_ZN9rocsparseL18bsrxmvn_4x4_kernelILj128ELj4Efli18rocsparse_bfloat16S1_fEEvT3_20rocsparse_direction_NS_24const_host_device_scalarIT1_EES2_PKS2_PKT2_SB_S8_PKT4_PKT5_S6_PT6_21rocsparse_index_base_b,comdat
	.globl	_ZN9rocsparseL18bsrxmvn_4x4_kernelILj128ELj4Efli18rocsparse_bfloat16S1_fEEvT3_20rocsparse_direction_NS_24const_host_device_scalarIT1_EES2_PKS2_PKT2_SB_S8_PKT4_PKT5_S6_PT6_21rocsparse_index_base_b ; -- Begin function _ZN9rocsparseL18bsrxmvn_4x4_kernelILj128ELj4Efli18rocsparse_bfloat16S1_fEEvT3_20rocsparse_direction_NS_24const_host_device_scalarIT1_EES2_PKS2_PKT2_SB_S8_PKT4_PKT5_S6_PT6_21rocsparse_index_base_b
	.p2align	8
	.type	_ZN9rocsparseL18bsrxmvn_4x4_kernelILj128ELj4Efli18rocsparse_bfloat16S1_fEEvT3_20rocsparse_direction_NS_24const_host_device_scalarIT1_EES2_PKS2_PKT2_SB_S8_PKT4_PKT5_S6_PT6_21rocsparse_index_base_b,@function
_ZN9rocsparseL18bsrxmvn_4x4_kernelILj128ELj4Efli18rocsparse_bfloat16S1_fEEvT3_20rocsparse_direction_NS_24const_host_device_scalarIT1_EES2_PKS2_PKT2_SB_S8_PKT4_PKT5_S6_PT6_21rocsparse_index_base_b: ; @_ZN9rocsparseL18bsrxmvn_4x4_kernelILj128ELj4Efli18rocsparse_bfloat16S1_fEEvT3_20rocsparse_direction_NS_24const_host_device_scalarIT1_EES2_PKS2_PKT2_SB_S8_PKT4_PKT5_S6_PT6_21rocsparse_index_base_b
; %bb.0:
	s_load_dwordx2 s[20:21], s[4:5], 0x58
	s_load_dwordx2 s[16:17], s[4:5], 0x8
	;; [unrolled: 1-line block ×3, first 2 shown]
	s_waitcnt lgkmcnt(0)
	s_bitcmp1_b32 s21, 0
	s_cselect_b64 s[2:3], -1, 0
	s_xor_b64 s[0:1], s[2:3], -1
	s_and_b64 vcc, exec, s[2:3]
	s_cbranch_vccnz .LBB110_2
; %bb.1:
	s_load_dword s16, s[16:17], 0x0
.LBB110_2:
	s_andn2_b64 vcc, exec, s[0:1]
	s_cbranch_vccnz .LBB110_4
; %bb.3:
	s_load_dword s18, s[18:19], 0x0
.LBB110_4:
	s_waitcnt lgkmcnt(0)
	v_cmp_neq_f32_e64 s[0:1], s16, 0
	v_cmp_neq_f32_e64 s[2:3], s18, 1.0
	s_or_b64 s[0:1], s[0:1], s[2:3]
	s_andn2_b64 vcc, exec, s[0:1]
	s_cbranch_vccnz .LBB110_10
; %bb.5:
	s_load_dwordx2 s[8:9], s[4:5], 0x18
	s_load_dwordx2 s[0:1], s[4:5], 0x0
	v_lshrrev_b32_e32 v1, 2, v0
	v_lshl_or_b32 v20, s6, 5, v1
	s_mov_b64 s[2:3], 0
	s_waitcnt lgkmcnt(0)
	s_cmp_lg_u64 s[8:9], 0
	s_cbranch_scc0 .LBB110_11
; %bb.6:
	s_load_dword s6, s[4:5], 0x10
                                        ; implicit-def: $vgpr1
	s_waitcnt lgkmcnt(0)
	v_cmp_gt_i32_e32 vcc, s6, v20
	s_and_saveexec_b64 s[6:7], vcc
	s_xor_b64 s[6:7], exec, s[6:7]
	s_cbranch_execz .LBB110_8
; %bb.7:
	v_ashrrev_i32_e32 v21, 31, v20
	v_lshlrev_b64 v[2:3], 2, v[20:21]
	v_mov_b32_e32 v1, s9
	v_add_co_u32_e32 v2, vcc, s8, v2
	v_addc_co_u32_e32 v3, vcc, v1, v3, vcc
	global_load_dword v1, v[2:3], off
	s_mov_b64 s[2:3], exec
	s_waitcnt vmcnt(0)
	v_subrev_u32_e32 v1, s20, v1
.LBB110_8:
	s_or_b64 exec, exec, s[6:7]
	s_branch .LBB110_12
.LBB110_9:
	v_cmp_gt_i32_e32 vcc, s0, v20
	s_andn2_b64 s[2:3], s[2:3], exec
	s_and_b64 s[6:7], vcc, exec
	s_or_b64 s[2:3], s[2:3], s[6:7]
	s_and_saveexec_b64 s[6:7], s[2:3]
	s_cbranch_execnz .LBB110_13
.LBB110_10:
	s_endpgm
.LBB110_11:
                                        ; implicit-def: $vgpr1
	s_cbranch_execnz .LBB110_9
.LBB110_12:
	v_mov_b32_e32 v20, v1
	s_and_saveexec_b64 s[6:7], s[2:3]
	s_cbranch_execz .LBB110_10
.LBB110_13:
	s_load_dwordx8 s[8:15], s[4:5], 0x20
	v_ashrrev_i32_e32 v21, 31, v20
	v_lshlrev_b64 v[2:3], 3, v[20:21]
	v_and_b32_e32 v22, 3, v0
	s_load_dwordx2 s[6:7], s[4:5], 0x40
	s_waitcnt lgkmcnt(0)
	v_mov_b32_e32 v1, s9
	v_add_co_u32_e32 v4, vcc, s8, v2
	v_addc_co_u32_e32 v5, vcc, v1, v3, vcc
	v_add_co_u32_e32 v1, vcc, 8, v4
	global_load_dwordx2 v[34:35], v[4:5], off
	v_addc_co_u32_e32 v4, vcc, 0, v5, vcc
	v_mov_b32_e32 v5, s11
	v_add_co_u32_e32 v2, vcc, s10, v2
	s_cmp_eq_u64 s[10:11], 0
	v_addc_co_u32_e32 v3, vcc, v5, v3, vcc
	s_cselect_b64 vcc, -1, 0
	v_cndmask_b32_e32 v3, v3, v4, vcc
	v_cndmask_b32_e32 v2, v2, v1, vcc
	global_load_dwordx2 v[2:3], v[2:3], off
	v_mov_b32_e32 v4, s15
	s_mov_b32 s17, 0
	v_mov_b32_e32 v31, 0
	s_cmp_eq_u32 s1, 1
	s_waitcnt vmcnt(1)
	v_subrev_co_u32_e32 v0, vcc, s20, v34
	v_subbrev_co_u32_e32 v1, vcc, 0, v35, vcc
	v_add_co_u32_e32 v24, vcc, v0, v22
	v_addc_co_u32_e32 v25, vcc, 0, v1, vcc
	v_lshlrev_b64 v[0:1], 5, v[24:25]
	s_waitcnt vmcnt(0)
	v_subrev_co_u32_e32 v26, vcc, s20, v2
	v_subbrev_co_u32_e32 v27, vcc, 0, v3, vcc
	v_add_co_u32_e32 v28, vcc, s14, v0
	v_addc_co_u32_e32 v29, vcc, v4, v1, vcc
	v_cmp_lt_i64_e64 s[0:1], v[24:25], v[26:27]
	s_cbranch_scc1 .LBB110_25
; %bb.14:
	v_mov_b32_e32 v30, 0
	v_mov_b32_e32 v33, 0
	v_mov_b32_e32 v32, 0
	s_and_saveexec_b64 s[8:9], s[0:1]
	s_cbranch_execz .LBB110_24
; %bb.15:
	v_or_b32_e32 v0, 4, v22
	v_mov_b32_e32 v1, s17
	v_subrev_co_u32_e32 v0, vcc, s20, v0
	v_subb_co_u32_e32 v1, vcc, 0, v1, vcc
	v_add_co_u32_e32 v0, vcc, v0, v34
	v_addc_co_u32_e32 v1, vcc, v1, v35, vcc
	v_cmp_gt_i64_e32 vcc, v[0:1], v[26:27]
	v_cndmask_b32_e32 v1, v27, v1, vcc
	v_cndmask_b32_e32 v0, v26, v0, vcc
	v_mov_b32_e32 v4, s17
	v_sub_co_u32_e32 v5, vcc, s20, v22
	v_not_b32_e32 v3, v34
	v_subbrev_co_u32_e32 v4, vcc, 0, v4, vcc
	v_not_b32_e32 v2, v35
	v_add_co_u32_e32 v3, vcc, v5, v3
	v_addc_co_u32_e32 v2, vcc, v4, v2, vcc
	v_add_co_u32_e32 v0, vcc, v3, v0
	v_addc_co_u32_e32 v1, vcc, v2, v1, vcc
	v_lshrrev_b32_e32 v2, 2, v0
	v_add_u32_e32 v2, 1, v2
	v_and_b32_e32 v2, 3, v2
	v_mov_b32_e32 v32, 0
	v_cmp_ne_u32_e32 vcc, 0, v2
	v_mov_b32_e32 v33, v32
	v_mov_b32_e32 v30, v32
	;; [unrolled: 1-line block ×3, first 2 shown]
	v_pk_mov_b32 v[36:37], v[24:25], v[24:25] op_sel:[0,1]
	v_pk_mov_b32 v[38:39], v[28:29], v[28:29] op_sel:[0,1]
	s_and_saveexec_b64 s[2:3], vcc
	s_cbranch_execz .LBB110_19
; %bb.16:
	v_lshlrev_b64 v[4:5], 2, v[24:25]
	v_mov_b32_e32 v3, 0
	v_mov_b32_e32 v6, s13
	v_add_co_u32_e32 v4, vcc, s12, v4
	v_addc_co_u32_e32 v5, vcc, v6, v5, vcc
	v_lshlrev_b32_e32 v2, 3, v2
	s_mov_b64 s[10:11], 0
	v_mov_b32_e32 v6, s7
	s_movk_i32 s14, 0x80
	v_pk_mov_b32 v[38:39], v[28:29], v[28:29] op_sel:[0,1]
	v_pk_mov_b32 v[36:37], v[24:25], v[24:25] op_sel:[0,1]
	v_mov_b32_e32 v32, v3
	v_mov_b32_e32 v33, v3
	;; [unrolled: 1-line block ×4, first 2 shown]
.LBB110_17:                             ; =>This Inner Loop Header: Depth=1
	global_load_dword v7, v[4:5], off
	global_load_dwordx4 v[8:11], v[38:39], off
	global_load_dwordx4 v[12:15], v[38:39], off offset:16
	s_waitcnt vmcnt(2)
	v_subrev_u32_e32 v7, s20, v7
	v_lshlrev_b32_e32 v16, 2, v7
	v_ashrrev_i32_e32 v17, 31, v16
	v_lshlrev_b64 v[16:17], 1, v[16:17]
	v_add_co_u32_e32 v16, vcc, s6, v16
	v_addc_co_u32_e32 v17, vcc, v6, v17, vcc
	global_load_dwordx2 v[16:17], v[16:17], off
	v_add_co_u32_e32 v38, vcc, s14, v38
	v_addc_co_u32_e32 v39, vcc, 0, v39, vcc
	v_add_co_u32_e32 v36, vcc, 4, v36
	v_addc_co_u32_e32 v37, vcc, 0, v37, vcc
	;; [unrolled: 2-line block ×3, first 2 shown]
	s_waitcnt vmcnt(2)
	v_lshlrev_b32_e32 v18, 16, v8
	v_lshlrev_b32_e32 v19, 16, v10
	v_and_b32_e32 v41, 0xffff0000, v10
	v_and_b32_e32 v40, 0xffff0000, v8
	v_lshlrev_b32_e32 v42, 16, v9
	v_and_b32_e32 v10, 0xffff0000, v9
	s_waitcnt vmcnt(1)
	v_lshlrev_b32_e32 v8, 16, v12
	v_lshlrev_b32_e32 v9, 16, v14
	v_and_b32_e32 v44, 0xffff0000, v12
	v_add_co_u32_e32 v2, vcc, -8, v2
	v_and_b32_e32 v45, 0xffff0000, v14
	v_addc_co_u32_e32 v3, vcc, -1, v3, vcc
	v_lshlrev_b32_e32 v43, 16, v11
	v_lshlrev_b32_e32 v47, 16, v15
	;; [unrolled: 1-line block ×3, first 2 shown]
	v_and_b32_e32 v14, 0xffff0000, v13
	v_cmp_eq_u64_e32 vcc, 0, v[2:3]
	v_and_b32_e32 v11, 0xffff0000, v11
	v_and_b32_e32 v15, 0xffff0000, v15
	s_or_b64 s[10:11], vcc, s[10:11]
	s_waitcnt vmcnt(0)
	v_lshlrev_b32_e32 v12, 16, v16
	v_and_b32_e32 v16, 0xffff0000, v16
	v_pk_fma_f32 v[18:19], v[18:19], v[12:13], v[32:33] op_sel_hi:[1,0,1]
	v_pk_fma_f32 v[8:9], v[8:9], v[12:13], v[30:31] op_sel_hi:[1,0,1]
	v_lshlrev_b32_e32 v48, 16, v17
	v_pk_fma_f32 v[12:13], v[40:41], v[16:17], v[18:19] op_sel_hi:[1,0,1]
	v_pk_fma_f32 v[8:9], v[44:45], v[16:17], v[8:9] op_sel_hi:[1,0,1]
	v_and_b32_e32 v50, 0xffff0000, v17
	v_pk_fma_f32 v[12:13], v[42:43], v[48:49], v[12:13] op_sel_hi:[1,0,1]
	v_pk_fma_f32 v[8:9], v[46:47], v[48:49], v[8:9] op_sel_hi:[1,0,1]
	;; [unrolled: 1-line block ×4, first 2 shown]
	s_andn2_b64 exec, exec, s[10:11]
	s_cbranch_execnz .LBB110_17
; %bb.18:
	s_or_b64 exec, exec, s[10:11]
.LBB110_19:
	s_or_b64 exec, exec, s[2:3]
	v_cmp_lt_u64_e32 vcc, 11, v[0:1]
	s_and_saveexec_b64 s[10:11], vcc
	s_cbranch_execz .LBB110_23
; %bb.20:
	v_lshlrev_b64 v[0:1], 2, v[36:37]
	v_mov_b32_e32 v2, s13
	v_add_co_u32_e32 v0, vcc, s12, v0
	v_addc_co_u32_e32 v1, vcc, v1, v2, vcc
	v_add_co_u32_e32 v40, vcc, 32, v0
	v_addc_co_u32_e32 v41, vcc, 0, v1, vcc
	s_mov_b64 s[14:15], 0
	v_mov_b32_e32 v21, s7
.LBB110_21:                             ; =>This Inner Loop Header: Depth=1
	global_load_dword v23, v[40:41], off offset:-32
	global_load_dwordx4 v[4:7], v[38:39], off
	global_load_dwordx4 v[0:3], v[38:39], off offset:16
	global_load_dword v58, v[40:41], off offset:-16
	global_load_dword v59, v[40:41], off
	global_load_dwordx4 v[8:11], v[38:39], off offset:256
	global_load_dwordx4 v[16:19], v[38:39], off offset:128
	;; [unrolled: 1-line block ×3, first 2 shown]
	global_load_dword v72, v[40:41], off offset:16
	global_load_dwordx4 v[42:45], v[38:39], off offset:144
	global_load_dwordx4 v[46:49], v[38:39], off offset:384
	;; [unrolled: 1-line block ×3, first 2 shown]
	v_add_co_u32_e32 v36, vcc, 16, v36
	v_addc_co_u32_e32 v37, vcc, 0, v37, vcc
	v_add_co_u32_e32 v40, vcc, 64, v40
	v_addc_co_u32_e32 v41, vcc, 0, v41, vcc
	;; [unrolled: 2-line block ×3, first 2 shown]
	v_cmp_ge_i64_e64 s[2:3], v[36:37], v[26:27]
	s_or_b64 s[14:15], s[2:3], s[14:15]
	s_waitcnt vmcnt(11)
	v_subrev_u32_e32 v23, s20, v23
	s_waitcnt vmcnt(10)
	v_lshlrev_b32_e32 v54, 16, v4
	s_waitcnt vmcnt(9)
	v_lshlrev_b32_e32 v57, 16, v2
	s_waitcnt vmcnt(8)
	v_subrev_u32_e32 v73, s20, v58
	s_waitcnt vmcnt(7)
	v_subrev_u32_e32 v75, s20, v59
	s_waitcnt vmcnt(6)
	v_lshlrev_b32_e32 v71, 16, v11
	v_and_b32_e32 v59, 0xffff0000, v11
	v_and_b32_e32 v11, 0xffff0000, v2
	s_waitcnt vmcnt(3)
	v_subrev_u32_e32 v2, s20, v72
	v_lshlrev_b32_e32 v72, 2, v23
	v_lshlrev_b32_e32 v74, 2, v73
	v_ashrrev_i32_e32 v73, 31, v72
	v_lshlrev_b64 v[72:73], 1, v[72:73]
	v_lshlrev_b32_e32 v76, 2, v75
	v_ashrrev_i32_e32 v75, 31, v74
	v_add_co_u32_e32 v72, vcc, s6, v72
	v_lshlrev_b64 v[74:75], 1, v[74:75]
	v_addc_co_u32_e32 v73, vcc, v21, v73, vcc
	v_ashrrev_i32_e32 v77, 31, v76
	v_add_co_u32_e32 v74, vcc, s6, v74
	v_lshlrev_b32_e32 v78, 2, v2
	v_lshlrev_b64 v[76:77], 1, v[76:77]
	v_addc_co_u32_e32 v75, vcc, v21, v75, vcc
	v_ashrrev_i32_e32 v79, 31, v78
	v_add_co_u32_e32 v76, vcc, s6, v76
	v_lshlrev_b64 v[78:79], 1, v[78:79]
	v_addc_co_u32_e32 v77, vcc, v21, v77, vcc
	v_add_co_u32_e32 v78, vcc, s6, v78
	v_addc_co_u32_e32 v79, vcc, v21, v79, vcc
	global_load_dwordx2 v[80:81], v[72:73], off
	global_load_dwordx2 v[82:83], v[74:75], off
	;; [unrolled: 1-line block ×4, first 2 shown]
	v_lshlrev_b32_e32 v55, 16, v6
	v_lshlrev_b32_e32 v56, 16, v0
	v_and_b32_e32 v61, 0xffff0000, v6
	v_lshlrev_b32_e32 v62, 16, v5
	v_and_b32_e32 v6, 0xffff0000, v5
	;; [unrolled: 2-line block ×5, first 2 shown]
	v_and_b32_e32 v10, 0xffff0000, v0
	v_lshlrev_b32_e32 v72, 16, v1
	v_and_b32_e32 v2, 0xffff0000, v1
	s_waitcnt vmcnt(6)
	v_lshlrev_b32_e32 v1, 16, v44
	v_lshlrev_b32_e32 v0, 16, v42
	v_and_b32_e32 v75, 0xffff0000, v44
	v_and_b32_e32 v74, 0xffff0000, v42
	v_lshlrev_b32_e32 v76, 16, v43
	v_and_b32_e32 v44, 0xffff0000, v43
	v_lshlrev_b32_e32 v43, 16, v14
	v_lshlrev_b32_e32 v42, 16, v12
	v_and_b32_e32 v79, 0xffff0000, v14
	v_and_b32_e32 v78, 0xffff0000, v12
	s_waitcnt vmcnt(5)
	v_lshlrev_b32_e32 v12, 16, v46
	v_and_b32_e32 v14, 0xffff0000, v46
	s_waitcnt vmcnt(4)
	v_lshlrev_b32_e32 v46, 16, v50
	v_and_b32_e32 v92, 0xffff0000, v50
	v_and_b32_e32 v60, 0xffff0000, v4
	v_lshlrev_b32_e32 v63, 16, v7
	v_lshlrev_b32_e32 v73, 16, v3
	v_and_b32_e32 v7, 0xffff0000, v7
	v_and_b32_e32 v3, 0xffff0000, v3
	v_lshlrev_b32_e32 v4, 16, v16
	v_and_b32_e32 v64, 0xffff0000, v16
	v_lshlrev_b32_e32 v67, 16, v19
	v_lshlrev_b32_e32 v77, 16, v45
	v_and_b32_e32 v19, 0xffff0000, v19
	v_and_b32_e32 v45, 0xffff0000, v45
	v_lshlrev_b32_e32 v16, 16, v8
	v_and_b32_e32 v68, 0xffff0000, v8
	v_lshlrev_b32_e32 v70, 16, v9
	v_lshlrev_b32_e32 v89, 16, v15
	;; [unrolled: 1-line block ×3, first 2 shown]
	v_and_b32_e32 v58, 0xffff0000, v9
	v_and_b32_e32 v8, 0xffff0000, v13
	;; [unrolled: 1-line block ×3, first 2 shown]
	v_lshlrev_b32_e32 v13, 16, v48
	v_and_b32_e32 v15, 0xffff0000, v48
	v_lshlrev_b32_e32 v90, 16, v47
	v_and_b32_e32 v48, 0xffff0000, v47
	;; [unrolled: 2-line block ×3, first 2 shown]
	v_lshlrev_b32_e32 v91, 16, v49
	v_lshlrev_b32_e32 v95, 16, v53
	;; [unrolled: 1-line block ×3, first 2 shown]
	v_and_b32_e32 v49, 0xffff0000, v49
	v_and_b32_e32 v53, 0xffff0000, v53
	;; [unrolled: 1-line block ×3, first 2 shown]
	s_waitcnt vmcnt(3)
	v_lshlrev_b32_e32 v50, 16, v80
	v_and_b32_e32 v80, 0xffff0000, v80
	v_pk_fma_f32 v[32:33], v[54:55], v[50:51], v[32:33] op_sel_hi:[1,0,1]
	v_pk_fma_f32 v[30:31], v[56:57], v[50:51], v[30:31] op_sel_hi:[1,0,1]
	v_lshlrev_b32_e32 v96, 16, v81
	v_pk_fma_f32 v[32:33], v[60:61], v[80:81], v[32:33] op_sel_hi:[1,0,1]
	v_pk_fma_f32 v[10:11], v[10:11], v[80:81], v[30:31] op_sel_hi:[1,0,1]
	v_and_b32_e32 v98, 0xffff0000, v81
	v_pk_fma_f32 v[32:33], v[62:63], v[96:97], v[32:33] op_sel_hi:[1,0,1]
	v_pk_fma_f32 v[10:11], v[72:73], v[96:97], v[10:11] op_sel_hi:[1,0,1]
	s_waitcnt vmcnt(2)
	v_lshlrev_b32_e32 v54, 16, v82
	v_pk_fma_f32 v[6:7], v[6:7], v[98:99], v[32:33] op_sel_hi:[1,0,1]
	v_pk_fma_f32 v[2:3], v[2:3], v[98:99], v[10:11] op_sel_hi:[1,0,1]
	v_and_b32_e32 v50, 0xffff0000, v82
	v_pk_fma_f32 v[4:5], v[4:5], v[54:55], v[6:7] op_sel_hi:[1,0,1]
	v_pk_fma_f32 v[0:1], v[0:1], v[54:55], v[2:3] op_sel_hi:[1,0,1]
	v_lshlrev_b32_e32 v56, 16, v83
	v_pk_fma_f32 v[2:3], v[64:65], v[50:51], v[4:5] op_sel_hi:[1,0,1]
	v_pk_fma_f32 v[0:1], v[74:75], v[50:51], v[0:1] op_sel_hi:[1,0,1]
	v_and_b32_e32 v82, 0xffff0000, v83
	v_pk_fma_f32 v[2:3], v[66:67], v[56:57], v[2:3] op_sel_hi:[1,0,1]
	v_pk_fma_f32 v[0:1], v[76:77], v[56:57], v[0:1] op_sel_hi:[1,0,1]
	s_waitcnt vmcnt(1)
	v_lshlrev_b32_e32 v60, 16, v84
	v_pk_fma_f32 v[2:3], v[18:19], v[82:83], v[2:3] op_sel_hi:[1,0,1]
	v_pk_fma_f32 v[0:1], v[44:45], v[82:83], v[0:1] op_sel_hi:[1,0,1]
	;; [unrolled: 13-line block ×3, first 2 shown]
	v_and_b32_e32 v72, 0xffff0000, v86
	v_pk_fma_f32 v[2:3], v[12:13], v[62:63], v[2:3] op_sel_hi:[1,0,1]
	v_pk_fma_f32 v[0:1], v[46:47], v[62:63], v[0:1] op_sel_hi:[1,0,1]
	v_lshlrev_b32_e32 v86, 16, v87
	v_pk_fma_f32 v[2:3], v[14:15], v[72:73], v[2:3] op_sel_hi:[1,0,1]
	v_pk_fma_f32 v[0:1], v[92:93], v[72:73], v[0:1] op_sel_hi:[1,0,1]
	v_and_b32_e32 v96, 0xffff0000, v87
	v_pk_fma_f32 v[2:3], v[90:91], v[86:87], v[2:3] op_sel_hi:[1,0,1]
	v_pk_fma_f32 v[0:1], v[94:95], v[86:87], v[0:1] op_sel_hi:[1,0,1]
	;; [unrolled: 1-line block ×4, first 2 shown]
	s_andn2_b64 exec, exec, s[14:15]
	s_cbranch_execnz .LBB110_21
; %bb.22:
	s_or_b64 exec, exec, s[14:15]
.LBB110_23:
	s_or_b64 exec, exec, s[10:11]
.LBB110_24:
	s_or_b64 exec, exec, s[8:9]
	s_cbranch_execz .LBB110_26
	s_branch .LBB110_37
.LBB110_25:
                                        ; implicit-def: $vgpr31
                                        ; implicit-def: $vgpr33
.LBB110_26:
	v_mov_b32_e32 v31, 0
	v_mov_b32_e32 v30, 0
	;; [unrolled: 1-line block ×4, first 2 shown]
	s_and_saveexec_b64 s[2:3], s[0:1]
	s_cbranch_execz .LBB110_36
; %bb.27:
	v_or_b32_e32 v0, 4, v22
	v_mov_b32_e32 v1, s17
	v_subrev_co_u32_e32 v0, vcc, s20, v0
	v_subb_co_u32_e32 v1, vcc, 0, v1, vcc
	v_add_co_u32_e32 v0, vcc, v0, v34
	v_addc_co_u32_e32 v1, vcc, v1, v35, vcc
	v_cmp_gt_i64_e32 vcc, v[0:1], v[26:27]
	v_cndmask_b32_e32 v1, v27, v1, vcc
	v_cndmask_b32_e32 v0, v26, v0, vcc
	v_mov_b32_e32 v4, s17
	v_sub_co_u32_e32 v5, vcc, s20, v22
	v_not_b32_e32 v3, v34
	v_subbrev_co_u32_e32 v4, vcc, 0, v4, vcc
	v_not_b32_e32 v2, v35
	v_add_co_u32_e32 v3, vcc, v5, v3
	v_addc_co_u32_e32 v2, vcc, v4, v2, vcc
	v_add_co_u32_e32 v0, vcc, v3, v0
	v_addc_co_u32_e32 v1, vcc, v2, v1, vcc
	v_lshrrev_b32_e32 v2, 2, v0
	v_add_u32_e32 v2, 1, v2
	v_and_b32_e32 v2, 3, v2
	v_mov_b32_e32 v32, 0
	v_cmp_ne_u32_e32 vcc, 0, v2
	v_mov_b32_e32 v33, v32
	v_mov_b32_e32 v30, v32
	;; [unrolled: 1-line block ×3, first 2 shown]
	s_and_saveexec_b64 s[0:1], vcc
	s_cbranch_execz .LBB110_31
; %bb.28:
	v_lshlrev_b64 v[4:5], 2, v[24:25]
	v_mov_b32_e32 v3, 0
	v_mov_b32_e32 v6, s13
	v_add_co_u32_e32 v4, vcc, s12, v4
	v_addc_co_u32_e32 v5, vcc, v6, v5, vcc
	v_lshlrev_b32_e32 v2, 3, v2
	s_mov_b64 s[8:9], 0
	v_mov_b32_e32 v6, s7
	s_movk_i32 s10, 0x80
	v_mov_b32_e32 v32, v3
	v_mov_b32_e32 v33, v3
	;; [unrolled: 1-line block ×4, first 2 shown]
.LBB110_29:                             ; =>This Inner Loop Header: Depth=1
	global_load_dword v7, v[4:5], off
	global_load_dwordx4 v[8:11], v[28:29], off
	s_waitcnt vmcnt(1)
	v_subrev_u32_e32 v7, s20, v7
	v_lshlrev_b32_e32 v12, 2, v7
	v_ashrrev_i32_e32 v13, 31, v12
	v_lshlrev_b64 v[12:13], 1, v[12:13]
	v_add_co_u32_e32 v16, vcc, s6, v12
	v_addc_co_u32_e32 v17, vcc, v6, v13, vcc
	global_load_dwordx2 v[18:19], v[16:17], off
	global_load_dwordx4 v[12:15], v[28:29], off offset:16
	v_add_co_u32_e32 v28, vcc, s10, v28
	v_addc_co_u32_e32 v29, vcc, 0, v29, vcc
	v_add_co_u32_e32 v24, vcc, 4, v24
	v_addc_co_u32_e32 v25, vcc, 0, v25, vcc
	;; [unrolled: 2-line block ×3, first 2 shown]
	s_waitcnt vmcnt(2)
	v_and_b32_e32 v17, 0xffff0000, v8
	v_lshlrev_b32_e32 v16, 16, v8
	v_and_b32_e32 v35, 0xffff0000, v9
	v_lshlrev_b32_e32 v34, 16, v9
	v_add_co_u32_e32 v2, vcc, -8, v2
	v_and_b32_e32 v9, 0xffff0000, v10
	v_lshlrev_b32_e32 v8, 16, v10
	v_and_b32_e32 v41, 0xffff0000, v11
	v_lshlrev_b32_e32 v40, 16, v11
	v_addc_co_u32_e32 v3, vcc, -1, v3, vcc
	v_cmp_eq_u64_e32 vcc, 0, v[2:3]
	s_or_b64 s[8:9], vcc, s[8:9]
	s_waitcnt vmcnt(1)
	v_lshlrev_b32_e32 v42, 16, v19
	s_waitcnt vmcnt(0)
	v_and_b32_e32 v39, 0xffff0000, v14
	v_lshlrev_b32_e32 v38, 16, v14
	v_lshlrev_b32_e32 v14, 16, v18
	v_and_b32_e32 v37, 0xffff0000, v12
	v_lshlrev_b32_e32 v36, 16, v12
	v_and_b32_e32 v11, 0xffff0000, v13
	;; [unrolled: 2-line block ×4, first 2 shown]
	v_pk_fma_f32 v[16:17], v[16:17], v[14:15], v[32:33] op_sel_hi:[1,0,1]
	v_pk_fma_f32 v[14:15], v[34:35], v[14:15], v[30:31] op_sel_hi:[1,0,1]
	;; [unrolled: 1-line block ×4, first 2 shown]
	v_and_b32_e32 v44, 0xffff0000, v19
	v_pk_fma_f32 v[8:9], v[36:37], v[42:43], v[8:9] op_sel_hi:[1,0,1]
	v_pk_fma_f32 v[10:11], v[10:11], v[42:43], v[14:15] op_sel_hi:[1,0,1]
	;; [unrolled: 1-line block ×4, first 2 shown]
	s_andn2_b64 exec, exec, s[8:9]
	s_cbranch_execnz .LBB110_29
; %bb.30:
	s_or_b64 exec, exec, s[8:9]
.LBB110_31:
	s_or_b64 exec, exec, s[0:1]
	v_cmp_lt_u64_e32 vcc, 11, v[0:1]
	s_and_saveexec_b64 s[8:9], vcc
	s_cbranch_execz .LBB110_35
; %bb.32:
	v_lshlrev_b64 v[0:1], 2, v[24:25]
	v_mov_b32_e32 v2, s13
	v_add_co_u32_e32 v0, vcc, s12, v0
	v_addc_co_u32_e32 v1, vcc, v1, v2, vcc
	v_add_co_u32_e32 v34, vcc, 32, v0
	v_addc_co_u32_e32 v35, vcc, 0, v1, vcc
	s_mov_b64 s[10:11], 0
	v_mov_b32_e32 v21, s7
.LBB110_33:                             ; =>This Inner Loop Header: Depth=1
	global_load_dwordx4 v[0:3], v[28:29], off
	global_load_dwordx4 v[4:7], v[28:29], off offset:16
	global_load_dwordx4 v[8:11], v[28:29], off offset:128
	;; [unrolled: 1-line block ×4, first 2 shown]
	global_load_dword v23, v[34:35], off offset:-32
	global_load_dword v68, v[34:35], off offset:-16
	global_load_dword v69, v[34:35], off
	global_load_dword v70, v[34:35], off offset:16
	global_load_dwordx4 v[36:39], v[28:29], off offset:272
	global_load_dwordx4 v[40:43], v[28:29], off offset:384
	;; [unrolled: 1-line block ×3, first 2 shown]
	v_add_co_u32_e32 v24, vcc, 16, v24
	v_addc_co_u32_e32 v25, vcc, 0, v25, vcc
	v_add_co_u32_e32 v34, vcc, 64, v34
	v_addc_co_u32_e32 v35, vcc, 0, v35, vcc
	;; [unrolled: 2-line block ×3, first 2 shown]
	v_cmp_ge_i64_e64 s[0:1], v[24:25], v[26:27]
	s_or_b64 s[10:11], s[0:1], s[10:11]
	s_waitcnt vmcnt(11)
	v_and_b32_e32 v49, 0xffff0000, v0
	v_lshlrev_b32_e32 v48, 16, v0
	s_waitcnt vmcnt(9)
	v_and_b32_e32 v57, 0xffff0000, v8
	v_lshlrev_b32_e32 v56, 16, v8
	v_and_b32_e32 v51, 0xffff0000, v1
	s_waitcnt vmcnt(6)
	v_subrev_u32_e32 v8, s20, v23
	v_lshlrev_b32_e32 v50, 16, v1
	v_and_b32_e32 v1, 0xffff0000, v2
	v_lshlrev_b32_e32 v0, 16, v2
	v_and_b32_e32 v53, 0xffff0000, v4
	;; [unrolled: 2-line block ×7, first 2 shown]
	v_lshlrev_b32_e32 v6, 16, v9
	s_waitcnt vmcnt(5)
	v_subrev_u32_e32 v9, s20, v68
	v_lshlrev_b32_e32 v8, 2, v8
	v_lshlrev_b32_e32 v68, 2, v9
	v_ashrrev_i32_e32 v9, 31, v8
	v_lshlrev_b64 v[8:9], 1, v[8:9]
	v_and_b32_e32 v59, 0xffff0000, v10
	v_lshlrev_b32_e32 v58, 16, v10
	s_waitcnt vmcnt(4)
	v_subrev_u32_e32 v10, s20, v69
	v_ashrrev_i32_e32 v69, 31, v68
	v_add_co_u32_e32 v8, vcc, s6, v8
	v_and_b32_e32 v61, 0xffff0000, v12
	v_lshlrev_b32_e32 v60, 16, v12
	s_waitcnt vmcnt(3)
	v_subrev_u32_e32 v12, s20, v70
	v_lshlrev_b32_e32 v70, 2, v10
	v_lshlrev_b64 v[68:69], 1, v[68:69]
	v_addc_co_u32_e32 v9, vcc, v21, v9, vcc
	v_ashrrev_i32_e32 v71, 31, v70
	v_add_co_u32_e32 v68, vcc, s6, v68
	v_lshlrev_b32_e32 v72, 2, v12
	v_lshlrev_b64 v[70:71], 1, v[70:71]
	v_addc_co_u32_e32 v69, vcc, v21, v69, vcc
	v_ashrrev_i32_e32 v73, 31, v72
	v_add_co_u32_e32 v70, vcc, s6, v70
	v_lshlrev_b64 v[72:73], 1, v[72:73]
	v_addc_co_u32_e32 v71, vcc, v21, v71, vcc
	v_add_co_u32_e32 v72, vcc, s6, v72
	v_addc_co_u32_e32 v73, vcc, v21, v73, vcc
	global_load_dwordx2 v[74:75], v[8:9], off
	global_load_dwordx2 v[76:77], v[68:69], off
	;; [unrolled: 1-line block ×4, first 2 shown]
	s_waitcnt vmcnt(4)
	v_and_b32_e32 v87, 0xffff0000, v46
	v_lshlrev_b32_e32 v86, 16, v46
	v_and_b32_e32 v9, 0xffff0000, v11
	v_lshlrev_b32_e32 v8, 16, v11
	;; [unrolled: 2-line block ×20, first 2 shown]
	s_waitcnt vmcnt(3)
	v_lshlrev_b32_e32 v46, 16, v74
	v_and_b32_e32 v74, 0xffff0000, v74
	v_pk_fma_f32 v[32:33], v[48:49], v[46:47], v[32:33] op_sel_hi:[1,0,1]
	v_pk_fma_f32 v[30:31], v[50:51], v[46:47], v[30:31] op_sel_hi:[1,0,1]
	v_lshlrev_b32_e32 v90, 16, v75
	v_pk_fma_f32 v[0:1], v[0:1], v[74:75], v[32:33] op_sel_hi:[1,0,1]
	v_pk_fma_f32 v[30:31], v[66:67], v[74:75], v[30:31] op_sel_hi:[1,0,1]
	v_and_b32_e32 v92, 0xffff0000, v75
	v_pk_fma_f32 v[0:1], v[52:53], v[90:91], v[0:1] op_sel_hi:[1,0,1]
	v_pk_fma_f32 v[2:3], v[2:3], v[90:91], v[30:31] op_sel_hi:[1,0,1]
	s_waitcnt vmcnt(2)
	v_lshlrev_b32_e32 v48, 16, v76
	v_pk_fma_f32 v[0:1], v[54:55], v[92:93], v[0:1] op_sel_hi:[1,0,1]
	v_pk_fma_f32 v[2:3], v[4:5], v[92:93], v[2:3] op_sel_hi:[1,0,1]
	v_and_b32_e32 v46, 0xffff0000, v76
	v_pk_fma_f32 v[0:1], v[56:57], v[48:49], v[0:1] op_sel_hi:[1,0,1]
	v_pk_fma_f32 v[2:3], v[6:7], v[48:49], v[2:3] op_sel_hi:[1,0,1]
	v_lshlrev_b32_e32 v50, 16, v77
	v_pk_fma_f32 v[0:1], v[58:59], v[46:47], v[0:1] op_sel_hi:[1,0,1]
	v_pk_fma_f32 v[2:3], v[8:9], v[46:47], v[2:3] op_sel_hi:[1,0,1]
	v_and_b32_e32 v76, 0xffff0000, v77
	v_pk_fma_f32 v[0:1], v[60:61], v[50:51], v[0:1] op_sel_hi:[1,0,1]
	v_pk_fma_f32 v[2:3], v[10:11], v[50:51], v[2:3] op_sel_hi:[1,0,1]
	s_waitcnt vmcnt(1)
	v_lshlrev_b32_e32 v32, 16, v78
	v_pk_fma_f32 v[0:1], v[62:63], v[76:77], v[0:1] op_sel_hi:[1,0,1]
	v_pk_fma_f32 v[2:3], v[12:13], v[76:77], v[2:3] op_sel_hi:[1,0,1]
	;; [unrolled: 13-line block ×3, first 2 shown]
	v_and_b32_e32 v30, 0xffff0000, v80
	v_pk_fma_f32 v[0:1], v[38:39], v[52:53], v[0:1] op_sel_hi:[1,0,1]
	v_pk_fma_f32 v[2:3], v[84:85], v[52:53], v[2:3] op_sel_hi:[1,0,1]
	v_lshlrev_b32_e32 v80, 16, v81
	v_pk_fma_f32 v[0:1], v[82:83], v[30:31], v[0:1] op_sel_hi:[1,0,1]
	v_pk_fma_f32 v[2:3], v[40:41], v[30:31], v[2:3] op_sel_hi:[1,0,1]
	v_and_b32_e32 v90, 0xffff0000, v81
	v_pk_fma_f32 v[0:1], v[42:43], v[80:81], v[0:1] op_sel_hi:[1,0,1]
	v_pk_fma_f32 v[2:3], v[88:89], v[80:81], v[2:3] op_sel_hi:[1,0,1]
	;; [unrolled: 1-line block ×4, first 2 shown]
	s_andn2_b64 exec, exec, s[10:11]
	s_cbranch_execnz .LBB110_33
; %bb.34:
	s_or_b64 exec, exec, s[10:11]
.LBB110_35:
	s_or_b64 exec, exec, s[8:9]
.LBB110_36:
	s_or_b64 exec, exec, s[2:3]
.LBB110_37:
	v_mov_b32_dpp v0, v32 row_shr:1 row_mask:0xf bank_mask:0xf
	v_mov_b32_dpp v1, v33 row_shr:1 row_mask:0xf bank_mask:0xf
	;; [unrolled: 1-line block ×4, first 2 shown]
	v_pk_add_f32 v[0:1], v[32:33], v[0:1]
	v_pk_add_f32 v[4:5], v[30:31], v[4:5]
	v_cmp_eq_u32_e32 vcc, 3, v22
	v_mov_b32_dpp v2, v0 row_shr:2 row_mask:0xf bank_mask:0xf
	v_mov_b32_dpp v3, v1 row_shr:2 row_mask:0xf bank_mask:0xf
	v_mov_b32_dpp v6, v4 row_shr:2 row_mask:0xf bank_mask:0xf
	v_mov_b32_dpp v7, v5 row_shr:2 row_mask:0xf bank_mask:0xf
	s_and_b64 exec, exec, vcc
	s_cbranch_execz .LBB110_10
; %bb.38:
	s_load_dwordx2 s[0:1], s[4:5], 0x50
	v_cmp_eq_f32_e64 s[2:3], s18, 0
	v_pk_add_f32 v[2:3], v[0:1], v[2:3]
	v_pk_add_f32 v[0:1], v[4:5], v[6:7]
	s_and_b64 vcc, exec, s[2:3]
	v_lshlrev_b32_e32 v4, 2, v20
	s_cbranch_vccz .LBB110_40
; %bb.39:
	v_ashrrev_i32_e32 v5, 31, v4
	v_lshlrev_b64 v[6:7], 2, v[4:5]
	s_waitcnt lgkmcnt(0)
	v_mov_b32_e32 v5, s1
	v_add_co_u32_e32 v10, vcc, s0, v6
	v_addc_co_u32_e32 v11, vcc, v5, v7, vcc
	v_pk_mul_f32 v[6:7], s[16:17], v[2:3] op_sel_hi:[0,1]
	v_pk_mul_f32 v[8:9], s[16:17], v[0:1] op_sel_hi:[0,1]
	global_store_dwordx4 v[10:11], v[6:9], off
	s_cbranch_execnz .LBB110_10
	s_branch .LBB110_41
.LBB110_40:
.LBB110_41:
	v_ashrrev_i32_e32 v5, 31, v4
	v_lshlrev_b64 v[4:5], 2, v[4:5]
	s_waitcnt lgkmcnt(0)
	v_mov_b32_e32 v6, s1
	v_add_co_u32_e32 v8, vcc, s0, v4
	v_addc_co_u32_e32 v9, vcc, v6, v5, vcc
	global_load_dwordx4 v[4:7], v[8:9], off
	v_pk_mul_f32 v[2:3], s[16:17], v[2:3] op_sel_hi:[0,1]
	v_pk_mul_f32 v[10:11], s[16:17], v[0:1] op_sel_hi:[0,1]
	s_waitcnt vmcnt(0)
	v_pk_fma_f32 v[0:1], s[18:19], v[4:5], v[2:3] op_sel_hi:[0,1,1]
	v_pk_fma_f32 v[2:3], s[18:19], v[6:7], v[10:11] op_sel_hi:[0,1,1]
	global_store_dwordx4 v[8:9], v[0:3], off
	s_endpgm
	.section	.rodata,"a",@progbits
	.p2align	6, 0x0
	.amdhsa_kernel _ZN9rocsparseL18bsrxmvn_4x4_kernelILj128ELj4Efli18rocsparse_bfloat16S1_fEEvT3_20rocsparse_direction_NS_24const_host_device_scalarIT1_EES2_PKS2_PKT2_SB_S8_PKT4_PKT5_S6_PT6_21rocsparse_index_base_b
		.amdhsa_group_segment_fixed_size 0
		.amdhsa_private_segment_fixed_size 0
		.amdhsa_kernarg_size 96
		.amdhsa_user_sgpr_count 6
		.amdhsa_user_sgpr_private_segment_buffer 1
		.amdhsa_user_sgpr_dispatch_ptr 0
		.amdhsa_user_sgpr_queue_ptr 0
		.amdhsa_user_sgpr_kernarg_segment_ptr 1
		.amdhsa_user_sgpr_dispatch_id 0
		.amdhsa_user_sgpr_flat_scratch_init 0
		.amdhsa_user_sgpr_kernarg_preload_length 0
		.amdhsa_user_sgpr_kernarg_preload_offset 0
		.amdhsa_user_sgpr_private_segment_size 0
		.amdhsa_uses_dynamic_stack 0
		.amdhsa_system_sgpr_private_segment_wavefront_offset 0
		.amdhsa_system_sgpr_workgroup_id_x 1
		.amdhsa_system_sgpr_workgroup_id_y 0
		.amdhsa_system_sgpr_workgroup_id_z 0
		.amdhsa_system_sgpr_workgroup_info 0
		.amdhsa_system_vgpr_workitem_id 0
		.amdhsa_next_free_vgpr 100
		.amdhsa_next_free_sgpr 22
		.amdhsa_accum_offset 100
		.amdhsa_reserve_vcc 1
		.amdhsa_reserve_flat_scratch 0
		.amdhsa_float_round_mode_32 0
		.amdhsa_float_round_mode_16_64 0
		.amdhsa_float_denorm_mode_32 3
		.amdhsa_float_denorm_mode_16_64 3
		.amdhsa_dx10_clamp 1
		.amdhsa_ieee_mode 1
		.amdhsa_fp16_overflow 0
		.amdhsa_tg_split 0
		.amdhsa_exception_fp_ieee_invalid_op 0
		.amdhsa_exception_fp_denorm_src 0
		.amdhsa_exception_fp_ieee_div_zero 0
		.amdhsa_exception_fp_ieee_overflow 0
		.amdhsa_exception_fp_ieee_underflow 0
		.amdhsa_exception_fp_ieee_inexact 0
		.amdhsa_exception_int_div_zero 0
	.end_amdhsa_kernel
	.section	.text._ZN9rocsparseL18bsrxmvn_4x4_kernelILj128ELj4Efli18rocsparse_bfloat16S1_fEEvT3_20rocsparse_direction_NS_24const_host_device_scalarIT1_EES2_PKS2_PKT2_SB_S8_PKT4_PKT5_S6_PT6_21rocsparse_index_base_b,"axG",@progbits,_ZN9rocsparseL18bsrxmvn_4x4_kernelILj128ELj4Efli18rocsparse_bfloat16S1_fEEvT3_20rocsparse_direction_NS_24const_host_device_scalarIT1_EES2_PKS2_PKT2_SB_S8_PKT4_PKT5_S6_PT6_21rocsparse_index_base_b,comdat
.Lfunc_end110:
	.size	_ZN9rocsparseL18bsrxmvn_4x4_kernelILj128ELj4Efli18rocsparse_bfloat16S1_fEEvT3_20rocsparse_direction_NS_24const_host_device_scalarIT1_EES2_PKS2_PKT2_SB_S8_PKT4_PKT5_S6_PT6_21rocsparse_index_base_b, .Lfunc_end110-_ZN9rocsparseL18bsrxmvn_4x4_kernelILj128ELj4Efli18rocsparse_bfloat16S1_fEEvT3_20rocsparse_direction_NS_24const_host_device_scalarIT1_EES2_PKS2_PKT2_SB_S8_PKT4_PKT5_S6_PT6_21rocsparse_index_base_b
                                        ; -- End function
	.section	.AMDGPU.csdata,"",@progbits
; Kernel info:
; codeLenInByte = 4048
; NumSgprs: 26
; NumVgprs: 100
; NumAgprs: 0
; TotalNumVgprs: 100
; ScratchSize: 0
; MemoryBound: 0
; FloatMode: 240
; IeeeMode: 1
; LDSByteSize: 0 bytes/workgroup (compile time only)
; SGPRBlocks: 3
; VGPRBlocks: 12
; NumSGPRsForWavesPerEU: 26
; NumVGPRsForWavesPerEU: 100
; AccumOffset: 100
; Occupancy: 4
; WaveLimiterHint : 1
; COMPUTE_PGM_RSRC2:SCRATCH_EN: 0
; COMPUTE_PGM_RSRC2:USER_SGPR: 6
; COMPUTE_PGM_RSRC2:TRAP_HANDLER: 0
; COMPUTE_PGM_RSRC2:TGID_X_EN: 1
; COMPUTE_PGM_RSRC2:TGID_Y_EN: 0
; COMPUTE_PGM_RSRC2:TGID_Z_EN: 0
; COMPUTE_PGM_RSRC2:TIDIG_COMP_CNT: 0
; COMPUTE_PGM_RSRC3_GFX90A:ACCUM_OFFSET: 24
; COMPUTE_PGM_RSRC3_GFX90A:TG_SPLIT: 0
	.section	.text._ZN9rocsparseL18bsrxmvn_4x4_kernelILj128ELj8Efli18rocsparse_bfloat16S1_fEEvT3_20rocsparse_direction_NS_24const_host_device_scalarIT1_EES2_PKS2_PKT2_SB_S8_PKT4_PKT5_S6_PT6_21rocsparse_index_base_b,"axG",@progbits,_ZN9rocsparseL18bsrxmvn_4x4_kernelILj128ELj8Efli18rocsparse_bfloat16S1_fEEvT3_20rocsparse_direction_NS_24const_host_device_scalarIT1_EES2_PKS2_PKT2_SB_S8_PKT4_PKT5_S6_PT6_21rocsparse_index_base_b,comdat
	.globl	_ZN9rocsparseL18bsrxmvn_4x4_kernelILj128ELj8Efli18rocsparse_bfloat16S1_fEEvT3_20rocsparse_direction_NS_24const_host_device_scalarIT1_EES2_PKS2_PKT2_SB_S8_PKT4_PKT5_S6_PT6_21rocsparse_index_base_b ; -- Begin function _ZN9rocsparseL18bsrxmvn_4x4_kernelILj128ELj8Efli18rocsparse_bfloat16S1_fEEvT3_20rocsparse_direction_NS_24const_host_device_scalarIT1_EES2_PKS2_PKT2_SB_S8_PKT4_PKT5_S6_PT6_21rocsparse_index_base_b
	.p2align	8
	.type	_ZN9rocsparseL18bsrxmvn_4x4_kernelILj128ELj8Efli18rocsparse_bfloat16S1_fEEvT3_20rocsparse_direction_NS_24const_host_device_scalarIT1_EES2_PKS2_PKT2_SB_S8_PKT4_PKT5_S6_PT6_21rocsparse_index_base_b,@function
_ZN9rocsparseL18bsrxmvn_4x4_kernelILj128ELj8Efli18rocsparse_bfloat16S1_fEEvT3_20rocsparse_direction_NS_24const_host_device_scalarIT1_EES2_PKS2_PKT2_SB_S8_PKT4_PKT5_S6_PT6_21rocsparse_index_base_b: ; @_ZN9rocsparseL18bsrxmvn_4x4_kernelILj128ELj8Efli18rocsparse_bfloat16S1_fEEvT3_20rocsparse_direction_NS_24const_host_device_scalarIT1_EES2_PKS2_PKT2_SB_S8_PKT4_PKT5_S6_PT6_21rocsparse_index_base_b
; %bb.0:
	s_load_dwordx2 s[20:21], s[4:5], 0x58
	s_load_dwordx2 s[16:17], s[4:5], 0x8
	;; [unrolled: 1-line block ×3, first 2 shown]
	s_waitcnt lgkmcnt(0)
	s_bitcmp1_b32 s21, 0
	s_cselect_b64 s[2:3], -1, 0
	s_xor_b64 s[0:1], s[2:3], -1
	s_and_b64 vcc, exec, s[2:3]
	s_cbranch_vccnz .LBB111_2
; %bb.1:
	s_load_dword s16, s[16:17], 0x0
.LBB111_2:
	s_andn2_b64 vcc, exec, s[0:1]
	s_cbranch_vccnz .LBB111_4
; %bb.3:
	s_load_dword s18, s[18:19], 0x0
.LBB111_4:
	s_waitcnt lgkmcnt(0)
	v_cmp_neq_f32_e64 s[0:1], s16, 0
	v_cmp_neq_f32_e64 s[2:3], s18, 1.0
	s_or_b64 s[0:1], s[0:1], s[2:3]
	s_andn2_b64 vcc, exec, s[0:1]
	s_cbranch_vccnz .LBB111_10
; %bb.5:
	s_load_dwordx2 s[8:9], s[4:5], 0x18
	s_load_dwordx2 s[0:1], s[4:5], 0x0
	v_lshrrev_b32_e32 v1, 3, v0
	v_lshl_or_b32 v20, s6, 4, v1
	s_mov_b64 s[2:3], 0
	s_waitcnt lgkmcnt(0)
	s_cmp_lg_u64 s[8:9], 0
	s_cbranch_scc0 .LBB111_11
; %bb.6:
	s_load_dword s6, s[4:5], 0x10
                                        ; implicit-def: $vgpr1
	s_waitcnt lgkmcnt(0)
	v_cmp_gt_i32_e32 vcc, s6, v20
	s_and_saveexec_b64 s[6:7], vcc
	s_xor_b64 s[6:7], exec, s[6:7]
	s_cbranch_execz .LBB111_8
; %bb.7:
	v_ashrrev_i32_e32 v21, 31, v20
	v_lshlrev_b64 v[2:3], 2, v[20:21]
	v_mov_b32_e32 v1, s9
	v_add_co_u32_e32 v2, vcc, s8, v2
	v_addc_co_u32_e32 v3, vcc, v1, v3, vcc
	global_load_dword v1, v[2:3], off
	s_mov_b64 s[2:3], exec
	s_waitcnt vmcnt(0)
	v_subrev_u32_e32 v1, s20, v1
.LBB111_8:
	s_or_b64 exec, exec, s[6:7]
	s_branch .LBB111_12
.LBB111_9:
	v_cmp_gt_i32_e32 vcc, s0, v20
	s_andn2_b64 s[2:3], s[2:3], exec
	s_and_b64 s[6:7], vcc, exec
	s_or_b64 s[2:3], s[2:3], s[6:7]
	s_and_saveexec_b64 s[6:7], s[2:3]
	s_cbranch_execnz .LBB111_13
.LBB111_10:
	s_endpgm
.LBB111_11:
                                        ; implicit-def: $vgpr1
	s_cbranch_execnz .LBB111_9
.LBB111_12:
	v_mov_b32_e32 v20, v1
	s_and_saveexec_b64 s[6:7], s[2:3]
	s_cbranch_execz .LBB111_10
.LBB111_13:
	s_load_dwordx8 s[8:15], s[4:5], 0x20
	v_ashrrev_i32_e32 v21, 31, v20
	v_lshlrev_b64 v[2:3], 3, v[20:21]
	v_and_b32_e32 v22, 7, v0
	s_load_dwordx2 s[6:7], s[4:5], 0x40
	s_waitcnt lgkmcnt(0)
	v_mov_b32_e32 v1, s9
	v_add_co_u32_e32 v4, vcc, s8, v2
	v_addc_co_u32_e32 v5, vcc, v1, v3, vcc
	v_add_co_u32_e32 v1, vcc, 8, v4
	global_load_dwordx2 v[16:17], v[4:5], off
	v_addc_co_u32_e32 v4, vcc, 0, v5, vcc
	v_mov_b32_e32 v5, s11
	v_add_co_u32_e32 v2, vcc, s10, v2
	s_cmp_eq_u64 s[10:11], 0
	v_addc_co_u32_e32 v3, vcc, v5, v3, vcc
	s_cselect_b64 vcc, -1, 0
	v_cndmask_b32_e32 v3, v3, v4, vcc
	v_cndmask_b32_e32 v2, v2, v1, vcc
	global_load_dwordx2 v[2:3], v[2:3], off
	v_mov_b32_e32 v4, s15
	s_mov_b32 s17, 0
	v_mov_b32_e32 v31, 0
	s_cmp_eq_u32 s1, 1
	s_waitcnt vmcnt(1)
	v_subrev_co_u32_e32 v0, vcc, s20, v16
	v_subbrev_co_u32_e32 v1, vcc, 0, v17, vcc
	v_add_co_u32_e32 v24, vcc, v0, v22
	v_addc_co_u32_e32 v25, vcc, 0, v1, vcc
	v_lshlrev_b64 v[0:1], 5, v[24:25]
	s_waitcnt vmcnt(0)
	v_subrev_co_u32_e32 v26, vcc, s20, v2
	v_subbrev_co_u32_e32 v27, vcc, 0, v3, vcc
	v_add_co_u32_e32 v28, vcc, s14, v0
	v_addc_co_u32_e32 v29, vcc, v4, v1, vcc
	v_cmp_lt_i64_e64 s[0:1], v[24:25], v[26:27]
	s_cbranch_scc1 .LBB111_25
; %bb.14:
	v_mov_b32_e32 v30, 0
	v_mov_b32_e32 v33, 0
	;; [unrolled: 1-line block ×3, first 2 shown]
	s_and_saveexec_b64 s[8:9], s[0:1]
	s_cbranch_execz .LBB111_24
; %bb.15:
	v_or_b32_e32 v0, 8, v22
	v_mov_b32_e32 v1, s17
	v_subrev_co_u32_e32 v0, vcc, s20, v0
	v_subb_co_u32_e32 v1, vcc, 0, v1, vcc
	v_add_co_u32_e32 v0, vcc, v0, v16
	v_addc_co_u32_e32 v1, vcc, v1, v17, vcc
	v_cmp_gt_i64_e32 vcc, v[0:1], v[26:27]
	v_cndmask_b32_e32 v1, v27, v1, vcc
	v_cndmask_b32_e32 v0, v26, v0, vcc
	v_mov_b32_e32 v4, s17
	v_sub_co_u32_e32 v5, vcc, s20, v22
	v_not_b32_e32 v3, v16
	v_subbrev_co_u32_e32 v4, vcc, 0, v4, vcc
	v_not_b32_e32 v2, v17
	v_add_co_u32_e32 v3, vcc, v5, v3
	v_addc_co_u32_e32 v2, vcc, v4, v2, vcc
	v_add_co_u32_e32 v0, vcc, v3, v0
	v_addc_co_u32_e32 v1, vcc, v2, v1, vcc
	v_lshrrev_b32_e32 v2, 3, v0
	v_add_u32_e32 v2, 1, v2
	v_and_b32_e32 v2, 3, v2
	v_mov_b32_e32 v32, 0
	v_cmp_ne_u32_e32 vcc, 0, v2
	v_mov_b32_e32 v33, v32
	v_mov_b32_e32 v30, v32
	;; [unrolled: 1-line block ×3, first 2 shown]
	v_pk_mov_b32 v[18:19], v[24:25], v[24:25] op_sel:[0,1]
	v_pk_mov_b32 v[34:35], v[28:29], v[28:29] op_sel:[0,1]
	s_and_saveexec_b64 s[2:3], vcc
	s_cbranch_execz .LBB111_19
; %bb.16:
	v_lshlrev_b64 v[4:5], 2, v[24:25]
	v_mov_b32_e32 v3, 0
	v_mov_b32_e32 v6, s13
	v_add_co_u32_e32 v4, vcc, s12, v4
	v_addc_co_u32_e32 v5, vcc, v6, v5, vcc
	v_lshlrev_b32_e32 v2, 3, v2
	s_mov_b64 s[10:11], 0
	v_mov_b32_e32 v6, s7
	s_movk_i32 s14, 0x100
	v_pk_mov_b32 v[34:35], v[28:29], v[28:29] op_sel:[0,1]
	v_pk_mov_b32 v[18:19], v[24:25], v[24:25] op_sel:[0,1]
	v_mov_b32_e32 v31, v3
	v_mov_b32_e32 v30, v3
	;; [unrolled: 1-line block ×4, first 2 shown]
.LBB111_17:                             ; =>This Inner Loop Header: Depth=1
	global_load_dword v7, v[4:5], off
	global_load_dwordx4 v[8:11], v[34:35], off
	global_load_dwordx4 v[12:15], v[34:35], off offset:16
	s_waitcnt vmcnt(2)
	v_subrev_u32_e32 v7, s20, v7
	v_lshlrev_b32_e32 v36, 2, v7
	v_ashrrev_i32_e32 v37, 31, v36
	v_lshlrev_b64 v[36:37], 1, v[36:37]
	v_add_co_u32_e32 v36, vcc, s6, v36
	v_addc_co_u32_e32 v37, vcc, v6, v37, vcc
	global_load_dwordx2 v[36:37], v[36:37], off
	v_add_co_u32_e32 v34, vcc, s14, v34
	v_addc_co_u32_e32 v35, vcc, 0, v35, vcc
	v_add_co_u32_e32 v18, vcc, 8, v18
	v_addc_co_u32_e32 v19, vcc, 0, v19, vcc
	;; [unrolled: 2-line block ×3, first 2 shown]
	s_waitcnt vmcnt(2)
	v_and_b32_e32 v38, 0xffff0000, v8
	v_lshlrev_b32_e32 v41, 16, v10
	v_lshlrev_b32_e32 v40, 16, v8
	s_waitcnt vmcnt(1)
	v_and_b32_e32 v8, 0xffff0000, v12
	v_lshlrev_b32_e32 v45, 16, v14
	v_lshlrev_b32_e32 v44, 16, v12
	v_add_co_u32_e32 v2, vcc, -8, v2
	v_and_b32_e32 v39, 0xffff0000, v10
	v_lshlrev_b32_e32 v42, 16, v9
	v_and_b32_e32 v10, 0xffff0000, v9
	v_and_b32_e32 v9, 0xffff0000, v14
	v_lshlrev_b32_e32 v46, 16, v13
	v_and_b32_e32 v14, 0xffff0000, v13
	v_addc_co_u32_e32 v3, vcc, -1, v3, vcc
	v_lshlrev_b32_e32 v43, 16, v11
	v_lshlrev_b32_e32 v47, 16, v15
	v_cmp_eq_u64_e32 vcc, 0, v[2:3]
	v_and_b32_e32 v11, 0xffff0000, v11
	v_and_b32_e32 v15, 0xffff0000, v15
	s_or_b64 s[10:11], vcc, s[10:11]
	s_waitcnt vmcnt(0)
	v_lshlrev_b32_e32 v12, 16, v36
	v_and_b32_e32 v36, 0xffff0000, v36
	v_pk_fma_f32 v[32:33], v[40:41], v[12:13], v[32:33] op_sel_hi:[1,0,1]
	v_pk_fma_f32 v[12:13], v[44:45], v[12:13], v[30:31] op_sel_hi:[1,0,1]
	v_lshlrev_b32_e32 v48, 16, v37
	v_pk_fma_f32 v[30:31], v[38:39], v[36:37], v[32:33] op_sel_hi:[1,0,1]
	v_pk_fma_f32 v[8:9], v[8:9], v[36:37], v[12:13] op_sel_hi:[1,0,1]
	v_and_b32_e32 v50, 0xffff0000, v37
	v_pk_fma_f32 v[12:13], v[42:43], v[48:49], v[30:31] op_sel_hi:[1,0,1]
	v_pk_fma_f32 v[8:9], v[46:47], v[48:49], v[8:9] op_sel_hi:[1,0,1]
	;; [unrolled: 1-line block ×4, first 2 shown]
	s_andn2_b64 exec, exec, s[10:11]
	s_cbranch_execnz .LBB111_17
; %bb.18:
	s_or_b64 exec, exec, s[10:11]
.LBB111_19:
	s_or_b64 exec, exec, s[2:3]
	v_cmp_lt_u64_e32 vcc, 23, v[0:1]
	s_and_saveexec_b64 s[10:11], vcc
	s_cbranch_execz .LBB111_23
; %bb.20:
	v_lshlrev_b64 v[0:1], 2, v[18:19]
	v_mov_b32_e32 v2, s13
	v_add_co_u32_e32 v0, vcc, s12, v0
	v_addc_co_u32_e32 v1, vcc, v1, v2, vcc
	v_add_co_u32_e32 v36, vcc, 64, v0
	v_addc_co_u32_e32 v37, vcc, 0, v1, vcc
	s_mov_b64 s[14:15], 0
	v_mov_b32_e32 v21, s7
.LBB111_21:                             ; =>This Inner Loop Header: Depth=1
	global_load_dword v23, v[36:37], off offset:-64
	global_load_dwordx4 v[4:7], v[34:35], off
	global_load_dwordx4 v[0:3], v[34:35], off offset:16
	global_load_dword v62, v[36:37], off offset:-32
	global_load_dword v63, v[36:37], off
	global_load_dwordx4 v[12:15], v[34:35], off offset:256
	global_load_dwordx4 v[8:11], v[34:35], off offset:512
	global_load_dword v72, v[36:37], off offset:32
	global_load_dwordx4 v[38:41], v[34:35], off offset:272
	global_load_dwordx4 v[42:45], v[34:35], off offset:528
	;; [unrolled: 1-line block ×4, first 2 shown]
	v_add_co_u32_e32 v18, vcc, 32, v18
	v_addc_co_u32_e32 v19, vcc, 0, v19, vcc
	v_add_co_u32_e32 v36, vcc, 0x80, v36
	v_addc_co_u32_e32 v37, vcc, 0, v37, vcc
	;; [unrolled: 2-line block ×3, first 2 shown]
	v_cmp_ge_i64_e64 s[2:3], v[18:19], v[26:27]
	s_or_b64 s[14:15], s[2:3], s[14:15]
	s_waitcnt vmcnt(11)
	v_subrev_u32_e32 v23, s20, v23
	s_waitcnt vmcnt(10)
	v_and_b32_e32 v54, 0xffff0000, v4
	v_lshlrev_b32_e32 v57, 16, v6
	v_lshlrev_b32_e32 v56, 16, v4
	v_and_b32_e32 v55, 0xffff0000, v6
	s_waitcnt vmcnt(9)
	v_and_b32_e32 v58, 0xffff0000, v0
	v_lshlrev_b32_e32 v60, 16, v0
	s_waitcnt vmcnt(8)
	v_subrev_u32_e32 v0, s20, v62
	v_lshlrev_b32_e32 v62, 16, v5
	v_and_b32_e32 v6, 0xffff0000, v5
	s_waitcnt vmcnt(6)
	v_lshlrev_b32_e32 v5, 16, v14
	v_lshlrev_b32_e32 v4, 16, v12
	v_and_b32_e32 v65, 0xffff0000, v14
	v_and_b32_e32 v64, 0xffff0000, v12
	v_lshlrev_b32_e32 v66, 16, v13
	v_and_b32_e32 v14, 0xffff0000, v13
	s_waitcnt vmcnt(5)
	v_lshlrev_b32_e32 v13, 16, v10
	v_lshlrev_b32_e32 v12, 16, v8
	v_and_b32_e32 v69, 0xffff0000, v10
	v_and_b32_e32 v68, 0xffff0000, v8
	v_lshlrev_b32_e32 v70, 16, v9
	v_and_b32_e32 v10, 0xffff0000, v9
	s_waitcnt vmcnt(4)
	v_subrev_u32_e32 v9, s20, v72
	v_lshlrev_b32_e32 v8, 2, v23
	v_lshlrev_b32_e32 v76, 2, v9
	v_ashrrev_i32_e32 v9, 31, v8
	v_lshlrev_b32_e32 v72, 2, v0
	v_lshlrev_b64 v[8:9], 1, v[8:9]
	v_lshlrev_b32_e32 v61, 16, v2
	v_and_b32_e32 v59, 0xffff0000, v2
	v_subrev_u32_e32 v2, s20, v63
	v_ashrrev_i32_e32 v73, 31, v72
	v_add_co_u32_e32 v8, vcc, s6, v8
	v_lshlrev_b32_e32 v74, 2, v2
	v_lshlrev_b64 v[72:73], 1, v[72:73]
	v_addc_co_u32_e32 v9, vcc, v21, v9, vcc
	v_ashrrev_i32_e32 v75, 31, v74
	v_add_co_u32_e32 v72, vcc, s6, v72
	v_lshlrev_b64 v[74:75], 1, v[74:75]
	v_addc_co_u32_e32 v73, vcc, v21, v73, vcc
	v_ashrrev_i32_e32 v77, 31, v76
	v_add_co_u32_e32 v74, vcc, s6, v74
	v_lshlrev_b64 v[76:77], 1, v[76:77]
	v_addc_co_u32_e32 v75, vcc, v21, v75, vcc
	v_add_co_u32_e32 v76, vcc, s6, v76
	v_addc_co_u32_e32 v77, vcc, v21, v77, vcc
	global_load_dwordx2 v[78:79], v[8:9], off
	global_load_dwordx2 v[80:81], v[72:73], off
	;; [unrolled: 1-line block ×4, first 2 shown]
	s_waitcnt vmcnt(7)
	v_lshlrev_b32_e32 v0, 16, v38
	v_and_b32_e32 v72, 0xffff0000, v38
	s_waitcnt vmcnt(6)
	v_lshlrev_b32_e32 v38, 16, v42
	v_and_b32_e32 v76, 0xffff0000, v42
	;; [unrolled: 3-line block ×4, first 2 shown]
	v_lshlrev_b32_e32 v63, 16, v7
	v_lshlrev_b32_e32 v9, 16, v3
	v_lshlrev_b32_e32 v8, 16, v1
	v_and_b32_e32 v7, 0xffff0000, v7
	v_and_b32_e32 v3, 0xffff0000, v3
	v_and_b32_e32 v2, 0xffff0000, v1
	v_lshlrev_b32_e32 v1, 16, v40
	v_and_b32_e32 v73, 0xffff0000, v40
	v_lshlrev_b32_e32 v67, 16, v15
	v_lshlrev_b32_e32 v75, 16, v41
	v_lshlrev_b32_e32 v74, 16, v39
	v_and_b32_e32 v15, 0xffff0000, v15
	v_and_b32_e32 v41, 0xffff0000, v41
	v_and_b32_e32 v40, 0xffff0000, v39
	v_lshlrev_b32_e32 v39, 16, v44
	v_and_b32_e32 v77, 0xffff0000, v44
	;; [unrolled: 8-line block ×3, first 2 shown]
	v_lshlrev_b32_e32 v90, 16, v47
	v_and_b32_e32 v48, 0xffff0000, v47
	v_lshlrev_b32_e32 v47, 16, v52
	v_and_b32_e32 v93, 0xffff0000, v52
	v_lshlrev_b32_e32 v91, 16, v49
	v_lshlrev_b32_e32 v95, 16, v53
	;; [unrolled: 1-line block ×3, first 2 shown]
	v_and_b32_e32 v49, 0xffff0000, v49
	v_and_b32_e32 v53, 0xffff0000, v53
	;; [unrolled: 1-line block ×3, first 2 shown]
	s_waitcnt vmcnt(3)
	v_lshlrev_b32_e32 v50, 16, v78
	v_and_b32_e32 v78, 0xffff0000, v78
	v_pk_fma_f32 v[32:33], v[56:57], v[50:51], v[32:33] op_sel_hi:[1,0,1]
	v_pk_fma_f32 v[30:31], v[60:61], v[50:51], v[30:31] op_sel_hi:[1,0,1]
	v_lshlrev_b32_e32 v96, 16, v79
	v_pk_fma_f32 v[32:33], v[54:55], v[78:79], v[32:33] op_sel_hi:[1,0,1]
	v_pk_fma_f32 v[30:31], v[58:59], v[78:79], v[30:31] op_sel_hi:[1,0,1]
	v_and_b32_e32 v98, 0xffff0000, v79
	v_pk_fma_f32 v[32:33], v[62:63], v[96:97], v[32:33] op_sel_hi:[1,0,1]
	v_pk_fma_f32 v[8:9], v[8:9], v[96:97], v[30:31] op_sel_hi:[1,0,1]
	s_waitcnt vmcnt(2)
	v_lshlrev_b32_e32 v56, 16, v80
	v_pk_fma_f32 v[6:7], v[6:7], v[98:99], v[32:33] op_sel_hi:[1,0,1]
	v_pk_fma_f32 v[2:3], v[2:3], v[98:99], v[8:9] op_sel_hi:[1,0,1]
	v_and_b32_e32 v50, 0xffff0000, v80
	v_pk_fma_f32 v[4:5], v[4:5], v[56:57], v[6:7] op_sel_hi:[1,0,1]
	v_pk_fma_f32 v[0:1], v[0:1], v[56:57], v[2:3] op_sel_hi:[1,0,1]
	v_lshlrev_b32_e32 v60, 16, v81
	v_pk_fma_f32 v[2:3], v[64:65], v[50:51], v[4:5] op_sel_hi:[1,0,1]
	v_pk_fma_f32 v[0:1], v[72:73], v[50:51], v[0:1] op_sel_hi:[1,0,1]
	v_and_b32_e32 v80, 0xffff0000, v81
	v_pk_fma_f32 v[2:3], v[66:67], v[60:61], v[2:3] op_sel_hi:[1,0,1]
	v_pk_fma_f32 v[0:1], v[74:75], v[60:61], v[0:1] op_sel_hi:[1,0,1]
	s_waitcnt vmcnt(1)
	v_lshlrev_b32_e32 v54, 16, v82
	v_pk_fma_f32 v[2:3], v[14:15], v[80:81], v[2:3] op_sel_hi:[1,0,1]
	v_pk_fma_f32 v[0:1], v[40:41], v[80:81], v[0:1] op_sel_hi:[1,0,1]
	;; [unrolled: 13-line block ×3, first 2 shown]
	v_and_b32_e32 v30, 0xffff0000, v84
	v_pk_fma_f32 v[2:3], v[42:43], v[62:63], v[2:3] op_sel_hi:[1,0,1]
	v_pk_fma_f32 v[0:1], v[46:47], v[62:63], v[0:1] op_sel_hi:[1,0,1]
	v_lshlrev_b32_e32 v84, 16, v85
	v_pk_fma_f32 v[2:3], v[88:89], v[30:31], v[2:3] op_sel_hi:[1,0,1]
	v_pk_fma_f32 v[0:1], v[92:93], v[30:31], v[0:1] op_sel_hi:[1,0,1]
	v_and_b32_e32 v96, 0xffff0000, v85
	v_pk_fma_f32 v[2:3], v[90:91], v[84:85], v[2:3] op_sel_hi:[1,0,1]
	v_pk_fma_f32 v[0:1], v[94:95], v[84:85], v[0:1] op_sel_hi:[1,0,1]
	;; [unrolled: 1-line block ×4, first 2 shown]
	s_andn2_b64 exec, exec, s[14:15]
	s_cbranch_execnz .LBB111_21
; %bb.22:
	s_or_b64 exec, exec, s[14:15]
.LBB111_23:
	s_or_b64 exec, exec, s[10:11]
.LBB111_24:
	s_or_b64 exec, exec, s[8:9]
	s_cbranch_execz .LBB111_26
	s_branch .LBB111_37
.LBB111_25:
                                        ; implicit-def: $vgpr31
                                        ; implicit-def: $vgpr33
.LBB111_26:
	v_mov_b32_e32 v31, 0
	v_mov_b32_e32 v30, 0
	;; [unrolled: 1-line block ×4, first 2 shown]
	s_and_saveexec_b64 s[2:3], s[0:1]
	s_cbranch_execz .LBB111_36
; %bb.27:
	v_or_b32_e32 v0, 8, v22
	v_mov_b32_e32 v1, s17
	v_subrev_co_u32_e32 v0, vcc, s20, v0
	v_subb_co_u32_e32 v1, vcc, 0, v1, vcc
	v_add_co_u32_e32 v0, vcc, v0, v16
	v_addc_co_u32_e32 v1, vcc, v1, v17, vcc
	v_cmp_gt_i64_e32 vcc, v[0:1], v[26:27]
	v_cndmask_b32_e32 v1, v27, v1, vcc
	v_cndmask_b32_e32 v0, v26, v0, vcc
	v_mov_b32_e32 v4, s17
	v_sub_co_u32_e32 v5, vcc, s20, v22
	v_not_b32_e32 v3, v16
	v_subbrev_co_u32_e32 v4, vcc, 0, v4, vcc
	v_not_b32_e32 v2, v17
	v_add_co_u32_e32 v3, vcc, v5, v3
	v_addc_co_u32_e32 v2, vcc, v4, v2, vcc
	v_add_co_u32_e32 v0, vcc, v3, v0
	v_addc_co_u32_e32 v1, vcc, v2, v1, vcc
	v_lshrrev_b32_e32 v2, 3, v0
	v_add_u32_e32 v2, 1, v2
	v_and_b32_e32 v2, 3, v2
	v_mov_b32_e32 v32, 0
	v_cmp_ne_u32_e32 vcc, 0, v2
	v_mov_b32_e32 v33, v32
	v_mov_b32_e32 v30, v32
	;; [unrolled: 1-line block ×3, first 2 shown]
	s_and_saveexec_b64 s[0:1], vcc
	s_cbranch_execz .LBB111_31
; %bb.28:
	v_lshlrev_b64 v[4:5], 2, v[24:25]
	v_mov_b32_e32 v3, 0
	v_mov_b32_e32 v6, s13
	v_add_co_u32_e32 v4, vcc, s12, v4
	v_addc_co_u32_e32 v5, vcc, v6, v5, vcc
	v_lshlrev_b32_e32 v2, 3, v2
	s_mov_b64 s[8:9], 0
	v_mov_b32_e32 v6, s7
	s_movk_i32 s10, 0x100
	v_mov_b32_e32 v31, v3
	v_mov_b32_e32 v30, v3
	;; [unrolled: 1-line block ×4, first 2 shown]
.LBB111_29:                             ; =>This Inner Loop Header: Depth=1
	global_load_dword v7, v[4:5], off
	global_load_dwordx4 v[8:11], v[28:29], off
	s_waitcnt vmcnt(1)
	v_subrev_u32_e32 v7, s20, v7
	v_lshlrev_b32_e32 v12, 2, v7
	v_ashrrev_i32_e32 v13, 31, v12
	v_lshlrev_b64 v[12:13], 1, v[12:13]
	v_add_co_u32_e32 v16, vcc, s6, v12
	v_addc_co_u32_e32 v17, vcc, v6, v13, vcc
	global_load_dwordx2 v[18:19], v[16:17], off
	global_load_dwordx4 v[12:15], v[28:29], off offset:16
	v_add_co_u32_e32 v28, vcc, s10, v28
	v_addc_co_u32_e32 v29, vcc, 0, v29, vcc
	v_add_co_u32_e32 v24, vcc, 8, v24
	v_addc_co_u32_e32 v25, vcc, 0, v25, vcc
	;; [unrolled: 2-line block ×3, first 2 shown]
	s_waitcnt vmcnt(2)
	v_and_b32_e32 v17, 0xffff0000, v8
	v_lshlrev_b32_e32 v16, 16, v8
	v_and_b32_e32 v35, 0xffff0000, v9
	v_lshlrev_b32_e32 v34, 16, v9
	v_add_co_u32_e32 v2, vcc, -8, v2
	v_and_b32_e32 v9, 0xffff0000, v10
	v_lshlrev_b32_e32 v8, 16, v10
	v_and_b32_e32 v37, 0xffff0000, v11
	v_lshlrev_b32_e32 v36, 16, v11
	v_addc_co_u32_e32 v3, vcc, -1, v3, vcc
	v_cmp_eq_u64_e32 vcc, 0, v[2:3]
	s_or_b64 s[8:9], vcc, s[8:9]
	s_waitcnt vmcnt(1)
	v_lshlrev_b32_e32 v42, 16, v19
	s_waitcnt vmcnt(0)
	v_and_b32_e32 v39, 0xffff0000, v14
	v_lshlrev_b32_e32 v38, 16, v14
	v_lshlrev_b32_e32 v14, 16, v18
	v_and_b32_e32 v11, 0xffff0000, v12
	v_lshlrev_b32_e32 v10, 16, v12
	v_and_b32_e32 v41, 0xffff0000, v13
	;; [unrolled: 2-line block ×4, first 2 shown]
	v_pk_fma_f32 v[16:17], v[16:17], v[14:15], v[32:33] op_sel_hi:[1,0,1]
	v_pk_fma_f32 v[14:15], v[34:35], v[14:15], v[30:31] op_sel_hi:[1,0,1]
	;; [unrolled: 1-line block ×4, first 2 shown]
	v_and_b32_e32 v44, 0xffff0000, v19
	v_pk_fma_f32 v[8:9], v[10:11], v[42:43], v[8:9] op_sel_hi:[1,0,1]
	v_pk_fma_f32 v[10:11], v[40:41], v[42:43], v[14:15] op_sel_hi:[1,0,1]
	;; [unrolled: 1-line block ×4, first 2 shown]
	s_andn2_b64 exec, exec, s[8:9]
	s_cbranch_execnz .LBB111_29
; %bb.30:
	s_or_b64 exec, exec, s[8:9]
.LBB111_31:
	s_or_b64 exec, exec, s[0:1]
	v_cmp_lt_u64_e32 vcc, 23, v[0:1]
	s_and_saveexec_b64 s[8:9], vcc
	s_cbranch_execz .LBB111_35
; %bb.32:
	v_lshlrev_b64 v[0:1], 2, v[24:25]
	v_mov_b32_e32 v2, s13
	v_add_co_u32_e32 v0, vcc, s12, v0
	v_addc_co_u32_e32 v1, vcc, v1, v2, vcc
	v_add_co_u32_e32 v34, vcc, 64, v0
	v_addc_co_u32_e32 v35, vcc, 0, v1, vcc
	s_mov_b64 s[10:11], 0
	v_mov_b32_e32 v21, s7
.LBB111_33:                             ; =>This Inner Loop Header: Depth=1
	global_load_dwordx4 v[4:7], v[28:29], off
	global_load_dwordx4 v[0:3], v[28:29], off offset:16
	global_load_dwordx4 v[8:11], v[28:29], off offset:256
	;; [unrolled: 1-line block ×4, first 2 shown]
	global_load_dword v23, v[34:35], off offset:-64
	global_load_dword v68, v[34:35], off offset:-32
	global_load_dword v69, v[34:35], off
	global_load_dword v70, v[34:35], off offset:32
	global_load_dwordx4 v[36:39], v[28:29], off offset:528
	global_load_dwordx4 v[40:43], v[28:29], off offset:768
	;; [unrolled: 1-line block ×3, first 2 shown]
	v_add_co_u32_e32 v24, vcc, 32, v24
	v_addc_co_u32_e32 v25, vcc, 0, v25, vcc
	v_add_co_u32_e32 v34, vcc, 0x80, v34
	v_addc_co_u32_e32 v35, vcc, 0, v35, vcc
	;; [unrolled: 2-line block ×3, first 2 shown]
	v_cmp_ge_i64_e64 s[0:1], v[24:25], v[26:27]
	s_or_b64 s[10:11], s[0:1], s[10:11]
	s_waitcnt vmcnt(11)
	v_and_b32_e32 v49, 0xffff0000, v4
	v_lshlrev_b32_e32 v48, 16, v4
	s_waitcnt vmcnt(9)
	v_and_b32_e32 v57, 0xffff0000, v8
	v_lshlrev_b32_e32 v56, 16, v8
	v_and_b32_e32 v51, 0xffff0000, v5
	s_waitcnt vmcnt(6)
	v_subrev_u32_e32 v8, s20, v23
	v_lshlrev_b32_e32 v50, 16, v5
	v_and_b32_e32 v5, 0xffff0000, v6
	v_lshlrev_b32_e32 v4, 16, v6
	v_and_b32_e32 v53, 0xffff0000, v7
	;; [unrolled: 2-line block ×7, first 2 shown]
	v_lshlrev_b32_e32 v2, 16, v9
	s_waitcnt vmcnt(5)
	v_subrev_u32_e32 v9, s20, v68
	v_lshlrev_b32_e32 v8, 2, v8
	v_lshlrev_b32_e32 v68, 2, v9
	v_ashrrev_i32_e32 v9, 31, v8
	v_lshlrev_b64 v[8:9], 1, v[8:9]
	v_and_b32_e32 v59, 0xffff0000, v10
	v_lshlrev_b32_e32 v58, 16, v10
	s_waitcnt vmcnt(4)
	v_subrev_u32_e32 v10, s20, v69
	v_ashrrev_i32_e32 v69, 31, v68
	v_add_co_u32_e32 v8, vcc, s6, v8
	v_and_b32_e32 v61, 0xffff0000, v12
	v_lshlrev_b32_e32 v60, 16, v12
	s_waitcnt vmcnt(3)
	v_subrev_u32_e32 v12, s20, v70
	v_lshlrev_b32_e32 v70, 2, v10
	v_lshlrev_b64 v[68:69], 1, v[68:69]
	v_addc_co_u32_e32 v9, vcc, v21, v9, vcc
	v_ashrrev_i32_e32 v71, 31, v70
	v_add_co_u32_e32 v68, vcc, s6, v68
	v_lshlrev_b32_e32 v72, 2, v12
	v_lshlrev_b64 v[70:71], 1, v[70:71]
	v_addc_co_u32_e32 v69, vcc, v21, v69, vcc
	v_ashrrev_i32_e32 v73, 31, v72
	v_add_co_u32_e32 v70, vcc, s6, v70
	v_lshlrev_b64 v[72:73], 1, v[72:73]
	v_addc_co_u32_e32 v71, vcc, v21, v71, vcc
	v_add_co_u32_e32 v72, vcc, s6, v72
	v_addc_co_u32_e32 v73, vcc, v21, v73, vcc
	global_load_dwordx2 v[74:75], v[8:9], off
	global_load_dwordx2 v[76:77], v[68:69], off
	global_load_dwordx2 v[78:79], v[70:71], off
	global_load_dwordx2 v[80:81], v[72:73], off
	s_waitcnt vmcnt(4)
	v_and_b32_e32 v87, 0xffff0000, v46
	v_lshlrev_b32_e32 v86, 16, v46
	v_and_b32_e32 v9, 0xffff0000, v11
	v_lshlrev_b32_e32 v8, 16, v11
	;; [unrolled: 2-line block ×20, first 2 shown]
	s_waitcnt vmcnt(3)
	v_lshlrev_b32_e32 v46, 16, v74
	v_and_b32_e32 v74, 0xffff0000, v74
	v_pk_fma_f32 v[32:33], v[48:49], v[46:47], v[32:33] op_sel_hi:[1,0,1]
	v_pk_fma_f32 v[30:31], v[50:51], v[46:47], v[30:31] op_sel_hi:[1,0,1]
	v_lshlrev_b32_e32 v90, 16, v75
	v_pk_fma_f32 v[4:5], v[4:5], v[74:75], v[32:33] op_sel_hi:[1,0,1]
	v_pk_fma_f32 v[30:31], v[52:53], v[74:75], v[30:31] op_sel_hi:[1,0,1]
	v_and_b32_e32 v92, 0xffff0000, v75
	v_pk_fma_f32 v[4:5], v[6:7], v[90:91], v[4:5] op_sel_hi:[1,0,1]
	v_pk_fma_f32 v[30:31], v[66:67], v[90:91], v[30:31] op_sel_hi:[1,0,1]
	s_waitcnt vmcnt(2)
	v_lshlrev_b32_e32 v48, 16, v76
	v_pk_fma_f32 v[4:5], v[54:55], v[92:93], v[4:5] op_sel_hi:[1,0,1]
	v_pk_fma_f32 v[0:1], v[0:1], v[92:93], v[30:31] op_sel_hi:[1,0,1]
	v_and_b32_e32 v46, 0xffff0000, v76
	v_pk_fma_f32 v[4:5], v[56:57], v[48:49], v[4:5] op_sel_hi:[1,0,1]
	v_pk_fma_f32 v[0:1], v[2:3], v[48:49], v[0:1] op_sel_hi:[1,0,1]
	v_lshlrev_b32_e32 v50, 16, v77
	v_pk_fma_f32 v[2:3], v[58:59], v[46:47], v[4:5] op_sel_hi:[1,0,1]
	v_pk_fma_f32 v[0:1], v[8:9], v[46:47], v[0:1] op_sel_hi:[1,0,1]
	v_and_b32_e32 v76, 0xffff0000, v77
	v_pk_fma_f32 v[2:3], v[60:61], v[50:51], v[2:3] op_sel_hi:[1,0,1]
	v_pk_fma_f32 v[0:1], v[10:11], v[50:51], v[0:1] op_sel_hi:[1,0,1]
	s_waitcnt vmcnt(1)
	v_lshlrev_b32_e32 v32, 16, v78
	v_pk_fma_f32 v[2:3], v[62:63], v[76:77], v[2:3] op_sel_hi:[1,0,1]
	v_pk_fma_f32 v[0:1], v[12:13], v[76:77], v[0:1] op_sel_hi:[1,0,1]
	;; [unrolled: 13-line block ×3, first 2 shown]
	v_and_b32_e32 v66, 0xffff0000, v80
	v_pk_fma_f32 v[2:3], v[38:39], v[6:7], v[2:3] op_sel_hi:[1,0,1]
	v_pk_fma_f32 v[0:1], v[82:83], v[6:7], v[0:1] op_sel_hi:[1,0,1]
	v_lshlrev_b32_e32 v80, 16, v81
	v_pk_fma_f32 v[2:3], v[40:41], v[66:67], v[2:3] op_sel_hi:[1,0,1]
	v_pk_fma_f32 v[0:1], v[84:85], v[66:67], v[0:1] op_sel_hi:[1,0,1]
	v_and_b32_e32 v90, 0xffff0000, v81
	v_pk_fma_f32 v[2:3], v[42:43], v[80:81], v[2:3] op_sel_hi:[1,0,1]
	v_pk_fma_f32 v[0:1], v[88:89], v[80:81], v[0:1] op_sel_hi:[1,0,1]
	;; [unrolled: 1-line block ×4, first 2 shown]
	s_andn2_b64 exec, exec, s[10:11]
	s_cbranch_execnz .LBB111_33
; %bb.34:
	s_or_b64 exec, exec, s[10:11]
.LBB111_35:
	s_or_b64 exec, exec, s[8:9]
.LBB111_36:
	s_or_b64 exec, exec, s[2:3]
.LBB111_37:
	v_mov_b32_dpp v0, v32 row_shr:1 row_mask:0xf bank_mask:0xf
	v_mov_b32_dpp v1, v33 row_shr:1 row_mask:0xf bank_mask:0xf
	;; [unrolled: 1-line block ×4, first 2 shown]
	v_pk_add_f32 v[0:1], v[32:33], v[0:1]
	v_pk_add_f32 v[4:5], v[30:31], v[4:5]
	v_cmp_eq_u32_e32 vcc, 7, v22
	v_mov_b32_dpp v2, v0 row_shr:2 row_mask:0xf bank_mask:0xf
	v_mov_b32_dpp v3, v1 row_shr:2 row_mask:0xf bank_mask:0xf
	;; [unrolled: 1-line block ×4, first 2 shown]
	v_pk_add_f32 v[0:1], v[0:1], v[2:3]
	v_pk_add_f32 v[4:5], v[4:5], v[6:7]
	s_nop 0
	v_mov_b32_dpp v2, v0 row_shr:4 row_mask:0xf bank_mask:0xe
	v_mov_b32_dpp v3, v1 row_shr:4 row_mask:0xf bank_mask:0xe
	;; [unrolled: 1-line block ×4, first 2 shown]
	s_and_b64 exec, exec, vcc
	s_cbranch_execz .LBB111_10
; %bb.38:
	s_load_dwordx2 s[0:1], s[4:5], 0x50
	v_cmp_eq_f32_e64 s[2:3], s18, 0
	v_pk_add_f32 v[2:3], v[0:1], v[2:3]
	v_pk_add_f32 v[0:1], v[4:5], v[6:7]
	s_and_b64 vcc, exec, s[2:3]
	v_lshlrev_b32_e32 v4, 2, v20
	s_cbranch_vccz .LBB111_40
; %bb.39:
	v_ashrrev_i32_e32 v5, 31, v4
	v_lshlrev_b64 v[6:7], 2, v[4:5]
	s_waitcnt lgkmcnt(0)
	v_mov_b32_e32 v5, s1
	v_add_co_u32_e32 v10, vcc, s0, v6
	v_addc_co_u32_e32 v11, vcc, v5, v7, vcc
	v_pk_mul_f32 v[6:7], s[16:17], v[2:3] op_sel_hi:[0,1]
	v_pk_mul_f32 v[8:9], s[16:17], v[0:1] op_sel_hi:[0,1]
	global_store_dwordx4 v[10:11], v[6:9], off
	s_cbranch_execnz .LBB111_10
	s_branch .LBB111_41
.LBB111_40:
.LBB111_41:
	v_ashrrev_i32_e32 v5, 31, v4
	v_lshlrev_b64 v[4:5], 2, v[4:5]
	s_waitcnt lgkmcnt(0)
	v_mov_b32_e32 v6, s1
	v_add_co_u32_e32 v8, vcc, s0, v4
	v_addc_co_u32_e32 v9, vcc, v6, v5, vcc
	global_load_dwordx4 v[4:7], v[8:9], off
	v_pk_mul_f32 v[2:3], s[16:17], v[2:3] op_sel_hi:[0,1]
	v_pk_mul_f32 v[10:11], s[16:17], v[0:1] op_sel_hi:[0,1]
	s_waitcnt vmcnt(0)
	v_pk_fma_f32 v[0:1], s[18:19], v[4:5], v[2:3] op_sel_hi:[0,1,1]
	v_pk_fma_f32 v[2:3], s[18:19], v[6:7], v[10:11] op_sel_hi:[0,1,1]
	global_store_dwordx4 v[8:9], v[0:3], off
	s_endpgm
	.section	.rodata,"a",@progbits
	.p2align	6, 0x0
	.amdhsa_kernel _ZN9rocsparseL18bsrxmvn_4x4_kernelILj128ELj8Efli18rocsparse_bfloat16S1_fEEvT3_20rocsparse_direction_NS_24const_host_device_scalarIT1_EES2_PKS2_PKT2_SB_S8_PKT4_PKT5_S6_PT6_21rocsparse_index_base_b
		.amdhsa_group_segment_fixed_size 0
		.amdhsa_private_segment_fixed_size 0
		.amdhsa_kernarg_size 96
		.amdhsa_user_sgpr_count 6
		.amdhsa_user_sgpr_private_segment_buffer 1
		.amdhsa_user_sgpr_dispatch_ptr 0
		.amdhsa_user_sgpr_queue_ptr 0
		.amdhsa_user_sgpr_kernarg_segment_ptr 1
		.amdhsa_user_sgpr_dispatch_id 0
		.amdhsa_user_sgpr_flat_scratch_init 0
		.amdhsa_user_sgpr_kernarg_preload_length 0
		.amdhsa_user_sgpr_kernarg_preload_offset 0
		.amdhsa_user_sgpr_private_segment_size 0
		.amdhsa_uses_dynamic_stack 0
		.amdhsa_system_sgpr_private_segment_wavefront_offset 0
		.amdhsa_system_sgpr_workgroup_id_x 1
		.amdhsa_system_sgpr_workgroup_id_y 0
		.amdhsa_system_sgpr_workgroup_id_z 0
		.amdhsa_system_sgpr_workgroup_info 0
		.amdhsa_system_vgpr_workitem_id 0
		.amdhsa_next_free_vgpr 100
		.amdhsa_next_free_sgpr 22
		.amdhsa_accum_offset 100
		.amdhsa_reserve_vcc 1
		.amdhsa_reserve_flat_scratch 0
		.amdhsa_float_round_mode_32 0
		.amdhsa_float_round_mode_16_64 0
		.amdhsa_float_denorm_mode_32 3
		.amdhsa_float_denorm_mode_16_64 3
		.amdhsa_dx10_clamp 1
		.amdhsa_ieee_mode 1
		.amdhsa_fp16_overflow 0
		.amdhsa_tg_split 0
		.amdhsa_exception_fp_ieee_invalid_op 0
		.amdhsa_exception_fp_denorm_src 0
		.amdhsa_exception_fp_ieee_div_zero 0
		.amdhsa_exception_fp_ieee_overflow 0
		.amdhsa_exception_fp_ieee_underflow 0
		.amdhsa_exception_fp_ieee_inexact 0
		.amdhsa_exception_int_div_zero 0
	.end_amdhsa_kernel
	.section	.text._ZN9rocsparseL18bsrxmvn_4x4_kernelILj128ELj8Efli18rocsparse_bfloat16S1_fEEvT3_20rocsparse_direction_NS_24const_host_device_scalarIT1_EES2_PKS2_PKT2_SB_S8_PKT4_PKT5_S6_PT6_21rocsparse_index_base_b,"axG",@progbits,_ZN9rocsparseL18bsrxmvn_4x4_kernelILj128ELj8Efli18rocsparse_bfloat16S1_fEEvT3_20rocsparse_direction_NS_24const_host_device_scalarIT1_EES2_PKS2_PKT2_SB_S8_PKT4_PKT5_S6_PT6_21rocsparse_index_base_b,comdat
.Lfunc_end111:
	.size	_ZN9rocsparseL18bsrxmvn_4x4_kernelILj128ELj8Efli18rocsparse_bfloat16S1_fEEvT3_20rocsparse_direction_NS_24const_host_device_scalarIT1_EES2_PKS2_PKT2_SB_S8_PKT4_PKT5_S6_PT6_21rocsparse_index_base_b, .Lfunc_end111-_ZN9rocsparseL18bsrxmvn_4x4_kernelILj128ELj8Efli18rocsparse_bfloat16S1_fEEvT3_20rocsparse_direction_NS_24const_host_device_scalarIT1_EES2_PKS2_PKT2_SB_S8_PKT4_PKT5_S6_PT6_21rocsparse_index_base_b
                                        ; -- End function
	.section	.AMDGPU.csdata,"",@progbits
; Kernel info:
; codeLenInByte = 4112
; NumSgprs: 26
; NumVgprs: 100
; NumAgprs: 0
; TotalNumVgprs: 100
; ScratchSize: 0
; MemoryBound: 0
; FloatMode: 240
; IeeeMode: 1
; LDSByteSize: 0 bytes/workgroup (compile time only)
; SGPRBlocks: 3
; VGPRBlocks: 12
; NumSGPRsForWavesPerEU: 26
; NumVGPRsForWavesPerEU: 100
; AccumOffset: 100
; Occupancy: 4
; WaveLimiterHint : 1
; COMPUTE_PGM_RSRC2:SCRATCH_EN: 0
; COMPUTE_PGM_RSRC2:USER_SGPR: 6
; COMPUTE_PGM_RSRC2:TRAP_HANDLER: 0
; COMPUTE_PGM_RSRC2:TGID_X_EN: 1
; COMPUTE_PGM_RSRC2:TGID_Y_EN: 0
; COMPUTE_PGM_RSRC2:TGID_Z_EN: 0
; COMPUTE_PGM_RSRC2:TIDIG_COMP_CNT: 0
; COMPUTE_PGM_RSRC3_GFX90A:ACCUM_OFFSET: 24
; COMPUTE_PGM_RSRC3_GFX90A:TG_SPLIT: 0
	.section	.text._ZN9rocsparseL18bsrxmvn_4x4_kernelILj128ELj16Efli18rocsparse_bfloat16S1_fEEvT3_20rocsparse_direction_NS_24const_host_device_scalarIT1_EES2_PKS2_PKT2_SB_S8_PKT4_PKT5_S6_PT6_21rocsparse_index_base_b,"axG",@progbits,_ZN9rocsparseL18bsrxmvn_4x4_kernelILj128ELj16Efli18rocsparse_bfloat16S1_fEEvT3_20rocsparse_direction_NS_24const_host_device_scalarIT1_EES2_PKS2_PKT2_SB_S8_PKT4_PKT5_S6_PT6_21rocsparse_index_base_b,comdat
	.globl	_ZN9rocsparseL18bsrxmvn_4x4_kernelILj128ELj16Efli18rocsparse_bfloat16S1_fEEvT3_20rocsparse_direction_NS_24const_host_device_scalarIT1_EES2_PKS2_PKT2_SB_S8_PKT4_PKT5_S6_PT6_21rocsparse_index_base_b ; -- Begin function _ZN9rocsparseL18bsrxmvn_4x4_kernelILj128ELj16Efli18rocsparse_bfloat16S1_fEEvT3_20rocsparse_direction_NS_24const_host_device_scalarIT1_EES2_PKS2_PKT2_SB_S8_PKT4_PKT5_S6_PT6_21rocsparse_index_base_b
	.p2align	8
	.type	_ZN9rocsparseL18bsrxmvn_4x4_kernelILj128ELj16Efli18rocsparse_bfloat16S1_fEEvT3_20rocsparse_direction_NS_24const_host_device_scalarIT1_EES2_PKS2_PKT2_SB_S8_PKT4_PKT5_S6_PT6_21rocsparse_index_base_b,@function
_ZN9rocsparseL18bsrxmvn_4x4_kernelILj128ELj16Efli18rocsparse_bfloat16S1_fEEvT3_20rocsparse_direction_NS_24const_host_device_scalarIT1_EES2_PKS2_PKT2_SB_S8_PKT4_PKT5_S6_PT6_21rocsparse_index_base_b: ; @_ZN9rocsparseL18bsrxmvn_4x4_kernelILj128ELj16Efli18rocsparse_bfloat16S1_fEEvT3_20rocsparse_direction_NS_24const_host_device_scalarIT1_EES2_PKS2_PKT2_SB_S8_PKT4_PKT5_S6_PT6_21rocsparse_index_base_b
; %bb.0:
	s_load_dwordx2 s[20:21], s[4:5], 0x58
	s_load_dwordx2 s[16:17], s[4:5], 0x8
	;; [unrolled: 1-line block ×3, first 2 shown]
	s_waitcnt lgkmcnt(0)
	s_bitcmp1_b32 s21, 0
	s_cselect_b64 s[2:3], -1, 0
	s_xor_b64 s[0:1], s[2:3], -1
	s_and_b64 vcc, exec, s[2:3]
	s_cbranch_vccnz .LBB112_2
; %bb.1:
	s_load_dword s16, s[16:17], 0x0
.LBB112_2:
	s_andn2_b64 vcc, exec, s[0:1]
	s_cbranch_vccnz .LBB112_4
; %bb.3:
	s_load_dword s18, s[18:19], 0x0
.LBB112_4:
	s_waitcnt lgkmcnt(0)
	v_cmp_neq_f32_e64 s[0:1], s16, 0
	v_cmp_neq_f32_e64 s[2:3], s18, 1.0
	s_or_b64 s[0:1], s[0:1], s[2:3]
	s_andn2_b64 vcc, exec, s[0:1]
	s_cbranch_vccnz .LBB112_10
; %bb.5:
	s_load_dwordx2 s[8:9], s[4:5], 0x18
	s_load_dwordx2 s[0:1], s[4:5], 0x0
	v_lshrrev_b32_e32 v1, 4, v0
	v_lshl_or_b32 v20, s6, 3, v1
	s_mov_b64 s[2:3], 0
	s_waitcnt lgkmcnt(0)
	s_cmp_lg_u64 s[8:9], 0
	s_cbranch_scc0 .LBB112_11
; %bb.6:
	s_load_dword s6, s[4:5], 0x10
                                        ; implicit-def: $vgpr1
	s_waitcnt lgkmcnt(0)
	v_cmp_gt_i32_e32 vcc, s6, v20
	s_and_saveexec_b64 s[6:7], vcc
	s_xor_b64 s[6:7], exec, s[6:7]
	s_cbranch_execz .LBB112_8
; %bb.7:
	v_ashrrev_i32_e32 v21, 31, v20
	v_lshlrev_b64 v[2:3], 2, v[20:21]
	v_mov_b32_e32 v1, s9
	v_add_co_u32_e32 v2, vcc, s8, v2
	v_addc_co_u32_e32 v3, vcc, v1, v3, vcc
	global_load_dword v1, v[2:3], off
	s_mov_b64 s[2:3], exec
	s_waitcnt vmcnt(0)
	v_subrev_u32_e32 v1, s20, v1
.LBB112_8:
	s_or_b64 exec, exec, s[6:7]
	s_branch .LBB112_12
.LBB112_9:
	v_cmp_gt_i32_e32 vcc, s0, v20
	s_andn2_b64 s[2:3], s[2:3], exec
	s_and_b64 s[6:7], vcc, exec
	s_or_b64 s[2:3], s[2:3], s[6:7]
	s_and_saveexec_b64 s[6:7], s[2:3]
	s_cbranch_execnz .LBB112_13
.LBB112_10:
	s_endpgm
.LBB112_11:
                                        ; implicit-def: $vgpr1
	s_cbranch_execnz .LBB112_9
.LBB112_12:
	v_mov_b32_e32 v20, v1
	s_and_saveexec_b64 s[6:7], s[2:3]
	s_cbranch_execz .LBB112_10
.LBB112_13:
	s_load_dwordx8 s[8:15], s[4:5], 0x20
	v_ashrrev_i32_e32 v21, 31, v20
	v_lshlrev_b64 v[2:3], 3, v[20:21]
	v_and_b32_e32 v22, 15, v0
	s_load_dwordx2 s[6:7], s[4:5], 0x40
	s_waitcnt lgkmcnt(0)
	v_mov_b32_e32 v1, s9
	v_add_co_u32_e32 v4, vcc, s8, v2
	v_addc_co_u32_e32 v5, vcc, v1, v3, vcc
	v_add_co_u32_e32 v1, vcc, 8, v4
	global_load_dwordx2 v[12:13], v[4:5], off
	v_addc_co_u32_e32 v4, vcc, 0, v5, vcc
	v_mov_b32_e32 v5, s11
	v_add_co_u32_e32 v2, vcc, s10, v2
	s_cmp_eq_u64 s[10:11], 0
	v_addc_co_u32_e32 v3, vcc, v5, v3, vcc
	s_cselect_b64 vcc, -1, 0
	v_cndmask_b32_e32 v3, v3, v4, vcc
	v_cndmask_b32_e32 v2, v2, v1, vcc
	global_load_dwordx2 v[2:3], v[2:3], off
	v_mov_b32_e32 v4, s15
	s_mov_b32 s17, 0
	v_mov_b32_e32 v31, 0
	s_cmp_eq_u32 s1, 1
	s_waitcnt vmcnt(1)
	v_subrev_co_u32_e32 v0, vcc, s20, v12
	v_subbrev_co_u32_e32 v1, vcc, 0, v13, vcc
	v_add_co_u32_e32 v24, vcc, v0, v22
	v_addc_co_u32_e32 v25, vcc, 0, v1, vcc
	v_lshlrev_b64 v[0:1], 5, v[24:25]
	s_waitcnt vmcnt(0)
	v_subrev_co_u32_e32 v26, vcc, s20, v2
	v_subbrev_co_u32_e32 v27, vcc, 0, v3, vcc
	v_add_co_u32_e32 v28, vcc, s14, v0
	v_addc_co_u32_e32 v29, vcc, v4, v1, vcc
	v_cmp_lt_i64_e64 s[0:1], v[24:25], v[26:27]
	s_cbranch_scc1 .LBB112_25
; %bb.14:
	v_mov_b32_e32 v30, 0
	v_mov_b32_e32 v33, 0
	;; [unrolled: 1-line block ×3, first 2 shown]
	s_and_saveexec_b64 s[8:9], s[0:1]
	s_cbranch_execz .LBB112_24
; %bb.15:
	v_or_b32_e32 v0, 16, v22
	v_mov_b32_e32 v1, s17
	v_subrev_co_u32_e32 v0, vcc, s20, v0
	v_subb_co_u32_e32 v1, vcc, 0, v1, vcc
	v_add_co_u32_e32 v0, vcc, v0, v12
	v_addc_co_u32_e32 v1, vcc, v1, v13, vcc
	v_cmp_gt_i64_e32 vcc, v[0:1], v[26:27]
	v_cndmask_b32_e32 v1, v27, v1, vcc
	v_cndmask_b32_e32 v0, v26, v0, vcc
	v_mov_b32_e32 v4, s17
	v_sub_co_u32_e32 v5, vcc, s20, v22
	v_not_b32_e32 v3, v12
	v_subbrev_co_u32_e32 v4, vcc, 0, v4, vcc
	v_not_b32_e32 v2, v13
	v_add_co_u32_e32 v3, vcc, v5, v3
	v_addc_co_u32_e32 v2, vcc, v4, v2, vcc
	v_add_co_u32_e32 v0, vcc, v3, v0
	v_addc_co_u32_e32 v1, vcc, v2, v1, vcc
	v_lshrrev_b32_e32 v2, 4, v0
	v_add_u32_e32 v2, 1, v2
	v_and_b32_e32 v2, 3, v2
	s_mov_b32 s2, s17
	s_mov_b32 s3, s17
	v_cmp_ne_u32_e32 vcc, 0, v2
	v_pk_mov_b32 v[32:33], s[2:3], s[2:3] op_sel:[0,1]
	v_pk_mov_b32 v[30:31], s[2:3], s[2:3] op_sel:[0,1]
	;; [unrolled: 1-line block ×4, first 2 shown]
	s_and_saveexec_b64 s[2:3], vcc
	s_cbranch_execz .LBB112_19
; %bb.16:
	v_lshlrev_b64 v[4:5], 2, v[24:25]
	v_mov_b32_e32 v3, 0
	v_mov_b32_e32 v6, s13
	v_add_co_u32_e32 v4, vcc, s12, v4
	v_addc_co_u32_e32 v5, vcc, v6, v5, vcc
	v_lshlrev_b32_e32 v2, 3, v2
	s_mov_b64 s[10:11], 0
	v_mov_b32_e32 v6, s7
	s_movk_i32 s14, 0x200
	v_pk_mov_b32 v[16:17], v[28:29], v[28:29] op_sel:[0,1]
	v_pk_mov_b32 v[14:15], v[24:25], v[24:25] op_sel:[0,1]
	v_mov_b32_e32 v30, v3
	v_mov_b32_e32 v31, v3
	;; [unrolled: 1-line block ×4, first 2 shown]
.LBB112_17:                             ; =>This Inner Loop Header: Depth=1
	global_load_dword v7, v[4:5], off
	global_load_dwordx4 v[8:11], v[16:17], off
	global_load_dwordx4 v[34:37], v[16:17], off offset:16
	s_waitcnt vmcnt(2)
	v_subrev_u32_e32 v7, s20, v7
	v_lshlrev_b32_e32 v18, 2, v7
	v_ashrrev_i32_e32 v19, 31, v18
	v_lshlrev_b64 v[18:19], 1, v[18:19]
	v_add_co_u32_e32 v18, vcc, s6, v18
	v_addc_co_u32_e32 v19, vcc, v6, v19, vcc
	global_load_dwordx2 v[18:19], v[18:19], off
	v_add_co_u32_e32 v16, vcc, s14, v16
	v_addc_co_u32_e32 v17, vcc, 0, v17, vcc
	v_add_co_u32_e32 v14, vcc, 16, v14
	v_addc_co_u32_e32 v15, vcc, 0, v15, vcc
	;; [unrolled: 2-line block ×3, first 2 shown]
	s_waitcnt vmcnt(2)
	v_lshlrev_b32_e32 v41, 16, v10
	v_lshlrev_b32_e32 v40, 16, v8
	s_waitcnt vmcnt(1)
	v_lshlrev_b32_e32 v45, 16, v36
	v_lshlrev_b32_e32 v44, 16, v34
	v_and_b32_e32 v46, 0xffff0000, v34
	v_add_co_u32_e32 v2, vcc, -8, v2
	v_and_b32_e32 v43, 0xffff0000, v10
	v_and_b32_e32 v42, 0xffff0000, v8
	;; [unrolled: 1-line block ×3, first 2 shown]
	v_addc_co_u32_e32 v3, vcc, -1, v3, vcc
	v_lshlrev_b32_e32 v38, 16, v9
	v_lshlrev_b32_e32 v39, 16, v11
	v_and_b32_e32 v10, 0xffff0000, v9
	v_lshlrev_b32_e32 v8, 16, v35
	v_lshlrev_b32_e32 v9, 16, v37
	v_cmp_eq_u64_e32 vcc, 0, v[2:3]
	v_and_b32_e32 v11, 0xffff0000, v11
	v_and_b32_e32 v37, 0xffff0000, v37
	;; [unrolled: 1-line block ×3, first 2 shown]
	s_or_b64 s[10:11], vcc, s[10:11]
	s_waitcnt vmcnt(0)
	v_lshlrev_b32_e32 v34, 16, v18
	v_and_b32_e32 v18, 0xffff0000, v18
	v_pk_fma_f32 v[32:33], v[40:41], v[34:35], v[32:33] op_sel_hi:[1,0,1]
	v_pk_fma_f32 v[30:31], v[44:45], v[34:35], v[30:31] op_sel_hi:[1,0,1]
	v_lshlrev_b32_e32 v48, 16, v19
	v_and_b32_e32 v50, 0xffff0000, v19
	v_pk_fma_f32 v[32:33], v[42:43], v[18:19], v[32:33] op_sel_hi:[1,0,1]
	v_pk_fma_f32 v[18:19], v[46:47], v[18:19], v[30:31] op_sel_hi:[1,0,1]
	;; [unrolled: 1-line block ×6, first 2 shown]
	s_andn2_b64 exec, exec, s[10:11]
	s_cbranch_execnz .LBB112_17
; %bb.18:
	s_or_b64 exec, exec, s[10:11]
.LBB112_19:
	s_or_b64 exec, exec, s[2:3]
	v_cmp_lt_u64_e32 vcc, 47, v[0:1]
	s_and_saveexec_b64 s[10:11], vcc
	s_cbranch_execz .LBB112_23
; %bb.20:
	v_lshlrev_b64 v[0:1], 2, v[14:15]
	v_mov_b32_e32 v2, s13
	v_add_co_u32_e32 v0, vcc, s12, v0
	v_addc_co_u32_e32 v1, vcc, v1, v2, vcc
	v_add_co_u32_e32 v18, vcc, 0x80, v0
	v_addc_co_u32_e32 v19, vcc, 0, v1, vcc
	s_mov_b64 s[14:15], 0
	v_mov_b32_e32 v21, s7
	s_movk_i32 s19, 0x800
.LBB112_21:                             ; =>This Inner Loop Header: Depth=1
	global_load_dword v23, v[18:19], off offset:-128
	global_load_dwordx4 v[8:11], v[16:17], off
	global_load_dwordx4 v[0:3], v[16:17], off offset:16
	global_load_dword v66, v[18:19], off offset:-64
	global_load_dword v67, v[18:19], off
	global_load_dwordx4 v[34:37], v[16:17], off offset:512
	global_load_dwordx4 v[4:7], v[16:17], off offset:1024
	global_load_dword v74, v[18:19], off offset:64
	global_load_dwordx4 v[38:41], v[16:17], off offset:528
	global_load_dwordx4 v[42:45], v[16:17], off offset:1040
	global_load_dwordx4 v[46:49], v[16:17], off offset:1536
	global_load_dwordx4 v[50:53], v[16:17], off offset:1552
	v_add_co_u32_e32 v16, vcc, s19, v16
	v_addc_co_u32_e32 v17, vcc, 0, v17, vcc
	v_add_co_u32_e32 v18, vcc, 0x100, v18
	v_addc_co_u32_e32 v19, vcc, 0, v19, vcc
	v_add_co_u32_e64 v14, s[2:3], 64, v14
	v_addc_co_u32_e64 v15, s[2:3], 0, v15, s[2:3]
	v_cmp_ge_i64_e64 s[2:3], v[14:15], v[26:27]
	s_or_b64 s[14:15], s[2:3], s[14:15]
	s_waitcnt vmcnt(11)
	v_subrev_u32_e32 v23, s20, v23
	s_waitcnt vmcnt(10)
	v_lshlrev_b32_e32 v56, 16, v8
	v_and_b32_e32 v58, 0xffff0000, v8
	s_waitcnt vmcnt(9)
	v_lshlrev_b32_e32 v62, 16, v0
	v_and_b32_e32 v64, 0xffff0000, v0
	s_waitcnt vmcnt(8)
	v_subrev_u32_e32 v0, s20, v66
	s_waitcnt vmcnt(6)
	v_lshlrev_b32_e32 v8, 16, v34
	v_and_b32_e32 v66, 0xffff0000, v34
	s_waitcnt vmcnt(5)
	v_lshlrev_b32_e32 v34, 16, v4
	v_and_b32_e32 v70, 0xffff0000, v4
	s_waitcnt vmcnt(4)
	v_subrev_u32_e32 v4, s20, v74
	v_lshlrev_b32_e32 v74, 2, v23
	v_ashrrev_i32_e32 v75, 31, v74
	v_lshlrev_b32_e32 v76, 2, v0
	v_lshlrev_b64 v[74:75], 1, v[74:75]
	v_lshlrev_b32_e32 v63, 16, v2
	v_and_b32_e32 v65, 0xffff0000, v2
	v_subrev_u32_e32 v2, s20, v67
	v_ashrrev_i32_e32 v77, 31, v76
	v_add_co_u32_e32 v74, vcc, s6, v74
	v_lshlrev_b32_e32 v78, 2, v2
	v_lshlrev_b64 v[76:77], 1, v[76:77]
	v_addc_co_u32_e32 v75, vcc, v21, v75, vcc
	v_ashrrev_i32_e32 v79, 31, v78
	v_add_co_u32_e32 v76, vcc, s6, v76
	v_lshlrev_b32_e32 v80, 2, v4
	v_lshlrev_b64 v[78:79], 1, v[78:79]
	v_addc_co_u32_e32 v77, vcc, v21, v77, vcc
	v_ashrrev_i32_e32 v81, 31, v80
	v_add_co_u32_e32 v78, vcc, s6, v78
	v_lshlrev_b64 v[80:81], 1, v[80:81]
	v_addc_co_u32_e32 v79, vcc, v21, v79, vcc
	v_add_co_u32_e32 v80, vcc, s6, v80
	v_addc_co_u32_e32 v81, vcc, v21, v81, vcc
	global_load_dwordx2 v[82:83], v[74:75], off
	global_load_dwordx2 v[84:85], v[76:77], off
	global_load_dwordx2 v[86:87], v[78:79], off
	global_load_dwordx2 v[88:89], v[80:81], off
	v_lshlrev_b32_e32 v57, 16, v10
	s_waitcnt vmcnt(7)
	v_lshlrev_b32_e32 v0, 16, v38
	v_and_b32_e32 v4, 0xffff0000, v38
	s_waitcnt vmcnt(6)
	v_lshlrev_b32_e32 v38, 16, v42
	v_and_b32_e32 v76, 0xffff0000, v42
	s_waitcnt vmcnt(5)
	v_and_b32_e32 v42, 0xffff0000, v46
	v_lshlrev_b32_e32 v80, 16, v46
	s_waitcnt vmcnt(4)
	v_and_b32_e32 v46, 0xffff0000, v50
	v_lshlrev_b32_e32 v92, 16, v50
	v_and_b32_e32 v59, 0xffff0000, v10
	v_lshlrev_b32_e32 v54, 16, v9
	v_lshlrev_b32_e32 v55, 16, v11
	;; [unrolled: 1-line block ×4, first 2 shown]
	v_and_b32_e32 v11, 0xffff0000, v11
	v_and_b32_e32 v10, 0xffff0000, v9
	;; [unrolled: 1-line block ×4, first 2 shown]
	v_lshlrev_b32_e32 v9, 16, v36
	v_lshlrev_b32_e32 v1, 16, v40
	v_and_b32_e32 v67, 0xffff0000, v36
	v_lshlrev_b32_e32 v68, 16, v35
	v_and_b32_e32 v36, 0xffff0000, v35
	;; [unrolled: 2-line block ×4, first 2 shown]
	v_and_b32_e32 v5, 0xffff0000, v40
	v_lshlrev_b32_e32 v69, 16, v37
	v_lshlrev_b32_e32 v75, 16, v41
	;; [unrolled: 1-line block ×3, first 2 shown]
	v_and_b32_e32 v37, 0xffff0000, v37
	v_and_b32_e32 v41, 0xffff0000, v41
	;; [unrolled: 1-line block ×3, first 2 shown]
	v_lshlrev_b32_e32 v39, 16, v44
	v_and_b32_e32 v77, 0xffff0000, v44
	v_lshlrev_b32_e32 v73, 16, v7
	v_lshlrev_b32_e32 v79, 16, v45
	;; [unrolled: 1-line block ×3, first 2 shown]
	v_and_b32_e32 v7, 0xffff0000, v7
	v_and_b32_e32 v45, 0xffff0000, v45
	;; [unrolled: 1-line block ×3, first 2 shown]
	v_lshlrev_b32_e32 v81, 16, v48
	v_lshlrev_b32_e32 v93, 16, v52
	v_and_b32_e32 v43, 0xffff0000, v48
	v_lshlrev_b32_e32 v90, 16, v47
	v_and_b32_e32 v48, 0xffff0000, v47
	v_and_b32_e32 v47, 0xffff0000, v52
	v_lshlrev_b32_e32 v91, 16, v49
	v_lshlrev_b32_e32 v95, 16, v53
	;; [unrolled: 1-line block ×3, first 2 shown]
	v_and_b32_e32 v49, 0xffff0000, v49
	v_and_b32_e32 v53, 0xffff0000, v53
	;; [unrolled: 1-line block ×3, first 2 shown]
	s_waitcnt vmcnt(3)
	v_lshlrev_b32_e32 v50, 16, v82
	v_and_b32_e32 v82, 0xffff0000, v82
	v_pk_fma_f32 v[32:33], v[56:57], v[50:51], v[32:33] op_sel_hi:[1,0,1]
	v_pk_fma_f32 v[30:31], v[62:63], v[50:51], v[30:31] op_sel_hi:[1,0,1]
	v_lshlrev_b32_e32 v96, 16, v83
	v_pk_fma_f32 v[32:33], v[58:59], v[82:83], v[32:33] op_sel_hi:[1,0,1]
	v_pk_fma_f32 v[30:31], v[64:65], v[82:83], v[30:31] op_sel_hi:[1,0,1]
	v_and_b32_e32 v98, 0xffff0000, v83
	v_pk_fma_f32 v[32:33], v[54:55], v[96:97], v[32:33] op_sel_hi:[1,0,1]
	v_pk_fma_f32 v[30:31], v[60:61], v[96:97], v[30:31] op_sel_hi:[1,0,1]
	s_waitcnt vmcnt(2)
	v_lshlrev_b32_e32 v56, 16, v84
	v_pk_fma_f32 v[10:11], v[10:11], v[98:99], v[32:33] op_sel_hi:[1,0,1]
	v_pk_fma_f32 v[2:3], v[2:3], v[98:99], v[30:31] op_sel_hi:[1,0,1]
	v_and_b32_e32 v50, 0xffff0000, v84
	v_pk_fma_f32 v[8:9], v[8:9], v[56:57], v[10:11] op_sel_hi:[1,0,1]
	v_pk_fma_f32 v[0:1], v[0:1], v[56:57], v[2:3] op_sel_hi:[1,0,1]
	v_lshlrev_b32_e32 v62, 16, v85
	v_pk_fma_f32 v[2:3], v[66:67], v[50:51], v[8:9] op_sel_hi:[1,0,1]
	v_pk_fma_f32 v[0:1], v[4:5], v[50:51], v[0:1] op_sel_hi:[1,0,1]
	v_and_b32_e32 v84, 0xffff0000, v85
	v_pk_fma_f32 v[2:3], v[68:69], v[62:63], v[2:3] op_sel_hi:[1,0,1]
	v_pk_fma_f32 v[0:1], v[74:75], v[62:63], v[0:1] op_sel_hi:[1,0,1]
	s_waitcnt vmcnt(1)
	v_lshlrev_b32_e32 v58, 16, v86
	v_pk_fma_f32 v[2:3], v[36:37], v[84:85], v[2:3] op_sel_hi:[1,0,1]
	v_pk_fma_f32 v[0:1], v[40:41], v[84:85], v[0:1] op_sel_hi:[1,0,1]
	;; [unrolled: 13-line block ×3, first 2 shown]
	v_and_b32_e32 v60, 0xffff0000, v88
	v_pk_fma_f32 v[2:3], v[80:81], v[54:55], v[2:3] op_sel_hi:[1,0,1]
	v_pk_fma_f32 v[0:1], v[92:93], v[54:55], v[0:1] op_sel_hi:[1,0,1]
	v_lshlrev_b32_e32 v88, 16, v89
	v_pk_fma_f32 v[2:3], v[42:43], v[60:61], v[2:3] op_sel_hi:[1,0,1]
	v_pk_fma_f32 v[0:1], v[46:47], v[60:61], v[0:1] op_sel_hi:[1,0,1]
	v_and_b32_e32 v96, 0xffff0000, v89
	v_pk_fma_f32 v[2:3], v[90:91], v[88:89], v[2:3] op_sel_hi:[1,0,1]
	v_pk_fma_f32 v[0:1], v[94:95], v[88:89], v[0:1] op_sel_hi:[1,0,1]
	;; [unrolled: 1-line block ×4, first 2 shown]
	s_andn2_b64 exec, exec, s[14:15]
	s_cbranch_execnz .LBB112_21
; %bb.22:
	s_or_b64 exec, exec, s[14:15]
.LBB112_23:
	s_or_b64 exec, exec, s[10:11]
.LBB112_24:
	s_or_b64 exec, exec, s[8:9]
	s_cbranch_execz .LBB112_26
	s_branch .LBB112_37
.LBB112_25:
                                        ; implicit-def: $vgpr31
                                        ; implicit-def: $vgpr33
.LBB112_26:
	s_mov_b32 s8, 0
	v_mov_b32_e32 v31, 0
	v_mov_b32_e32 v30, 0
	;; [unrolled: 1-line block ×4, first 2 shown]
	s_and_saveexec_b64 s[2:3], s[0:1]
	s_cbranch_execz .LBB112_36
; %bb.27:
	v_or_b32_e32 v0, 16, v22
	v_mov_b32_e32 v1, s17
	v_subrev_co_u32_e32 v0, vcc, s20, v0
	v_subb_co_u32_e32 v1, vcc, 0, v1, vcc
	v_add_co_u32_e32 v0, vcc, v0, v12
	v_addc_co_u32_e32 v1, vcc, v1, v13, vcc
	v_cmp_gt_i64_e32 vcc, v[0:1], v[26:27]
	v_cndmask_b32_e32 v1, v27, v1, vcc
	v_cndmask_b32_e32 v0, v26, v0, vcc
	v_mov_b32_e32 v4, s17
	v_sub_co_u32_e32 v5, vcc, s20, v22
	v_not_b32_e32 v3, v12
	v_subbrev_co_u32_e32 v4, vcc, 0, v4, vcc
	v_not_b32_e32 v2, v13
	v_add_co_u32_e32 v3, vcc, v5, v3
	v_addc_co_u32_e32 v2, vcc, v4, v2, vcc
	v_add_co_u32_e32 v0, vcc, v3, v0
	v_addc_co_u32_e32 v1, vcc, v2, v1, vcc
	v_lshrrev_b32_e32 v2, 4, v0
	v_add_u32_e32 v2, 1, v2
	v_and_b32_e32 v2, 3, v2
	s_mov_b32 s9, s8
	v_cmp_ne_u32_e32 vcc, 0, v2
	v_pk_mov_b32 v[32:33], s[8:9], s[8:9] op_sel:[0,1]
	v_pk_mov_b32 v[30:31], s[8:9], s[8:9] op_sel:[0,1]
	s_and_saveexec_b64 s[0:1], vcc
	s_cbranch_execz .LBB112_31
; %bb.28:
	v_lshlrev_b64 v[4:5], 2, v[24:25]
	v_mov_b32_e32 v3, 0
	v_mov_b32_e32 v6, s13
	v_add_co_u32_e32 v4, vcc, s12, v4
	v_addc_co_u32_e32 v5, vcc, v6, v5, vcc
	v_lshlrev_b32_e32 v2, 3, v2
	s_mov_b64 s[8:9], 0
	v_mov_b32_e32 v6, s7
	s_movk_i32 s10, 0x200
	v_mov_b32_e32 v30, v3
	v_mov_b32_e32 v31, v3
	;; [unrolled: 1-line block ×4, first 2 shown]
.LBB112_29:                             ; =>This Inner Loop Header: Depth=1
	global_load_dword v7, v[4:5], off
	global_load_dwordx4 v[8:11], v[28:29], off
	s_waitcnt vmcnt(1)
	v_subrev_u32_e32 v7, s20, v7
	v_lshlrev_b32_e32 v12, 2, v7
	v_ashrrev_i32_e32 v13, 31, v12
	v_lshlrev_b64 v[12:13], 1, v[12:13]
	v_add_co_u32_e32 v16, vcc, s6, v12
	v_addc_co_u32_e32 v17, vcc, v6, v13, vcc
	global_load_dwordx2 v[18:19], v[16:17], off
	global_load_dwordx4 v[12:15], v[28:29], off offset:16
	v_add_co_u32_e32 v28, vcc, s10, v28
	v_addc_co_u32_e32 v29, vcc, 0, v29, vcc
	v_add_co_u32_e32 v24, vcc, 16, v24
	v_addc_co_u32_e32 v25, vcc, 0, v25, vcc
	;; [unrolled: 2-line block ×3, first 2 shown]
	s_waitcnt vmcnt(2)
	v_and_b32_e32 v17, 0xffff0000, v8
	v_lshlrev_b32_e32 v16, 16, v8
	v_and_b32_e32 v35, 0xffff0000, v9
	v_lshlrev_b32_e32 v34, 16, v9
	;; [unrolled: 2-line block ×4, first 2 shown]
	v_add_co_u32_e32 v2, vcc, -8, v2
	v_addc_co_u32_e32 v3, vcc, -1, v3, vcc
	v_cmp_eq_u64_e32 vcc, 0, v[2:3]
	s_or_b64 s[8:9], vcc, s[8:9]
	s_waitcnt vmcnt(1)
	v_lshlrev_b32_e32 v42, 16, v19
	s_waitcnt vmcnt(0)
	v_and_b32_e32 v11, 0xffff0000, v12
	v_lshlrev_b32_e32 v10, 16, v12
	v_and_b32_e32 v39, 0xffff0000, v13
	v_lshlrev_b32_e32 v38, 16, v13
	;; [unrolled: 2-line block ×3, first 2 shown]
	v_lshlrev_b32_e32 v14, 16, v18
	v_and_b32_e32 v41, 0xffff0000, v15
	v_lshlrev_b32_e32 v40, 16, v15
	v_and_b32_e32 v18, 0xffff0000, v18
	v_pk_fma_f32 v[16:17], v[16:17], v[14:15], v[32:33] op_sel_hi:[1,0,1]
	v_pk_fma_f32 v[14:15], v[34:35], v[14:15], v[30:31] op_sel_hi:[1,0,1]
	;; [unrolled: 1-line block ×4, first 2 shown]
	v_and_b32_e32 v44, 0xffff0000, v19
	v_pk_fma_f32 v[8:9], v[10:11], v[42:43], v[8:9] op_sel_hi:[1,0,1]
	v_pk_fma_f32 v[10:11], v[38:39], v[42:43], v[14:15] op_sel_hi:[1,0,1]
	;; [unrolled: 1-line block ×4, first 2 shown]
	s_andn2_b64 exec, exec, s[8:9]
	s_cbranch_execnz .LBB112_29
; %bb.30:
	s_or_b64 exec, exec, s[8:9]
.LBB112_31:
	s_or_b64 exec, exec, s[0:1]
	v_cmp_lt_u64_e32 vcc, 47, v[0:1]
	s_and_saveexec_b64 s[8:9], vcc
	s_cbranch_execz .LBB112_35
; %bb.32:
	v_lshlrev_b64 v[0:1], 2, v[24:25]
	v_mov_b32_e32 v2, s13
	v_add_co_u32_e32 v0, vcc, s12, v0
	v_addc_co_u32_e32 v1, vcc, v1, v2, vcc
	v_add_co_u32_e32 v34, vcc, 0x80, v0
	v_addc_co_u32_e32 v35, vcc, 0, v1, vcc
	s_mov_b64 s[10:11], 0
	v_mov_b32_e32 v21, s7
	s_movk_i32 s7, 0x800
.LBB112_33:                             ; =>This Inner Loop Header: Depth=1
	global_load_dwordx4 v[4:7], v[28:29], off
	global_load_dwordx4 v[8:11], v[28:29], off offset:16
	global_load_dwordx4 v[0:3], v[28:29], off offset:512
	;; [unrolled: 1-line block ×4, first 2 shown]
	global_load_dword v23, v[34:35], off offset:-128
	global_load_dword v68, v[34:35], off offset:-64
	global_load_dword v69, v[34:35], off
	global_load_dword v70, v[34:35], off offset:64
	global_load_dwordx4 v[36:39], v[28:29], off offset:1040
	global_load_dwordx4 v[40:43], v[28:29], off offset:1536
	;; [unrolled: 1-line block ×3, first 2 shown]
	v_add_co_u32_e32 v28, vcc, s7, v28
	v_addc_co_u32_e32 v29, vcc, 0, v29, vcc
	v_add_co_u32_e32 v34, vcc, 0x100, v34
	v_addc_co_u32_e32 v35, vcc, 0, v35, vcc
	v_add_co_u32_e64 v24, s[0:1], 64, v24
	v_addc_co_u32_e64 v25, s[0:1], 0, v25, s[0:1]
	v_cmp_ge_i64_e64 s[0:1], v[24:25], v[26:27]
	s_or_b64 s[10:11], s[0:1], s[10:11]
	s_waitcnt vmcnt(11)
	v_and_b32_e32 v49, 0xffff0000, v4
	v_lshlrev_b32_e32 v48, 16, v4
	s_waitcnt vmcnt(9)
	v_and_b32_e32 v57, 0xffff0000, v0
	v_lshlrev_b32_e32 v56, 16, v0
	v_and_b32_e32 v51, 0xffff0000, v5
	s_waitcnt vmcnt(6)
	v_subrev_u32_e32 v0, s20, v23
	v_lshlrev_b32_e32 v50, 16, v5
	v_and_b32_e32 v5, 0xffff0000, v6
	v_lshlrev_b32_e32 v4, 16, v6
	v_and_b32_e32 v53, 0xffff0000, v7
	v_lshlrev_b32_e32 v52, 16, v7
	v_and_b32_e32 v7, 0xffff0000, v8
	v_lshlrev_b32_e32 v6, 16, v8
	v_and_b32_e32 v55, 0xffff0000, v9
	v_lshlrev_b32_e32 v54, 16, v9
	v_and_b32_e32 v9, 0xffff0000, v10
	v_lshlrev_b32_e32 v8, 16, v10
	v_and_b32_e32 v67, 0xffff0000, v11
	v_lshlrev_b32_e32 v66, 16, v11
	v_and_b32_e32 v11, 0xffff0000, v1
	v_lshlrev_b32_e32 v10, 16, v1
	s_waitcnt vmcnt(5)
	v_subrev_u32_e32 v1, s20, v68
	v_lshlrev_b32_e32 v0, 2, v0
	v_lshlrev_b32_e32 v68, 2, v1
	v_ashrrev_i32_e32 v1, 31, v0
	v_lshlrev_b64 v[0:1], 1, v[0:1]
	v_and_b32_e32 v59, 0xffff0000, v2
	v_lshlrev_b32_e32 v58, 16, v2
	s_waitcnt vmcnt(4)
	v_subrev_u32_e32 v2, s20, v69
	v_ashrrev_i32_e32 v69, 31, v68
	v_add_co_u32_e32 v0, vcc, s6, v0
	v_and_b32_e32 v61, 0xffff0000, v12
	v_lshlrev_b32_e32 v60, 16, v12
	s_waitcnt vmcnt(3)
	v_subrev_u32_e32 v12, s20, v70
	v_lshlrev_b32_e32 v70, 2, v2
	v_lshlrev_b64 v[68:69], 1, v[68:69]
	v_addc_co_u32_e32 v1, vcc, v21, v1, vcc
	v_ashrrev_i32_e32 v71, 31, v70
	v_add_co_u32_e32 v68, vcc, s6, v68
	v_lshlrev_b32_e32 v72, 2, v12
	v_lshlrev_b64 v[70:71], 1, v[70:71]
	v_addc_co_u32_e32 v69, vcc, v21, v69, vcc
	v_ashrrev_i32_e32 v73, 31, v72
	v_add_co_u32_e32 v70, vcc, s6, v70
	v_lshlrev_b64 v[72:73], 1, v[72:73]
	v_addc_co_u32_e32 v71, vcc, v21, v71, vcc
	v_add_co_u32_e32 v72, vcc, s6, v72
	v_addc_co_u32_e32 v73, vcc, v21, v73, vcc
	global_load_dwordx2 v[74:75], v[0:1], off
	global_load_dwordx2 v[76:77], v[68:69], off
	global_load_dwordx2 v[78:79], v[70:71], off
	global_load_dwordx2 v[80:81], v[72:73], off
	s_waitcnt vmcnt(4)
	v_and_b32_e32 v87, 0xffff0000, v46
	v_lshlrev_b32_e32 v86, 16, v46
	v_and_b32_e32 v1, 0xffff0000, v3
	v_lshlrev_b32_e32 v0, 16, v3
	;; [unrolled: 2-line block ×20, first 2 shown]
	s_waitcnt vmcnt(3)
	v_lshlrev_b32_e32 v46, 16, v74
	v_and_b32_e32 v74, 0xffff0000, v74
	v_pk_fma_f32 v[32:33], v[48:49], v[46:47], v[32:33] op_sel_hi:[1,0,1]
	v_pk_fma_f32 v[30:31], v[50:51], v[46:47], v[30:31] op_sel_hi:[1,0,1]
	v_lshlrev_b32_e32 v90, 16, v75
	v_pk_fma_f32 v[4:5], v[4:5], v[74:75], v[32:33] op_sel_hi:[1,0,1]
	v_pk_fma_f32 v[30:31], v[52:53], v[74:75], v[30:31] op_sel_hi:[1,0,1]
	v_and_b32_e32 v92, 0xffff0000, v75
	v_pk_fma_f32 v[4:5], v[6:7], v[90:91], v[4:5] op_sel_hi:[1,0,1]
	v_pk_fma_f32 v[30:31], v[54:55], v[90:91], v[30:31] op_sel_hi:[1,0,1]
	s_waitcnt vmcnt(2)
	v_lshlrev_b32_e32 v48, 16, v76
	v_pk_fma_f32 v[4:5], v[8:9], v[92:93], v[4:5] op_sel_hi:[1,0,1]
	v_pk_fma_f32 v[8:9], v[66:67], v[92:93], v[30:31] op_sel_hi:[1,0,1]
	v_and_b32_e32 v46, 0xffff0000, v76
	v_pk_fma_f32 v[4:5], v[56:57], v[48:49], v[4:5] op_sel_hi:[1,0,1]
	v_pk_fma_f32 v[8:9], v[10:11], v[48:49], v[8:9] op_sel_hi:[1,0,1]
	v_lshlrev_b32_e32 v50, 16, v77
	v_pk_fma_f32 v[4:5], v[58:59], v[46:47], v[4:5] op_sel_hi:[1,0,1]
	v_pk_fma_f32 v[0:1], v[0:1], v[46:47], v[8:9] op_sel_hi:[1,0,1]
	v_and_b32_e32 v76, 0xffff0000, v77
	v_pk_fma_f32 v[4:5], v[60:61], v[50:51], v[4:5] op_sel_hi:[1,0,1]
	v_pk_fma_f32 v[0:1], v[2:3], v[50:51], v[0:1] op_sel_hi:[1,0,1]
	s_waitcnt vmcnt(1)
	v_lshlrev_b32_e32 v32, 16, v78
	v_pk_fma_f32 v[2:3], v[62:63], v[76:77], v[4:5] op_sel_hi:[1,0,1]
	v_pk_fma_f32 v[0:1], v[12:13], v[76:77], v[0:1] op_sel_hi:[1,0,1]
	;; [unrolled: 13-line block ×3, first 2 shown]
	v_and_b32_e32 v54, 0xffff0000, v80
	v_pk_fma_f32 v[2:3], v[38:39], v[6:7], v[2:3] op_sel_hi:[1,0,1]
	v_pk_fma_f32 v[0:1], v[82:83], v[6:7], v[0:1] op_sel_hi:[1,0,1]
	v_lshlrev_b32_e32 v80, 16, v81
	v_pk_fma_f32 v[2:3], v[40:41], v[54:55], v[2:3] op_sel_hi:[1,0,1]
	v_pk_fma_f32 v[0:1], v[84:85], v[54:55], v[0:1] op_sel_hi:[1,0,1]
	v_and_b32_e32 v90, 0xffff0000, v81
	v_pk_fma_f32 v[2:3], v[42:43], v[80:81], v[2:3] op_sel_hi:[1,0,1]
	v_pk_fma_f32 v[0:1], v[88:89], v[80:81], v[0:1] op_sel_hi:[1,0,1]
	;; [unrolled: 1-line block ×4, first 2 shown]
	s_andn2_b64 exec, exec, s[10:11]
	s_cbranch_execnz .LBB112_33
; %bb.34:
	s_or_b64 exec, exec, s[10:11]
.LBB112_35:
	s_or_b64 exec, exec, s[8:9]
.LBB112_36:
	s_or_b64 exec, exec, s[2:3]
.LBB112_37:
	v_mov_b32_dpp v0, v32 row_shr:1 row_mask:0xf bank_mask:0xf
	v_mov_b32_dpp v1, v33 row_shr:1 row_mask:0xf bank_mask:0xf
	;; [unrolled: 1-line block ×4, first 2 shown]
	v_pk_add_f32 v[0:1], v[32:33], v[0:1]
	v_pk_add_f32 v[4:5], v[30:31], v[4:5]
	v_cmp_eq_u32_e32 vcc, 15, v22
	v_mov_b32_dpp v2, v0 row_shr:2 row_mask:0xf bank_mask:0xf
	v_mov_b32_dpp v3, v1 row_shr:2 row_mask:0xf bank_mask:0xf
	;; [unrolled: 1-line block ×4, first 2 shown]
	v_pk_add_f32 v[0:1], v[0:1], v[2:3]
	v_pk_add_f32 v[4:5], v[4:5], v[6:7]
	s_nop 0
	v_mov_b32_dpp v2, v0 row_shr:4 row_mask:0xf bank_mask:0xe
	v_mov_b32_dpp v3, v1 row_shr:4 row_mask:0xf bank_mask:0xe
	;; [unrolled: 1-line block ×4, first 2 shown]
	v_pk_add_f32 v[0:1], v[0:1], v[2:3]
	v_pk_add_f32 v[4:5], v[4:5], v[6:7]
	s_nop 0
	v_mov_b32_dpp v2, v0 row_shr:8 row_mask:0xf bank_mask:0xc
	v_mov_b32_dpp v3, v1 row_shr:8 row_mask:0xf bank_mask:0xc
	;; [unrolled: 1-line block ×4, first 2 shown]
	s_and_b64 exec, exec, vcc
	s_cbranch_execz .LBB112_10
; %bb.38:
	s_load_dwordx2 s[0:1], s[4:5], 0x50
	v_cmp_eq_f32_e64 s[2:3], s18, 0
	v_pk_add_f32 v[2:3], v[0:1], v[2:3]
	v_pk_add_f32 v[0:1], v[4:5], v[6:7]
	s_and_b64 vcc, exec, s[2:3]
	v_lshlrev_b32_e32 v4, 2, v20
	s_cbranch_vccz .LBB112_40
; %bb.39:
	v_ashrrev_i32_e32 v5, 31, v4
	v_lshlrev_b64 v[6:7], 2, v[4:5]
	s_waitcnt lgkmcnt(0)
	v_mov_b32_e32 v5, s1
	v_add_co_u32_e32 v10, vcc, s0, v6
	v_addc_co_u32_e32 v11, vcc, v5, v7, vcc
	v_pk_mul_f32 v[6:7], s[16:17], v[2:3] op_sel_hi:[0,1]
	v_pk_mul_f32 v[8:9], s[16:17], v[0:1] op_sel_hi:[0,1]
	global_store_dwordx4 v[10:11], v[6:9], off
	s_cbranch_execnz .LBB112_10
	s_branch .LBB112_41
.LBB112_40:
.LBB112_41:
	v_ashrrev_i32_e32 v5, 31, v4
	v_lshlrev_b64 v[4:5], 2, v[4:5]
	s_waitcnt lgkmcnt(0)
	v_mov_b32_e32 v6, s1
	v_add_co_u32_e32 v8, vcc, s0, v4
	v_addc_co_u32_e32 v9, vcc, v6, v5, vcc
	global_load_dwordx4 v[4:7], v[8:9], off
	v_pk_mul_f32 v[2:3], s[16:17], v[2:3] op_sel_hi:[0,1]
	v_pk_mul_f32 v[10:11], s[16:17], v[0:1] op_sel_hi:[0,1]
	s_waitcnt vmcnt(0)
	v_pk_fma_f32 v[0:1], s[18:19], v[4:5], v[2:3] op_sel_hi:[0,1,1]
	v_pk_fma_f32 v[2:3], s[18:19], v[6:7], v[10:11] op_sel_hi:[0,1,1]
	global_store_dwordx4 v[8:9], v[0:3], off
	s_endpgm
	.section	.rodata,"a",@progbits
	.p2align	6, 0x0
	.amdhsa_kernel _ZN9rocsparseL18bsrxmvn_4x4_kernelILj128ELj16Efli18rocsparse_bfloat16S1_fEEvT3_20rocsparse_direction_NS_24const_host_device_scalarIT1_EES2_PKS2_PKT2_SB_S8_PKT4_PKT5_S6_PT6_21rocsparse_index_base_b
		.amdhsa_group_segment_fixed_size 0
		.amdhsa_private_segment_fixed_size 0
		.amdhsa_kernarg_size 96
		.amdhsa_user_sgpr_count 6
		.amdhsa_user_sgpr_private_segment_buffer 1
		.amdhsa_user_sgpr_dispatch_ptr 0
		.amdhsa_user_sgpr_queue_ptr 0
		.amdhsa_user_sgpr_kernarg_segment_ptr 1
		.amdhsa_user_sgpr_dispatch_id 0
		.amdhsa_user_sgpr_flat_scratch_init 0
		.amdhsa_user_sgpr_kernarg_preload_length 0
		.amdhsa_user_sgpr_kernarg_preload_offset 0
		.amdhsa_user_sgpr_private_segment_size 0
		.amdhsa_uses_dynamic_stack 0
		.amdhsa_system_sgpr_private_segment_wavefront_offset 0
		.amdhsa_system_sgpr_workgroup_id_x 1
		.amdhsa_system_sgpr_workgroup_id_y 0
		.amdhsa_system_sgpr_workgroup_id_z 0
		.amdhsa_system_sgpr_workgroup_info 0
		.amdhsa_system_vgpr_workitem_id 0
		.amdhsa_next_free_vgpr 100
		.amdhsa_next_free_sgpr 22
		.amdhsa_accum_offset 100
		.amdhsa_reserve_vcc 1
		.amdhsa_reserve_flat_scratch 0
		.amdhsa_float_round_mode_32 0
		.amdhsa_float_round_mode_16_64 0
		.amdhsa_float_denorm_mode_32 3
		.amdhsa_float_denorm_mode_16_64 3
		.amdhsa_dx10_clamp 1
		.amdhsa_ieee_mode 1
		.amdhsa_fp16_overflow 0
		.amdhsa_tg_split 0
		.amdhsa_exception_fp_ieee_invalid_op 0
		.amdhsa_exception_fp_denorm_src 0
		.amdhsa_exception_fp_ieee_div_zero 0
		.amdhsa_exception_fp_ieee_overflow 0
		.amdhsa_exception_fp_ieee_underflow 0
		.amdhsa_exception_fp_ieee_inexact 0
		.amdhsa_exception_int_div_zero 0
	.end_amdhsa_kernel
	.section	.text._ZN9rocsparseL18bsrxmvn_4x4_kernelILj128ELj16Efli18rocsparse_bfloat16S1_fEEvT3_20rocsparse_direction_NS_24const_host_device_scalarIT1_EES2_PKS2_PKT2_SB_S8_PKT4_PKT5_S6_PT6_21rocsparse_index_base_b,"axG",@progbits,_ZN9rocsparseL18bsrxmvn_4x4_kernelILj128ELj16Efli18rocsparse_bfloat16S1_fEEvT3_20rocsparse_direction_NS_24const_host_device_scalarIT1_EES2_PKS2_PKT2_SB_S8_PKT4_PKT5_S6_PT6_21rocsparse_index_base_b,comdat
.Lfunc_end112:
	.size	_ZN9rocsparseL18bsrxmvn_4x4_kernelILj128ELj16Efli18rocsparse_bfloat16S1_fEEvT3_20rocsparse_direction_NS_24const_host_device_scalarIT1_EES2_PKS2_PKT2_SB_S8_PKT4_PKT5_S6_PT6_21rocsparse_index_base_b, .Lfunc_end112-_ZN9rocsparseL18bsrxmvn_4x4_kernelILj128ELj16Efli18rocsparse_bfloat16S1_fEEvT3_20rocsparse_direction_NS_24const_host_device_scalarIT1_EES2_PKS2_PKT2_SB_S8_PKT4_PKT5_S6_PT6_21rocsparse_index_base_b
                                        ; -- End function
	.section	.AMDGPU.csdata,"",@progbits
; Kernel info:
; codeLenInByte = 4204
; NumSgprs: 26
; NumVgprs: 100
; NumAgprs: 0
; TotalNumVgprs: 100
; ScratchSize: 0
; MemoryBound: 0
; FloatMode: 240
; IeeeMode: 1
; LDSByteSize: 0 bytes/workgroup (compile time only)
; SGPRBlocks: 3
; VGPRBlocks: 12
; NumSGPRsForWavesPerEU: 26
; NumVGPRsForWavesPerEU: 100
; AccumOffset: 100
; Occupancy: 4
; WaveLimiterHint : 1
; COMPUTE_PGM_RSRC2:SCRATCH_EN: 0
; COMPUTE_PGM_RSRC2:USER_SGPR: 6
; COMPUTE_PGM_RSRC2:TRAP_HANDLER: 0
; COMPUTE_PGM_RSRC2:TGID_X_EN: 1
; COMPUTE_PGM_RSRC2:TGID_Y_EN: 0
; COMPUTE_PGM_RSRC2:TGID_Z_EN: 0
; COMPUTE_PGM_RSRC2:TIDIG_COMP_CNT: 0
; COMPUTE_PGM_RSRC3_GFX90A:ACCUM_OFFSET: 24
; COMPUTE_PGM_RSRC3_GFX90A:TG_SPLIT: 0
	.section	.text._ZN9rocsparseL18bsrxmvn_4x4_kernelILj128ELj32Efli18rocsparse_bfloat16S1_fEEvT3_20rocsparse_direction_NS_24const_host_device_scalarIT1_EES2_PKS2_PKT2_SB_S8_PKT4_PKT5_S6_PT6_21rocsparse_index_base_b,"axG",@progbits,_ZN9rocsparseL18bsrxmvn_4x4_kernelILj128ELj32Efli18rocsparse_bfloat16S1_fEEvT3_20rocsparse_direction_NS_24const_host_device_scalarIT1_EES2_PKS2_PKT2_SB_S8_PKT4_PKT5_S6_PT6_21rocsparse_index_base_b,comdat
	.globl	_ZN9rocsparseL18bsrxmvn_4x4_kernelILj128ELj32Efli18rocsparse_bfloat16S1_fEEvT3_20rocsparse_direction_NS_24const_host_device_scalarIT1_EES2_PKS2_PKT2_SB_S8_PKT4_PKT5_S6_PT6_21rocsparse_index_base_b ; -- Begin function _ZN9rocsparseL18bsrxmvn_4x4_kernelILj128ELj32Efli18rocsparse_bfloat16S1_fEEvT3_20rocsparse_direction_NS_24const_host_device_scalarIT1_EES2_PKS2_PKT2_SB_S8_PKT4_PKT5_S6_PT6_21rocsparse_index_base_b
	.p2align	8
	.type	_ZN9rocsparseL18bsrxmvn_4x4_kernelILj128ELj32Efli18rocsparse_bfloat16S1_fEEvT3_20rocsparse_direction_NS_24const_host_device_scalarIT1_EES2_PKS2_PKT2_SB_S8_PKT4_PKT5_S6_PT6_21rocsparse_index_base_b,@function
_ZN9rocsparseL18bsrxmvn_4x4_kernelILj128ELj32Efli18rocsparse_bfloat16S1_fEEvT3_20rocsparse_direction_NS_24const_host_device_scalarIT1_EES2_PKS2_PKT2_SB_S8_PKT4_PKT5_S6_PT6_21rocsparse_index_base_b: ; @_ZN9rocsparseL18bsrxmvn_4x4_kernelILj128ELj32Efli18rocsparse_bfloat16S1_fEEvT3_20rocsparse_direction_NS_24const_host_device_scalarIT1_EES2_PKS2_PKT2_SB_S8_PKT4_PKT5_S6_PT6_21rocsparse_index_base_b
; %bb.0:
	s_load_dwordx2 s[20:21], s[4:5], 0x58
	s_load_dwordx2 s[16:17], s[4:5], 0x8
	;; [unrolled: 1-line block ×3, first 2 shown]
	s_waitcnt lgkmcnt(0)
	s_bitcmp1_b32 s21, 0
	s_cselect_b64 s[2:3], -1, 0
	s_xor_b64 s[0:1], s[2:3], -1
	s_and_b64 vcc, exec, s[2:3]
	s_cbranch_vccnz .LBB113_2
; %bb.1:
	s_load_dword s16, s[16:17], 0x0
.LBB113_2:
	s_andn2_b64 vcc, exec, s[0:1]
	s_cbranch_vccnz .LBB113_4
; %bb.3:
	s_load_dword s18, s[18:19], 0x0
.LBB113_4:
	s_waitcnt lgkmcnt(0)
	v_cmp_neq_f32_e64 s[0:1], s16, 0
	v_cmp_neq_f32_e64 s[2:3], s18, 1.0
	s_or_b64 s[0:1], s[0:1], s[2:3]
	s_andn2_b64 vcc, exec, s[0:1]
	s_cbranch_vccnz .LBB113_10
; %bb.5:
	s_load_dwordx2 s[8:9], s[4:5], 0x18
	s_load_dwordx2 s[0:1], s[4:5], 0x0
	v_lshrrev_b32_e32 v1, 5, v0
	v_lshl_or_b32 v24, s6, 2, v1
	s_mov_b64 s[2:3], 0
	s_waitcnt lgkmcnt(0)
	s_cmp_lg_u64 s[8:9], 0
	s_cbranch_scc0 .LBB113_11
; %bb.6:
	s_load_dword s6, s[4:5], 0x10
                                        ; implicit-def: $vgpr1
	s_waitcnt lgkmcnt(0)
	v_cmp_gt_i32_e32 vcc, s6, v24
	s_and_saveexec_b64 s[6:7], vcc
	s_xor_b64 s[6:7], exec, s[6:7]
	s_cbranch_execz .LBB113_8
; %bb.7:
	v_ashrrev_i32_e32 v25, 31, v24
	v_lshlrev_b64 v[2:3], 2, v[24:25]
	v_mov_b32_e32 v1, s9
	v_add_co_u32_e32 v2, vcc, s8, v2
	v_addc_co_u32_e32 v3, vcc, v1, v3, vcc
	global_load_dword v1, v[2:3], off
	s_mov_b64 s[2:3], exec
	s_waitcnt vmcnt(0)
	v_subrev_u32_e32 v1, s20, v1
.LBB113_8:
	s_or_b64 exec, exec, s[6:7]
	s_branch .LBB113_12
.LBB113_9:
	v_cmp_gt_i32_e32 vcc, s0, v24
	s_andn2_b64 s[2:3], s[2:3], exec
	s_and_b64 s[6:7], vcc, exec
	s_or_b64 s[2:3], s[2:3], s[6:7]
	s_and_saveexec_b64 s[6:7], s[2:3]
	s_cbranch_execnz .LBB113_13
.LBB113_10:
	s_endpgm
.LBB113_11:
                                        ; implicit-def: $vgpr1
	s_cbranch_execnz .LBB113_9
.LBB113_12:
	v_mov_b32_e32 v24, v1
	s_and_saveexec_b64 s[6:7], s[2:3]
	s_cbranch_execz .LBB113_10
.LBB113_13:
	s_load_dwordx8 s[8:15], s[4:5], 0x20
	v_ashrrev_i32_e32 v25, 31, v24
	v_lshlrev_b64 v[2:3], 3, v[24:25]
	v_and_b32_e32 v26, 31, v0
	s_load_dwordx2 s[6:7], s[4:5], 0x40
	s_waitcnt lgkmcnt(0)
	v_mov_b32_e32 v1, s9
	v_add_co_u32_e32 v4, vcc, s8, v2
	v_addc_co_u32_e32 v5, vcc, v1, v3, vcc
	v_add_co_u32_e32 v1, vcc, 8, v4
	global_load_dwordx2 v[38:39], v[4:5], off
	v_addc_co_u32_e32 v4, vcc, 0, v5, vcc
	v_mov_b32_e32 v5, s11
	v_add_co_u32_e32 v2, vcc, s10, v2
	s_cmp_eq_u64 s[10:11], 0
	v_addc_co_u32_e32 v3, vcc, v5, v3, vcc
	s_cselect_b64 vcc, -1, 0
	v_cndmask_b32_e32 v3, v3, v4, vcc
	v_cndmask_b32_e32 v2, v2, v1, vcc
	global_load_dwordx2 v[2:3], v[2:3], off
	v_mov_b32_e32 v4, s15
	s_mov_b32 s17, 0
	v_mov_b32_e32 v35, 0
	s_cmp_eq_u32 s1, 1
	s_waitcnt vmcnt(1)
	v_subrev_co_u32_e32 v0, vcc, s20, v38
	v_subbrev_co_u32_e32 v1, vcc, 0, v39, vcc
	v_add_co_u32_e32 v28, vcc, v0, v26
	v_addc_co_u32_e32 v29, vcc, 0, v1, vcc
	v_lshlrev_b64 v[0:1], 5, v[28:29]
	s_waitcnt vmcnt(0)
	v_subrev_co_u32_e32 v30, vcc, s20, v2
	v_subbrev_co_u32_e32 v31, vcc, 0, v3, vcc
	v_add_co_u32_e32 v32, vcc, s14, v0
	v_addc_co_u32_e32 v33, vcc, v4, v1, vcc
	v_cmp_lt_i64_e64 s[0:1], v[28:29], v[30:31]
	s_cbranch_scc1 .LBB113_25
; %bb.14:
	v_mov_b32_e32 v34, 0
	v_mov_b32_e32 v37, 0
	;; [unrolled: 1-line block ×3, first 2 shown]
	s_and_saveexec_b64 s[8:9], s[0:1]
	s_cbranch_execz .LBB113_24
; %bb.15:
	v_or_b32_e32 v0, 32, v26
	v_mov_b32_e32 v1, s17
	v_subrev_co_u32_e32 v0, vcc, s20, v0
	v_subb_co_u32_e32 v1, vcc, 0, v1, vcc
	v_add_co_u32_e32 v0, vcc, v0, v38
	v_addc_co_u32_e32 v1, vcc, v1, v39, vcc
	v_cmp_gt_i64_e32 vcc, v[0:1], v[30:31]
	v_cndmask_b32_e32 v1, v31, v1, vcc
	v_cndmask_b32_e32 v0, v30, v0, vcc
	v_mov_b32_e32 v4, s17
	v_sub_co_u32_e32 v5, vcc, s20, v26
	v_not_b32_e32 v3, v38
	v_subbrev_co_u32_e32 v4, vcc, 0, v4, vcc
	v_not_b32_e32 v2, v39
	v_add_co_u32_e32 v3, vcc, v5, v3
	v_addc_co_u32_e32 v2, vcc, v4, v2, vcc
	v_add_co_u32_e32 v0, vcc, v3, v0
	v_addc_co_u32_e32 v1, vcc, v2, v1, vcc
	v_lshrrev_b32_e32 v2, 5, v0
	v_add_u32_e32 v2, 1, v2
	v_and_b32_e32 v2, 3, v2
	s_mov_b32 s2, s17
	s_mov_b32 s3, s17
	v_cmp_ne_u32_e32 vcc, 0, v2
	v_pk_mov_b32 v[36:37], s[2:3], s[2:3] op_sel:[0,1]
	v_pk_mov_b32 v[34:35], s[2:3], s[2:3] op_sel:[0,1]
	;; [unrolled: 1-line block ×4, first 2 shown]
	s_and_saveexec_b64 s[10:11], vcc
	s_cbranch_execz .LBB113_19
; %bb.16:
	v_lshlrev_b64 v[4:5], 2, v[28:29]
	v_mov_b32_e32 v3, 0
	v_mov_b32_e32 v6, s13
	v_add_co_u32_e32 v4, vcc, s12, v4
	v_addc_co_u32_e32 v5, vcc, v6, v5, vcc
	v_lshlrev_b32_e32 v2, 3, v2
	s_mov_b64 s[14:15], 0
	v_mov_b32_e32 v6, s7
	s_movk_i32 s19, 0x400
	v_pk_mov_b32 v[42:43], v[32:33], v[32:33] op_sel:[0,1]
	v_pk_mov_b32 v[40:41], v[28:29], v[28:29] op_sel:[0,1]
	v_mov_b32_e32 v34, v3
	v_mov_b32_e32 v35, v3
	;; [unrolled: 1-line block ×4, first 2 shown]
.LBB113_17:                             ; =>This Inner Loop Header: Depth=1
	global_load_dword v7, v[4:5], off
	global_load_dwordx4 v[8:11], v[42:43], off
	global_load_dwordx4 v[12:15], v[42:43], off offset:16
	v_add_co_u32_e64 v40, s[2:3], 32, v40
	v_addc_co_u32_e64 v41, s[2:3], 0, v41, s[2:3]
	v_add_co_u32_e64 v2, s[2:3], -8, v2
	v_addc_co_u32_e64 v3, s[2:3], -1, v3, s[2:3]
	v_cmp_eq_u64_e64 s[2:3], 0, v[2:3]
	s_or_b64 s[14:15], s[2:3], s[14:15]
	s_waitcnt vmcnt(2)
	v_subrev_u32_e32 v7, s20, v7
	v_lshlrev_b32_e32 v16, 2, v7
	v_ashrrev_i32_e32 v17, 31, v16
	v_lshlrev_b64 v[16:17], 1, v[16:17]
	v_add_co_u32_e32 v16, vcc, s6, v16
	v_addc_co_u32_e32 v17, vcc, v6, v17, vcc
	global_load_dwordx2 v[16:17], v[16:17], off
	s_waitcnt vmcnt(2)
	v_lshlrev_b32_e32 v21, 16, v10
	v_lshlrev_b32_e32 v20, 16, v8
	v_and_b32_e32 v23, 0xffff0000, v10
	v_lshlrev_b32_e32 v45, 16, v11
	v_and_b32_e32 v19, 0xffff0000, v11
	s_waitcnt vmcnt(1)
	v_lshlrev_b32_e32 v11, 16, v14
	v_lshlrev_b32_e32 v10, 16, v12
	v_and_b32_e32 v46, 0xffff0000, v12
	v_add_co_u32_e32 v42, vcc, s19, v42
	v_and_b32_e32 v22, 0xffff0000, v8
	v_and_b32_e32 v47, 0xffff0000, v14
	v_addc_co_u32_e32 v43, vcc, 0, v43, vcc
	v_lshlrev_b32_e32 v44, 16, v9
	v_and_b32_e32 v8, 0xffff0000, v13
	v_lshlrev_b32_e32 v49, 16, v15
	v_lshlrev_b32_e32 v48, 16, v13
	v_add_co_u32_e32 v4, vcc, 0x80, v4
	v_and_b32_e32 v18, 0xffff0000, v9
	v_and_b32_e32 v9, 0xffff0000, v15
	v_addc_co_u32_e32 v5, vcc, 0, v5, vcc
	s_waitcnt vmcnt(0)
	v_lshlrev_b32_e32 v12, 16, v16
	v_and_b32_e32 v14, 0xffff0000, v16
	v_pk_fma_f32 v[20:21], v[20:21], v[12:13], v[36:37] op_sel_hi:[1,0,1]
	v_pk_fma_f32 v[10:11], v[10:11], v[12:13], v[34:35] op_sel_hi:[1,0,1]
	v_lshlrev_b32_e32 v16, 16, v17
	v_pk_fma_f32 v[12:13], v[22:23], v[14:15], v[20:21] op_sel_hi:[1,0,1]
	v_pk_fma_f32 v[10:11], v[46:47], v[14:15], v[10:11] op_sel_hi:[1,0,1]
	v_and_b32_e32 v50, 0xffff0000, v17
	v_pk_fma_f32 v[12:13], v[44:45], v[16:17], v[12:13] op_sel_hi:[1,0,1]
	v_pk_fma_f32 v[10:11], v[48:49], v[16:17], v[10:11] op_sel_hi:[1,0,1]
	;; [unrolled: 1-line block ×4, first 2 shown]
	s_andn2_b64 exec, exec, s[14:15]
	s_cbranch_execnz .LBB113_17
; %bb.18:
	s_or_b64 exec, exec, s[14:15]
.LBB113_19:
	s_or_b64 exec, exec, s[10:11]
	s_mov_b64 s[2:3], 0x5f
	v_cmp_lt_u64_e32 vcc, s[2:3], v[0:1]
	s_and_saveexec_b64 s[2:3], vcc
	s_cbranch_execz .LBB113_23
; %bb.20:
	v_lshlrev_b64 v[0:1], 2, v[40:41]
	v_mov_b32_e32 v2, s13
	v_add_co_u32_e32 v0, vcc, s12, v0
	v_addc_co_u32_e32 v1, vcc, v1, v2, vcc
	v_add_co_u32_e32 v44, vcc, 0x100, v0
	v_addc_co_u32_e32 v45, vcc, 0, v1, vcc
	s_mov_b64 s[10:11], 0
	v_mov_b32_e32 v25, s7
	s_movk_i32 s14, 0x1000
.LBB113_21:                             ; =>This Inner Loop Header: Depth=1
	global_load_dword v27, v[44:45], off offset:-256
	global_load_dwordx4 v[8:11], v[42:43], off
	global_load_dwordx4 v[20:23], v[42:43], off offset:16
	global_load_dword v66, v[44:45], off offset:-128
	global_load_dword v67, v[44:45], off
	global_load_dword v68, v[44:45], off offset:128
	global_load_dwordx4 v[12:15], v[42:43], off offset:3072
	global_load_dwordx4 v[46:49], v[42:43], off offset:1024
	global_load_dwordx4 v[16:19], v[42:43], off offset:2048
	global_load_dwordx4 v[4:7], v[42:43], off offset:1040
	global_load_dwordx4 v[0:3], v[42:43], off offset:2064
	global_load_dwordx4 v[50:53], v[42:43], off offset:3088
	v_add_co_u32_e32 v42, vcc, s14, v42
	v_addc_co_u32_e32 v43, vcc, 0, v43, vcc
	v_add_co_u32_e32 v40, vcc, 0x80, v40
	v_addc_co_u32_e32 v41, vcc, 0, v41, vcc
	;; [unrolled: 2-line block ×3, first 2 shown]
	v_cmp_ge_i64_e32 vcc, v[40:41], v[30:31]
	s_or_b64 s[10:11], vcc, s[10:11]
	s_waitcnt vmcnt(11)
	v_subrev_u32_e32 v27, s20, v27
	v_lshlrev_b32_e32 v72, 2, v27
	s_waitcnt vmcnt(10)
	v_lshlrev_b32_e32 v56, 16, v8
	v_and_b32_e32 v58, 0xffff0000, v8
	s_waitcnt vmcnt(9)
	v_and_b32_e32 v8, 0xffff0000, v21
	s_waitcnt vmcnt(6)
	v_subrev_u32_e32 v73, s20, v68
	v_lshlrev_b32_e32 v64, 16, v21
	v_subrev_u32_e32 v21, s20, v66
	v_lshlrev_b32_e32 v78, 2, v73
	v_ashrrev_i32_e32 v73, 31, v72
	v_lshlrev_b32_e32 v74, 2, v21
	v_lshlrev_b64 v[72:73], 1, v[72:73]
	v_subrev_u32_e32 v70, s20, v67
	v_ashrrev_i32_e32 v75, 31, v74
	v_add_co_u32_e32 v72, vcc, s6, v72
	v_lshlrev_b32_e32 v76, 2, v70
	v_lshlrev_b64 v[74:75], 1, v[74:75]
	v_addc_co_u32_e32 v73, vcc, v25, v73, vcc
	v_ashrrev_i32_e32 v77, 31, v76
	v_add_co_u32_e32 v74, vcc, s6, v74
	v_lshlrev_b64 v[76:77], 1, v[76:77]
	v_addc_co_u32_e32 v75, vcc, v25, v75, vcc
	v_ashrrev_i32_e32 v79, 31, v78
	v_add_co_u32_e32 v76, vcc, s6, v76
	v_lshlrev_b64 v[78:79], 1, v[78:79]
	v_addc_co_u32_e32 v77, vcc, v25, v77, vcc
	v_add_co_u32_e32 v78, vcc, s6, v78
	v_addc_co_u32_e32 v79, vcc, v25, v79, vcc
	global_load_dwordx2 v[80:81], v[72:73], off
	global_load_dwordx2 v[82:83], v[74:75], off
	;; [unrolled: 1-line block ×4, first 2 shown]
	v_lshlrev_b32_e32 v57, 16, v10
	v_and_b32_e32 v59, 0xffff0000, v10
	v_lshlrev_b32_e32 v61, 16, v11
	v_and_b32_e32 v55, 0xffff0000, v11
	v_lshlrev_b32_e32 v11, 16, v22
	v_lshlrev_b32_e32 v10, 16, v20
	s_waitcnt vmcnt(6)
	v_lshlrev_b32_e32 v76, 16, v4
	v_and_b32_e32 v78, 0xffff0000, v4
	s_waitcnt vmcnt(5)
	v_lshlrev_b32_e32 v4, 16, v0
	v_and_b32_e32 v90, 0xffff0000, v0
	;; [unrolled: 3-line block ×3, first 2 shown]
	v_and_b32_e32 v63, 0xffff0000, v22
	v_and_b32_e32 v62, 0xffff0000, v20
	v_lshlrev_b32_e32 v60, 16, v9
	v_lshlrev_b32_e32 v65, 16, v23
	v_and_b32_e32 v54, 0xffff0000, v9
	v_and_b32_e32 v9, 0xffff0000, v23
	v_lshlrev_b32_e32 v23, 16, v48
	v_lshlrev_b32_e32 v22, 16, v46
	;; [unrolled: 1-line block ×3, first 2 shown]
	v_and_b32_e32 v67, 0xffff0000, v48
	v_and_b32_e32 v66, 0xffff0000, v46
	;; [unrolled: 1-line block ×3, first 2 shown]
	v_lshlrev_b32_e32 v69, 16, v49
	v_lshlrev_b32_e32 v68, 16, v47
	v_lshlrev_b32_e32 v89, 16, v7
	v_lshlrev_b32_e32 v88, 16, v5
	v_and_b32_e32 v49, 0xffff0000, v49
	v_and_b32_e32 v48, 0xffff0000, v47
	;; [unrolled: 1-line block ×4, first 2 shown]
	v_lshlrev_b32_e32 v47, 16, v18
	v_lshlrev_b32_e32 v46, 16, v16
	;; [unrolled: 1-line block ×3, first 2 shown]
	v_and_b32_e32 v71, 0xffff0000, v18
	v_and_b32_e32 v70, 0xffff0000, v16
	;; [unrolled: 1-line block ×3, first 2 shown]
	v_lshlrev_b32_e32 v73, 16, v19
	v_lshlrev_b32_e32 v72, 16, v17
	v_lshlrev_b32_e32 v93, 16, v3
	v_lshlrev_b32_e32 v92, 16, v1
	v_and_b32_e32 v19, 0xffff0000, v19
	v_and_b32_e32 v18, 0xffff0000, v17
	;; [unrolled: 1-line block ×4, first 2 shown]
	v_lshlrev_b32_e32 v17, 16, v14
	v_lshlrev_b32_e32 v16, 16, v12
	;; [unrolled: 1-line block ×3, first 2 shown]
	v_and_b32_e32 v75, 0xffff0000, v14
	v_and_b32_e32 v74, 0xffff0000, v12
	;; [unrolled: 1-line block ×3, first 2 shown]
	v_lshlrev_b32_e32 v20, 16, v13
	v_lshlrev_b32_e32 v21, 16, v15
	v_and_b32_e32 v14, 0xffff0000, v13
	v_lshlrev_b32_e32 v12, 16, v51
	v_lshlrev_b32_e32 v13, 16, v53
	v_and_b32_e32 v15, 0xffff0000, v15
	v_and_b32_e32 v53, 0xffff0000, v53
	;; [unrolled: 1-line block ×3, first 2 shown]
	s_waitcnt vmcnt(3)
	v_lshlrev_b32_e32 v50, 16, v80
	v_and_b32_e32 v80, 0xffff0000, v80
	v_pk_fma_f32 v[36:37], v[56:57], v[50:51], v[36:37] op_sel_hi:[1,0,1]
	v_pk_fma_f32 v[10:11], v[10:11], v[50:51], v[34:35] op_sel_hi:[1,0,1]
	v_lshlrev_b32_e32 v96, 16, v81
	v_pk_fma_f32 v[36:37], v[58:59], v[80:81], v[36:37] op_sel_hi:[1,0,1]
	v_pk_fma_f32 v[10:11], v[62:63], v[80:81], v[10:11] op_sel_hi:[1,0,1]
	v_and_b32_e32 v98, 0xffff0000, v81
	v_pk_fma_f32 v[36:37], v[60:61], v[96:97], v[36:37] op_sel_hi:[1,0,1]
	v_pk_fma_f32 v[10:11], v[64:65], v[96:97], v[10:11] op_sel_hi:[1,0,1]
	s_waitcnt vmcnt(2)
	v_lshlrev_b32_e32 v56, 16, v82
	v_pk_fma_f32 v[36:37], v[54:55], v[98:99], v[36:37] op_sel_hi:[1,0,1]
	v_pk_fma_f32 v[8:9], v[8:9], v[98:99], v[10:11] op_sel_hi:[1,0,1]
	v_and_b32_e32 v34, 0xffff0000, v82
	v_pk_fma_f32 v[10:11], v[22:23], v[56:57], v[36:37] op_sel_hi:[1,0,1]
	v_pk_fma_f32 v[8:9], v[76:77], v[56:57], v[8:9] op_sel_hi:[1,0,1]
	v_lshlrev_b32_e32 v50, 16, v83
	v_pk_fma_f32 v[10:11], v[66:67], v[34:35], v[10:11] op_sel_hi:[1,0,1]
	v_pk_fma_f32 v[8:9], v[78:79], v[34:35], v[8:9] op_sel_hi:[1,0,1]
	v_and_b32_e32 v82, 0xffff0000, v83
	v_pk_fma_f32 v[10:11], v[68:69], v[50:51], v[10:11] op_sel_hi:[1,0,1]
	v_pk_fma_f32 v[8:9], v[88:89], v[50:51], v[8:9] op_sel_hi:[1,0,1]
	s_waitcnt vmcnt(1)
	v_lshlrev_b32_e32 v58, 16, v84
	v_pk_fma_f32 v[10:11], v[48:49], v[82:83], v[10:11] op_sel_hi:[1,0,1]
	v_pk_fma_f32 v[6:7], v[6:7], v[82:83], v[8:9] op_sel_hi:[1,0,1]
	;; [unrolled: 13-line block ×3, first 2 shown]
	v_and_b32_e32 v64, 0xffff0000, v86
	v_pk_fma_f32 v[4:5], v[16:17], v[60:61], v[6:7] op_sel_hi:[1,0,1]
	v_pk_fma_f32 v[0:1], v[0:1], v[60:61], v[2:3] op_sel_hi:[1,0,1]
	v_lshlrev_b32_e32 v86, 16, v87
	v_pk_fma_f32 v[2:3], v[74:75], v[64:65], v[4:5] op_sel_hi:[1,0,1]
	v_pk_fma_f32 v[0:1], v[94:95], v[64:65], v[0:1] op_sel_hi:[1,0,1]
	v_and_b32_e32 v96, 0xffff0000, v87
	v_pk_fma_f32 v[2:3], v[20:21], v[86:87], v[2:3] op_sel_hi:[1,0,1]
	v_pk_fma_f32 v[0:1], v[12:13], v[86:87], v[0:1] op_sel_hi:[1,0,1]
	;; [unrolled: 1-line block ×4, first 2 shown]
	s_andn2_b64 exec, exec, s[10:11]
	s_cbranch_execnz .LBB113_21
; %bb.22:
	s_or_b64 exec, exec, s[10:11]
.LBB113_23:
	s_or_b64 exec, exec, s[2:3]
.LBB113_24:
	s_or_b64 exec, exec, s[8:9]
	s_cbranch_execz .LBB113_26
	s_branch .LBB113_37
.LBB113_25:
                                        ; implicit-def: $vgpr35
                                        ; implicit-def: $vgpr37
.LBB113_26:
	s_mov_b32 s8, 0
	v_mov_b32_e32 v35, 0
	v_mov_b32_e32 v34, 0
	v_mov_b32_e32 v37, 0
	v_mov_b32_e32 v36, 0
	s_and_saveexec_b64 s[2:3], s[0:1]
	s_cbranch_execz .LBB113_36
; %bb.27:
	v_or_b32_e32 v0, 32, v26
	v_mov_b32_e32 v1, s17
	v_subrev_co_u32_e32 v0, vcc, s20, v0
	v_subb_co_u32_e32 v1, vcc, 0, v1, vcc
	v_add_co_u32_e32 v0, vcc, v0, v38
	v_addc_co_u32_e32 v1, vcc, v1, v39, vcc
	v_cmp_gt_i64_e32 vcc, v[0:1], v[30:31]
	v_cndmask_b32_e32 v1, v31, v1, vcc
	v_cndmask_b32_e32 v0, v30, v0, vcc
	v_mov_b32_e32 v4, s17
	v_sub_co_u32_e32 v5, vcc, s20, v26
	v_not_b32_e32 v3, v38
	v_subbrev_co_u32_e32 v4, vcc, 0, v4, vcc
	v_not_b32_e32 v2, v39
	v_add_co_u32_e32 v3, vcc, v5, v3
	v_addc_co_u32_e32 v2, vcc, v4, v2, vcc
	v_add_co_u32_e32 v0, vcc, v3, v0
	v_addc_co_u32_e32 v1, vcc, v2, v1, vcc
	v_lshrrev_b32_e32 v2, 5, v0
	v_add_u32_e32 v2, 1, v2
	v_and_b32_e32 v2, 3, v2
	s_mov_b32 s9, s8
	v_cmp_ne_u32_e32 vcc, 0, v2
	v_pk_mov_b32 v[36:37], s[8:9], s[8:9] op_sel:[0,1]
	v_pk_mov_b32 v[34:35], s[8:9], s[8:9] op_sel:[0,1]
	s_and_saveexec_b64 s[8:9], vcc
	s_cbranch_execz .LBB113_31
; %bb.28:
	v_lshlrev_b64 v[4:5], 2, v[28:29]
	v_mov_b32_e32 v3, 0
	v_mov_b32_e32 v6, s13
	v_add_co_u32_e32 v4, vcc, s12, v4
	v_addc_co_u32_e32 v5, vcc, v6, v5, vcc
	v_lshlrev_b32_e32 v2, 3, v2
	s_mov_b64 s[10:11], 0
	v_mov_b32_e32 v6, s7
	s_movk_i32 s14, 0x400
	v_mov_b32_e32 v34, v3
	v_mov_b32_e32 v35, v3
	;; [unrolled: 1-line block ×4, first 2 shown]
.LBB113_29:                             ; =>This Inner Loop Header: Depth=1
	global_load_dword v7, v[4:5], off
	global_load_dwordx4 v[8:11], v[32:33], off
	v_add_co_u32_e64 v28, s[0:1], 32, v28
	v_addc_co_u32_e64 v29, s[0:1], 0, v29, s[0:1]
	v_add_co_u32_e64 v2, s[0:1], -8, v2
	v_addc_co_u32_e64 v3, s[0:1], -1, v3, s[0:1]
	v_cmp_eq_u64_e64 s[0:1], 0, v[2:3]
	s_or_b64 s[10:11], s[0:1], s[10:11]
	s_waitcnt vmcnt(1)
	v_subrev_u32_e32 v7, s20, v7
	v_lshlrev_b32_e32 v12, 2, v7
	v_ashrrev_i32_e32 v13, 31, v12
	v_lshlrev_b64 v[12:13], 1, v[12:13]
	v_add_co_u32_e32 v16, vcc, s6, v12
	v_addc_co_u32_e32 v17, vcc, v6, v13, vcc
	global_load_dwordx2 v[18:19], v[16:17], off
	global_load_dwordx4 v[12:15], v[32:33], off offset:16
	s_waitcnt vmcnt(2)
	v_and_b32_e32 v17, 0xffff0000, v8
	v_lshlrev_b32_e32 v16, 16, v8
	v_and_b32_e32 v21, 0xffff0000, v10
	v_lshlrev_b32_e32 v20, 16, v10
	;; [unrolled: 2-line block ×4, first 2 shown]
	v_add_co_u32_e32 v32, vcc, s14, v32
	v_addc_co_u32_e32 v33, vcc, 0, v33, vcc
	v_add_co_u32_e32 v4, vcc, 0x80, v4
	v_addc_co_u32_e32 v5, vcc, 0, v5, vcc
	s_waitcnt vmcnt(1)
	v_lshlrev_b32_e32 v42, 16, v19
	s_waitcnt vmcnt(0)
	v_and_b32_e32 v11, 0xffff0000, v12
	v_lshlrev_b32_e32 v10, 16, v12
	v_and_b32_e32 v39, 0xffff0000, v13
	v_lshlrev_b32_e32 v38, 16, v13
	v_and_b32_e32 v13, 0xffff0000, v14
	v_lshlrev_b32_e32 v12, 16, v14
	v_lshlrev_b32_e32 v14, 16, v18
	v_and_b32_e32 v41, 0xffff0000, v15
	v_lshlrev_b32_e32 v40, 16, v15
	v_and_b32_e32 v18, 0xffff0000, v18
	v_pk_fma_f32 v[16:17], v[16:17], v[14:15], v[36:37] op_sel_hi:[1,0,1]
	v_pk_fma_f32 v[14:15], v[22:23], v[14:15], v[34:35] op_sel_hi:[1,0,1]
	;; [unrolled: 1-line block ×4, first 2 shown]
	v_and_b32_e32 v44, 0xffff0000, v19
	v_pk_fma_f32 v[10:11], v[10:11], v[42:43], v[16:17] op_sel_hi:[1,0,1]
	v_pk_fma_f32 v[8:9], v[38:39], v[42:43], v[8:9] op_sel_hi:[1,0,1]
	v_pk_fma_f32 v[36:37], v[12:13], v[44:45], v[10:11] op_sel_hi:[1,0,1]
	v_pk_fma_f32 v[34:35], v[40:41], v[44:45], v[8:9] op_sel_hi:[1,0,1]
	s_andn2_b64 exec, exec, s[10:11]
	s_cbranch_execnz .LBB113_29
; %bb.30:
	s_or_b64 exec, exec, s[10:11]
.LBB113_31:
	s_or_b64 exec, exec, s[8:9]
	s_mov_b64 s[0:1], 0x5f
	v_cmp_lt_u64_e32 vcc, s[0:1], v[0:1]
	s_and_saveexec_b64 s[0:1], vcc
	s_cbranch_execz .LBB113_35
; %bb.32:
	v_lshlrev_b64 v[0:1], 2, v[28:29]
	v_mov_b32_e32 v2, s13
	v_add_co_u32_e32 v0, vcc, s12, v0
	v_addc_co_u32_e32 v1, vcc, v1, v2, vcc
	v_add_co_u32_e32 v20, vcc, 0x100, v0
	v_addc_co_u32_e32 v21, vcc, 0, v1, vcc
	s_mov_b64 s[8:9], 0
	v_mov_b32_e32 v22, s7
	s_movk_i32 s7, 0x1000
.LBB113_33:                             ; =>This Inner Loop Header: Depth=1
	global_load_dwordx4 v[4:7], v[32:33], off
	global_load_dwordx4 v[8:11], v[32:33], off offset:16
	global_load_dwordx4 v[0:3], v[32:33], off offset:1024
	;; [unrolled: 1-line block ×4, first 2 shown]
	global_load_dword v23, v[20:21], off offset:-256
	global_load_dword v25, v[20:21], off offset:-128
	global_load_dword v27, v[20:21], off
	global_load_dword v70, v[20:21], off offset:128
	global_load_dwordx4 v[38:41], v[32:33], off offset:2064
	global_load_dwordx4 v[42:45], v[32:33], off offset:3072
	;; [unrolled: 1-line block ×3, first 2 shown]
	v_add_co_u32_e32 v32, vcc, s7, v32
	v_addc_co_u32_e32 v33, vcc, 0, v33, vcc
	v_add_co_u32_e32 v28, vcc, 0x80, v28
	v_addc_co_u32_e32 v29, vcc, 0, v29, vcc
	;; [unrolled: 2-line block ×3, first 2 shown]
	v_cmp_ge_i64_e32 vcc, v[28:29], v[30:31]
	s_or_b64 s[8:9], vcc, s[8:9]
	s_waitcnt vmcnt(11)
	v_and_b32_e32 v51, 0xffff0000, v4
	v_lshlrev_b32_e32 v50, 16, v4
	v_and_b32_e32 v53, 0xffff0000, v6
	v_lshlrev_b32_e32 v52, 16, v6
	;; [unrolled: 2-line block ×4, first 2 shown]
	s_waitcnt vmcnt(10)
	v_and_b32_e32 v7, 0xffff0000, v8
	v_lshlrev_b32_e32 v6, 16, v8
	v_and_b32_e32 v57, 0xffff0000, v9
	v_lshlrev_b32_e32 v56, 16, v9
	;; [unrolled: 2-line block ×4, first 2 shown]
	s_waitcnt vmcnt(9)
	v_and_b32_e32 v11, 0xffff0000, v0
	v_lshlrev_b32_e32 v10, 16, v0
	s_waitcnt vmcnt(6)
	v_subrev_u32_e32 v0, s20, v23
	v_and_b32_e32 v69, 0xffff0000, v1
	v_lshlrev_b32_e32 v68, 16, v1
	s_waitcnt vmcnt(5)
	v_subrev_u32_e32 v1, s20, v25
	v_lshlrev_b32_e32 v0, 2, v0
	v_and_b32_e32 v63, 0xffff0000, v12
	v_lshlrev_b32_e32 v62, 16, v12
	s_waitcnt vmcnt(3)
	v_subrev_u32_e32 v12, s20, v70
	v_lshlrev_b32_e32 v70, 2, v1
	v_ashrrev_i32_e32 v1, 31, v0
	v_lshlrev_b64 v[0:1], 1, v[0:1]
	v_and_b32_e32 v61, 0xffff0000, v2
	v_lshlrev_b32_e32 v60, 16, v2
	v_subrev_u32_e32 v2, s20, v27
	v_ashrrev_i32_e32 v71, 31, v70
	v_add_co_u32_e32 v0, vcc, s6, v0
	v_lshlrev_b32_e32 v72, 2, v2
	v_lshlrev_b64 v[70:71], 1, v[70:71]
	v_addc_co_u32_e32 v1, vcc, v22, v1, vcc
	v_ashrrev_i32_e32 v73, 31, v72
	v_add_co_u32_e32 v70, vcc, s6, v70
	v_lshlrev_b32_e32 v74, 2, v12
	v_lshlrev_b64 v[72:73], 1, v[72:73]
	v_addc_co_u32_e32 v71, vcc, v22, v71, vcc
	v_ashrrev_i32_e32 v75, 31, v74
	v_add_co_u32_e32 v72, vcc, s6, v72
	v_lshlrev_b64 v[74:75], 1, v[74:75]
	v_addc_co_u32_e32 v73, vcc, v22, v73, vcc
	v_add_co_u32_e32 v74, vcc, s6, v74
	v_addc_co_u32_e32 v75, vcc, v22, v75, vcc
	global_load_dwordx2 v[76:77], v[0:1], off
	global_load_dwordx2 v[78:79], v[70:71], off
	global_load_dwordx2 v[80:81], v[72:73], off
	global_load_dwordx2 v[82:83], v[74:75], off
	v_and_b32_e32 v65, 0xffff0000, v14
	v_lshlrev_b32_e32 v64, 16, v14
	v_and_b32_e32 v67, 0xffff0000, v16
	v_lshlrev_b32_e32 v66, 16, v16
	;; [unrolled: 2-line block ×8, first 2 shown]
	s_waitcnt vmcnt(6)
	v_and_b32_e32 v19, 0xffff0000, v38
	v_lshlrev_b32_e32 v18, 16, v38
	v_and_b32_e32 v73, 0xffff0000, v40
	v_lshlrev_b32_e32 v72, 16, v40
	v_and_b32_e32 v75, 0xffff0000, v39
	v_lshlrev_b32_e32 v74, 16, v39
	v_and_b32_e32 v39, 0xffff0000, v41
	v_lshlrev_b32_e32 v38, 16, v41
	s_waitcnt vmcnt(5)
	v_and_b32_e32 v41, 0xffff0000, v42
	v_lshlrev_b32_e32 v40, 16, v42
	v_and_b32_e32 v85, 0xffff0000, v43
	v_lshlrev_b32_e32 v84, 16, v43
	v_and_b32_e32 v43, 0xffff0000, v44
	v_lshlrev_b32_e32 v42, 16, v44
	v_and_b32_e32 v87, 0xffff0000, v45
	v_lshlrev_b32_e32 v86, 16, v45
	;; [unrolled: 9-line block ×3, first 2 shown]
	s_waitcnt vmcnt(3)
	v_lshlrev_b32_e32 v48, 16, v76
	v_and_b32_e32 v76, 0xffff0000, v76
	v_pk_fma_f32 v[36:37], v[50:51], v[48:49], v[36:37] op_sel_hi:[1,0,1]
	v_pk_fma_f32 v[34:35], v[54:55], v[48:49], v[34:35] op_sel_hi:[1,0,1]
	v_lshlrev_b32_e32 v92, 16, v77
	v_pk_fma_f32 v[36:37], v[52:53], v[76:77], v[36:37] op_sel_hi:[1,0,1]
	v_pk_fma_f32 v[4:5], v[4:5], v[76:77], v[34:35] op_sel_hi:[1,0,1]
	v_and_b32_e32 v94, 0xffff0000, v77
	v_pk_fma_f32 v[6:7], v[6:7], v[92:93], v[36:37] op_sel_hi:[1,0,1]
	v_pk_fma_f32 v[4:5], v[56:57], v[92:93], v[4:5] op_sel_hi:[1,0,1]
	s_waitcnt vmcnt(2)
	v_lshlrev_b32_e32 v50, 16, v78
	v_pk_fma_f32 v[6:7], v[8:9], v[94:95], v[6:7] op_sel_hi:[1,0,1]
	v_pk_fma_f32 v[4:5], v[58:59], v[94:95], v[4:5] op_sel_hi:[1,0,1]
	v_and_b32_e32 v48, 0xffff0000, v78
	v_pk_fma_f32 v[6:7], v[10:11], v[50:51], v[6:7] op_sel_hi:[1,0,1]
	v_pk_fma_f32 v[4:5], v[68:69], v[50:51], v[4:5] op_sel_hi:[1,0,1]
	v_lshlrev_b32_e32 v54, 16, v79
	v_pk_fma_f32 v[6:7], v[60:61], v[48:49], v[6:7] op_sel_hi:[1,0,1]
	v_pk_fma_f32 v[0:1], v[0:1], v[48:49], v[4:5] op_sel_hi:[1,0,1]
	v_and_b32_e32 v78, 0xffff0000, v79
	v_pk_fma_f32 v[4:5], v[62:63], v[54:55], v[6:7] op_sel_hi:[1,0,1]
	v_pk_fma_f32 v[0:1], v[2:3], v[54:55], v[0:1] op_sel_hi:[1,0,1]
	s_waitcnt vmcnt(1)
	v_lshlrev_b32_e32 v52, 16, v80
	v_pk_fma_f32 v[2:3], v[64:65], v[78:79], v[4:5] op_sel_hi:[1,0,1]
	v_pk_fma_f32 v[0:1], v[12:13], v[78:79], v[0:1] op_sel_hi:[1,0,1]
	;; [unrolled: 13-line block ×3, first 2 shown]
	v_and_b32_e32 v56, 0xffff0000, v82
	v_pk_fma_f32 v[2:3], v[40:41], v[36:37], v[2:3] op_sel_hi:[1,0,1]
	v_pk_fma_f32 v[0:1], v[84:85], v[36:37], v[0:1] op_sel_hi:[1,0,1]
	v_lshlrev_b32_e32 v82, 16, v83
	v_pk_fma_f32 v[2:3], v[42:43], v[56:57], v[2:3] op_sel_hi:[1,0,1]
	v_pk_fma_f32 v[0:1], v[86:87], v[56:57], v[0:1] op_sel_hi:[1,0,1]
	v_and_b32_e32 v92, 0xffff0000, v83
	v_pk_fma_f32 v[2:3], v[44:45], v[82:83], v[2:3] op_sel_hi:[1,0,1]
	v_pk_fma_f32 v[0:1], v[88:89], v[82:83], v[0:1] op_sel_hi:[1,0,1]
	;; [unrolled: 1-line block ×4, first 2 shown]
	s_andn2_b64 exec, exec, s[8:9]
	s_cbranch_execnz .LBB113_33
; %bb.34:
	s_or_b64 exec, exec, s[8:9]
.LBB113_35:
	s_or_b64 exec, exec, s[0:1]
.LBB113_36:
	s_or_b64 exec, exec, s[2:3]
.LBB113_37:
	v_mov_b32_dpp v0, v36 row_shr:1 row_mask:0xf bank_mask:0xf
	v_mov_b32_dpp v1, v37 row_shr:1 row_mask:0xf bank_mask:0xf
	;; [unrolled: 1-line block ×4, first 2 shown]
	v_pk_add_f32 v[0:1], v[36:37], v[0:1]
	v_pk_add_f32 v[4:5], v[34:35], v[4:5]
	v_cmp_eq_u32_e32 vcc, 31, v26
	v_mov_b32_dpp v2, v0 row_shr:2 row_mask:0xf bank_mask:0xf
	v_mov_b32_dpp v3, v1 row_shr:2 row_mask:0xf bank_mask:0xf
	v_mov_b32_dpp v6, v4 row_shr:2 row_mask:0xf bank_mask:0xf
	v_mov_b32_dpp v7, v5 row_shr:2 row_mask:0xf bank_mask:0xf
	v_pk_add_f32 v[0:1], v[0:1], v[2:3]
	v_pk_add_f32 v[4:5], v[4:5], v[6:7]
	s_nop 0
	v_mov_b32_dpp v2, v0 row_shr:4 row_mask:0xf bank_mask:0xe
	v_mov_b32_dpp v3, v1 row_shr:4 row_mask:0xf bank_mask:0xe
	v_mov_b32_dpp v6, v4 row_shr:4 row_mask:0xf bank_mask:0xe
	v_mov_b32_dpp v7, v5 row_shr:4 row_mask:0xf bank_mask:0xe
	v_pk_add_f32 v[0:1], v[0:1], v[2:3]
	v_pk_add_f32 v[4:5], v[4:5], v[6:7]
	s_nop 0
	v_mov_b32_dpp v2, v0 row_shr:8 row_mask:0xf bank_mask:0xc
	v_mov_b32_dpp v3, v1 row_shr:8 row_mask:0xf bank_mask:0xc
	v_mov_b32_dpp v6, v4 row_shr:8 row_mask:0xf bank_mask:0xc
	v_mov_b32_dpp v7, v5 row_shr:8 row_mask:0xf bank_mask:0xc
	v_pk_add_f32 v[0:1], v[0:1], v[2:3]
	v_pk_add_f32 v[4:5], v[4:5], v[6:7]
	s_nop 0
	v_mov_b32_dpp v2, v0 row_bcast:15 row_mask:0xa bank_mask:0xf
	v_mov_b32_dpp v3, v1 row_bcast:15 row_mask:0xa bank_mask:0xf
	;; [unrolled: 1-line block ×4, first 2 shown]
	s_and_b64 exec, exec, vcc
	s_cbranch_execz .LBB113_10
; %bb.38:
	s_load_dwordx2 s[0:1], s[4:5], 0x50
	v_cmp_eq_f32_e64 s[2:3], s18, 0
	v_pk_add_f32 v[2:3], v[0:1], v[2:3]
	v_pk_add_f32 v[0:1], v[4:5], v[6:7]
	s_and_b64 vcc, exec, s[2:3]
	v_lshlrev_b32_e32 v4, 2, v24
	s_cbranch_vccz .LBB113_40
; %bb.39:
	v_ashrrev_i32_e32 v5, 31, v4
	v_lshlrev_b64 v[6:7], 2, v[4:5]
	s_waitcnt lgkmcnt(0)
	v_mov_b32_e32 v5, s1
	v_add_co_u32_e32 v10, vcc, s0, v6
	v_addc_co_u32_e32 v11, vcc, v5, v7, vcc
	v_pk_mul_f32 v[6:7], s[16:17], v[2:3] op_sel_hi:[0,1]
	v_pk_mul_f32 v[8:9], s[16:17], v[0:1] op_sel_hi:[0,1]
	global_store_dwordx4 v[10:11], v[6:9], off
	s_cbranch_execnz .LBB113_10
	s_branch .LBB113_41
.LBB113_40:
.LBB113_41:
	v_ashrrev_i32_e32 v5, 31, v4
	v_lshlrev_b64 v[4:5], 2, v[4:5]
	s_waitcnt lgkmcnt(0)
	v_mov_b32_e32 v6, s1
	v_add_co_u32_e32 v8, vcc, s0, v4
	v_addc_co_u32_e32 v9, vcc, v6, v5, vcc
	global_load_dwordx4 v[4:7], v[8:9], off
	v_pk_mul_f32 v[2:3], s[16:17], v[2:3] op_sel_hi:[0,1]
	v_pk_mul_f32 v[10:11], s[16:17], v[0:1] op_sel_hi:[0,1]
	s_waitcnt vmcnt(0)
	v_pk_fma_f32 v[0:1], s[18:19], v[4:5], v[2:3] op_sel_hi:[0,1,1]
	v_pk_fma_f32 v[2:3], s[18:19], v[6:7], v[10:11] op_sel_hi:[0,1,1]
	global_store_dwordx4 v[8:9], v[0:3], off
	s_endpgm
	.section	.rodata,"a",@progbits
	.p2align	6, 0x0
	.amdhsa_kernel _ZN9rocsparseL18bsrxmvn_4x4_kernelILj128ELj32Efli18rocsparse_bfloat16S1_fEEvT3_20rocsparse_direction_NS_24const_host_device_scalarIT1_EES2_PKS2_PKT2_SB_S8_PKT4_PKT5_S6_PT6_21rocsparse_index_base_b
		.amdhsa_group_segment_fixed_size 0
		.amdhsa_private_segment_fixed_size 0
		.amdhsa_kernarg_size 96
		.amdhsa_user_sgpr_count 6
		.amdhsa_user_sgpr_private_segment_buffer 1
		.amdhsa_user_sgpr_dispatch_ptr 0
		.amdhsa_user_sgpr_queue_ptr 0
		.amdhsa_user_sgpr_kernarg_segment_ptr 1
		.amdhsa_user_sgpr_dispatch_id 0
		.amdhsa_user_sgpr_flat_scratch_init 0
		.amdhsa_user_sgpr_kernarg_preload_length 0
		.amdhsa_user_sgpr_kernarg_preload_offset 0
		.amdhsa_user_sgpr_private_segment_size 0
		.amdhsa_uses_dynamic_stack 0
		.amdhsa_system_sgpr_private_segment_wavefront_offset 0
		.amdhsa_system_sgpr_workgroup_id_x 1
		.amdhsa_system_sgpr_workgroup_id_y 0
		.amdhsa_system_sgpr_workgroup_id_z 0
		.amdhsa_system_sgpr_workgroup_info 0
		.amdhsa_system_vgpr_workitem_id 0
		.amdhsa_next_free_vgpr 100
		.amdhsa_next_free_sgpr 22
		.amdhsa_accum_offset 100
		.amdhsa_reserve_vcc 1
		.amdhsa_reserve_flat_scratch 0
		.amdhsa_float_round_mode_32 0
		.amdhsa_float_round_mode_16_64 0
		.amdhsa_float_denorm_mode_32 3
		.amdhsa_float_denorm_mode_16_64 3
		.amdhsa_dx10_clamp 1
		.amdhsa_ieee_mode 1
		.amdhsa_fp16_overflow 0
		.amdhsa_tg_split 0
		.amdhsa_exception_fp_ieee_invalid_op 0
		.amdhsa_exception_fp_denorm_src 0
		.amdhsa_exception_fp_ieee_div_zero 0
		.amdhsa_exception_fp_ieee_overflow 0
		.amdhsa_exception_fp_ieee_underflow 0
		.amdhsa_exception_fp_ieee_inexact 0
		.amdhsa_exception_int_div_zero 0
	.end_amdhsa_kernel
	.section	.text._ZN9rocsparseL18bsrxmvn_4x4_kernelILj128ELj32Efli18rocsparse_bfloat16S1_fEEvT3_20rocsparse_direction_NS_24const_host_device_scalarIT1_EES2_PKS2_PKT2_SB_S8_PKT4_PKT5_S6_PT6_21rocsparse_index_base_b,"axG",@progbits,_ZN9rocsparseL18bsrxmvn_4x4_kernelILj128ELj32Efli18rocsparse_bfloat16S1_fEEvT3_20rocsparse_direction_NS_24const_host_device_scalarIT1_EES2_PKS2_PKT2_SB_S8_PKT4_PKT5_S6_PT6_21rocsparse_index_base_b,comdat
.Lfunc_end113:
	.size	_ZN9rocsparseL18bsrxmvn_4x4_kernelILj128ELj32Efli18rocsparse_bfloat16S1_fEEvT3_20rocsparse_direction_NS_24const_host_device_scalarIT1_EES2_PKS2_PKT2_SB_S8_PKT4_PKT5_S6_PT6_21rocsparse_index_base_b, .Lfunc_end113-_ZN9rocsparseL18bsrxmvn_4x4_kernelILj128ELj32Efli18rocsparse_bfloat16S1_fEEvT3_20rocsparse_direction_NS_24const_host_device_scalarIT1_EES2_PKS2_PKT2_SB_S8_PKT4_PKT5_S6_PT6_21rocsparse_index_base_b
                                        ; -- End function
	.section	.AMDGPU.csdata,"",@progbits
; Kernel info:
; codeLenInByte = 4296
; NumSgprs: 26
; NumVgprs: 100
; NumAgprs: 0
; TotalNumVgprs: 100
; ScratchSize: 0
; MemoryBound: 0
; FloatMode: 240
; IeeeMode: 1
; LDSByteSize: 0 bytes/workgroup (compile time only)
; SGPRBlocks: 3
; VGPRBlocks: 12
; NumSGPRsForWavesPerEU: 26
; NumVGPRsForWavesPerEU: 100
; AccumOffset: 100
; Occupancy: 4
; WaveLimiterHint : 1
; COMPUTE_PGM_RSRC2:SCRATCH_EN: 0
; COMPUTE_PGM_RSRC2:USER_SGPR: 6
; COMPUTE_PGM_RSRC2:TRAP_HANDLER: 0
; COMPUTE_PGM_RSRC2:TGID_X_EN: 1
; COMPUTE_PGM_RSRC2:TGID_Y_EN: 0
; COMPUTE_PGM_RSRC2:TGID_Z_EN: 0
; COMPUTE_PGM_RSRC2:TIDIG_COMP_CNT: 0
; COMPUTE_PGM_RSRC3_GFX90A:ACCUM_OFFSET: 24
; COMPUTE_PGM_RSRC3_GFX90A:TG_SPLIT: 0
	.section	.text._ZN9rocsparseL18bsrxmvn_4x4_kernelILj128ELj64Efli18rocsparse_bfloat16S1_fEEvT3_20rocsparse_direction_NS_24const_host_device_scalarIT1_EES2_PKS2_PKT2_SB_S8_PKT4_PKT5_S6_PT6_21rocsparse_index_base_b,"axG",@progbits,_ZN9rocsparseL18bsrxmvn_4x4_kernelILj128ELj64Efli18rocsparse_bfloat16S1_fEEvT3_20rocsparse_direction_NS_24const_host_device_scalarIT1_EES2_PKS2_PKT2_SB_S8_PKT4_PKT5_S6_PT6_21rocsparse_index_base_b,comdat
	.globl	_ZN9rocsparseL18bsrxmvn_4x4_kernelILj128ELj64Efli18rocsparse_bfloat16S1_fEEvT3_20rocsparse_direction_NS_24const_host_device_scalarIT1_EES2_PKS2_PKT2_SB_S8_PKT4_PKT5_S6_PT6_21rocsparse_index_base_b ; -- Begin function _ZN9rocsparseL18bsrxmvn_4x4_kernelILj128ELj64Efli18rocsparse_bfloat16S1_fEEvT3_20rocsparse_direction_NS_24const_host_device_scalarIT1_EES2_PKS2_PKT2_SB_S8_PKT4_PKT5_S6_PT6_21rocsparse_index_base_b
	.p2align	8
	.type	_ZN9rocsparseL18bsrxmvn_4x4_kernelILj128ELj64Efli18rocsparse_bfloat16S1_fEEvT3_20rocsparse_direction_NS_24const_host_device_scalarIT1_EES2_PKS2_PKT2_SB_S8_PKT4_PKT5_S6_PT6_21rocsparse_index_base_b,@function
_ZN9rocsparseL18bsrxmvn_4x4_kernelILj128ELj64Efli18rocsparse_bfloat16S1_fEEvT3_20rocsparse_direction_NS_24const_host_device_scalarIT1_EES2_PKS2_PKT2_SB_S8_PKT4_PKT5_S6_PT6_21rocsparse_index_base_b: ; @_ZN9rocsparseL18bsrxmvn_4x4_kernelILj128ELj64Efli18rocsparse_bfloat16S1_fEEvT3_20rocsparse_direction_NS_24const_host_device_scalarIT1_EES2_PKS2_PKT2_SB_S8_PKT4_PKT5_S6_PT6_21rocsparse_index_base_b
; %bb.0:
	s_load_dwordx2 s[20:21], s[4:5], 0x58
	s_load_dwordx2 s[16:17], s[4:5], 0x8
	;; [unrolled: 1-line block ×3, first 2 shown]
	s_waitcnt lgkmcnt(0)
	s_bitcmp1_b32 s21, 0
	s_cselect_b64 s[2:3], -1, 0
	s_xor_b64 s[0:1], s[2:3], -1
	s_and_b64 vcc, exec, s[2:3]
	s_cbranch_vccnz .LBB114_2
; %bb.1:
	s_load_dword s16, s[16:17], 0x0
.LBB114_2:
	s_andn2_b64 vcc, exec, s[0:1]
	s_cbranch_vccnz .LBB114_4
; %bb.3:
	s_load_dword s18, s[18:19], 0x0
.LBB114_4:
	s_waitcnt lgkmcnt(0)
	v_cmp_neq_f32_e64 s[0:1], s16, 0
	v_cmp_neq_f32_e64 s[2:3], s18, 1.0
	s_or_b64 s[0:1], s[0:1], s[2:3]
	s_andn2_b64 vcc, exec, s[0:1]
	s_cbranch_vccnz .LBB114_10
; %bb.5:
	s_load_dwordx2 s[8:9], s[4:5], 0x18
	s_load_dwordx2 s[0:1], s[4:5], 0x0
	v_lshrrev_b32_e32 v1, 6, v0
	v_lshl_or_b32 v24, s6, 1, v1
	s_mov_b64 s[2:3], 0
	s_waitcnt lgkmcnt(0)
	s_cmp_lg_u64 s[8:9], 0
	s_cbranch_scc0 .LBB114_11
; %bb.6:
	s_load_dword s6, s[4:5], 0x10
                                        ; implicit-def: $vgpr1
	s_waitcnt lgkmcnt(0)
	v_cmp_gt_i32_e32 vcc, s6, v24
	s_and_saveexec_b64 s[6:7], vcc
	s_xor_b64 s[6:7], exec, s[6:7]
	s_cbranch_execz .LBB114_8
; %bb.7:
	v_ashrrev_i32_e32 v25, 31, v24
	v_lshlrev_b64 v[2:3], 2, v[24:25]
	v_mov_b32_e32 v1, s9
	v_add_co_u32_e32 v2, vcc, s8, v2
	v_addc_co_u32_e32 v3, vcc, v1, v3, vcc
	global_load_dword v1, v[2:3], off
	s_mov_b64 s[2:3], exec
	s_waitcnt vmcnt(0)
	v_subrev_u32_e32 v1, s20, v1
.LBB114_8:
	s_or_b64 exec, exec, s[6:7]
	s_branch .LBB114_12
.LBB114_9:
	v_cmp_gt_i32_e32 vcc, s0, v24
	s_andn2_b64 s[2:3], s[2:3], exec
	s_and_b64 s[6:7], vcc, exec
	s_or_b64 s[2:3], s[2:3], s[6:7]
	s_and_saveexec_b64 s[6:7], s[2:3]
	s_cbranch_execnz .LBB114_13
.LBB114_10:
	s_endpgm
.LBB114_11:
                                        ; implicit-def: $vgpr1
	s_cbranch_execnz .LBB114_9
.LBB114_12:
	v_mov_b32_e32 v24, v1
	s_and_saveexec_b64 s[6:7], s[2:3]
	s_cbranch_execz .LBB114_10
.LBB114_13:
	s_load_dwordx8 s[8:15], s[4:5], 0x20
	v_ashrrev_i32_e32 v25, 31, v24
	v_lshlrev_b64 v[2:3], 3, v[24:25]
	v_and_b32_e32 v26, 63, v0
	s_load_dwordx2 s[6:7], s[4:5], 0x40
	s_waitcnt lgkmcnt(0)
	v_mov_b32_e32 v1, s9
	v_add_co_u32_e32 v4, vcc, s8, v2
	v_addc_co_u32_e32 v5, vcc, v1, v3, vcc
	v_add_co_u32_e32 v1, vcc, 8, v4
	global_load_dwordx2 v[38:39], v[4:5], off
	v_addc_co_u32_e32 v4, vcc, 0, v5, vcc
	v_mov_b32_e32 v5, s11
	v_add_co_u32_e32 v2, vcc, s10, v2
	s_cmp_eq_u64 s[10:11], 0
	v_addc_co_u32_e32 v3, vcc, v5, v3, vcc
	s_cselect_b64 vcc, -1, 0
	v_cndmask_b32_e32 v3, v3, v4, vcc
	v_cndmask_b32_e32 v2, v2, v1, vcc
	global_load_dwordx2 v[2:3], v[2:3], off
	v_mov_b32_e32 v4, s15
	s_mov_b32 s17, 0
	v_mov_b32_e32 v35, 0
	s_cmp_eq_u32 s1, 1
	s_waitcnt vmcnt(1)
	v_subrev_co_u32_e32 v0, vcc, s20, v38
	v_subbrev_co_u32_e32 v1, vcc, 0, v39, vcc
	v_add_co_u32_e32 v28, vcc, v0, v26
	v_addc_co_u32_e32 v29, vcc, 0, v1, vcc
	v_lshlrev_b64 v[0:1], 5, v[28:29]
	s_waitcnt vmcnt(0)
	v_subrev_co_u32_e32 v30, vcc, s20, v2
	v_subbrev_co_u32_e32 v31, vcc, 0, v3, vcc
	v_add_co_u32_e32 v32, vcc, s14, v0
	v_addc_co_u32_e32 v33, vcc, v4, v1, vcc
	v_cmp_lt_i64_e64 s[0:1], v[28:29], v[30:31]
	s_cbranch_scc1 .LBB114_25
; %bb.14:
	v_mov_b32_e32 v34, 0
	v_mov_b32_e32 v37, 0
	;; [unrolled: 1-line block ×3, first 2 shown]
	s_and_saveexec_b64 s[8:9], s[0:1]
	s_cbranch_execz .LBB114_24
; %bb.15:
	v_or_b32_e32 v0, 64, v26
	v_mov_b32_e32 v1, s17
	v_subrev_co_u32_e32 v0, vcc, s20, v0
	v_subb_co_u32_e32 v1, vcc, 0, v1, vcc
	v_add_co_u32_e32 v0, vcc, v0, v38
	v_addc_co_u32_e32 v1, vcc, v1, v39, vcc
	v_cmp_gt_i64_e32 vcc, v[0:1], v[30:31]
	v_cndmask_b32_e32 v1, v31, v1, vcc
	v_cndmask_b32_e32 v0, v30, v0, vcc
	v_mov_b32_e32 v4, s17
	v_sub_co_u32_e32 v5, vcc, s20, v26
	v_not_b32_e32 v3, v38
	v_subbrev_co_u32_e32 v4, vcc, 0, v4, vcc
	v_not_b32_e32 v2, v39
	v_add_co_u32_e32 v3, vcc, v5, v3
	v_addc_co_u32_e32 v2, vcc, v4, v2, vcc
	v_add_co_u32_e32 v0, vcc, v3, v0
	v_addc_co_u32_e32 v1, vcc, v2, v1, vcc
	v_lshrrev_b32_e32 v2, 6, v0
	v_add_u32_e32 v2, 1, v2
	v_and_b32_e32 v2, 3, v2
	s_mov_b32 s2, s17
	s_mov_b32 s3, s17
	v_cmp_ne_u32_e32 vcc, 0, v2
	v_pk_mov_b32 v[36:37], s[2:3], s[2:3] op_sel:[0,1]
	v_pk_mov_b32 v[34:35], s[2:3], s[2:3] op_sel:[0,1]
	;; [unrolled: 1-line block ×4, first 2 shown]
	s_and_saveexec_b64 s[10:11], vcc
	s_cbranch_execz .LBB114_19
; %bb.16:
	v_lshlrev_b64 v[4:5], 2, v[28:29]
	v_mov_b32_e32 v3, 0
	v_mov_b32_e32 v6, s13
	v_add_co_u32_e32 v4, vcc, s12, v4
	v_addc_co_u32_e32 v5, vcc, v6, v5, vcc
	v_lshlrev_b32_e32 v2, 3, v2
	s_mov_b64 s[14:15], 0
	v_mov_b32_e32 v6, s7
	s_movk_i32 s19, 0x800
	v_pk_mov_b32 v[42:43], v[32:33], v[32:33] op_sel:[0,1]
	v_pk_mov_b32 v[40:41], v[28:29], v[28:29] op_sel:[0,1]
	v_mov_b32_e32 v34, v3
	v_mov_b32_e32 v35, v3
	;; [unrolled: 1-line block ×4, first 2 shown]
.LBB114_17:                             ; =>This Inner Loop Header: Depth=1
	global_load_dword v7, v[4:5], off
	global_load_dwordx4 v[8:11], v[42:43], off
	global_load_dwordx4 v[12:15], v[42:43], off offset:16
	v_add_co_u32_e64 v40, s[2:3], 64, v40
	v_addc_co_u32_e64 v41, s[2:3], 0, v41, s[2:3]
	v_add_co_u32_e64 v2, s[2:3], -8, v2
	v_addc_co_u32_e64 v3, s[2:3], -1, v3, s[2:3]
	v_cmp_eq_u64_e64 s[2:3], 0, v[2:3]
	s_or_b64 s[14:15], s[2:3], s[14:15]
	s_waitcnt vmcnt(2)
	v_subrev_u32_e32 v7, s20, v7
	v_lshlrev_b32_e32 v16, 2, v7
	v_ashrrev_i32_e32 v17, 31, v16
	v_lshlrev_b64 v[16:17], 1, v[16:17]
	v_add_co_u32_e32 v16, vcc, s6, v16
	v_addc_co_u32_e32 v17, vcc, v6, v17, vcc
	global_load_dwordx2 v[16:17], v[16:17], off
	s_waitcnt vmcnt(2)
	v_lshlrev_b32_e32 v19, 16, v10
	v_lshlrev_b32_e32 v18, 16, v8
	v_and_b32_e32 v21, 0xffff0000, v10
	v_and_b32_e32 v20, 0xffff0000, v8
	v_lshlrev_b32_e32 v22, 16, v9
	v_and_b32_e32 v10, 0xffff0000, v9
	s_waitcnt vmcnt(1)
	v_lshlrev_b32_e32 v9, 16, v14
	v_lshlrev_b32_e32 v8, 16, v12
	v_and_b32_e32 v44, 0xffff0000, v12
	v_add_co_u32_e32 v42, vcc, s19, v42
	v_and_b32_e32 v45, 0xffff0000, v14
	v_addc_co_u32_e32 v43, vcc, 0, v43, vcc
	v_lshlrev_b32_e32 v23, 16, v11
	v_lshlrev_b32_e32 v47, 16, v15
	;; [unrolled: 1-line block ×3, first 2 shown]
	v_and_b32_e32 v14, 0xffff0000, v13
	v_add_co_u32_e32 v4, vcc, 0x100, v4
	v_and_b32_e32 v11, 0xffff0000, v11
	v_and_b32_e32 v15, 0xffff0000, v15
	v_addc_co_u32_e32 v5, vcc, 0, v5, vcc
	s_waitcnt vmcnt(0)
	v_lshlrev_b32_e32 v12, 16, v16
	v_and_b32_e32 v16, 0xffff0000, v16
	v_pk_fma_f32 v[18:19], v[18:19], v[12:13], v[36:37] op_sel_hi:[1,0,1]
	v_pk_fma_f32 v[8:9], v[8:9], v[12:13], v[34:35] op_sel_hi:[1,0,1]
	v_lshlrev_b32_e32 v48, 16, v17
	v_pk_fma_f32 v[12:13], v[20:21], v[16:17], v[18:19] op_sel_hi:[1,0,1]
	v_pk_fma_f32 v[8:9], v[44:45], v[16:17], v[8:9] op_sel_hi:[1,0,1]
	v_and_b32_e32 v50, 0xffff0000, v17
	v_pk_fma_f32 v[12:13], v[22:23], v[48:49], v[12:13] op_sel_hi:[1,0,1]
	v_pk_fma_f32 v[8:9], v[46:47], v[48:49], v[8:9] op_sel_hi:[1,0,1]
	;; [unrolled: 1-line block ×4, first 2 shown]
	s_andn2_b64 exec, exec, s[14:15]
	s_cbranch_execnz .LBB114_17
; %bb.18:
	s_or_b64 exec, exec, s[14:15]
.LBB114_19:
	s_or_b64 exec, exec, s[10:11]
	s_mov_b64 s[2:3], 0xbf
	v_cmp_lt_u64_e32 vcc, s[2:3], v[0:1]
	s_and_saveexec_b64 s[10:11], vcc
	s_cbranch_execz .LBB114_23
; %bb.20:
	v_lshlrev_b64 v[0:1], 2, v[40:41]
	v_mov_b32_e32 v2, s13
	v_add_co_u32_e32 v0, vcc, s12, v0
	v_addc_co_u32_e32 v1, vcc, v1, v2, vcc
	v_add_co_u32_e32 v44, vcc, 0x200, v0
	v_addc_co_u32_e32 v45, vcc, 0, v1, vcc
	s_mov_b64 s[14:15], 0
	v_mov_b32_e32 v25, s7
	s_movk_i32 s19, 0x1000
.LBB114_21:                             ; =>This Inner Loop Header: Depth=1
	global_load_dword v27, v[44:45], off offset:-512
	global_load_dwordx4 v[4:7], v[42:43], off
	global_load_dwordx4 v[16:19], v[42:43], off offset:16
	global_load_dword v64, v[44:45], off offset:-256
	global_load_dwordx4 v[20:23], v[42:43], off offset:2048
	global_load_dwordx4 v[0:3], v[42:43], off offset:2064
	global_load_dword v66, v[44:45], off
	global_load_dword v67, v[44:45], off offset:256
	v_add_co_u32_e32 v54, vcc, s19, v42
	v_addc_co_u32_e32 v55, vcc, 0, v43, vcc
	v_add_co_u32_e32 v40, vcc, 0x100, v40
	v_addc_co_u32_e32 v41, vcc, 0, v41, vcc
	;; [unrolled: 2-line block ×4, first 2 shown]
	global_load_dwordx4 v[12:15], v[54:55], off
	global_load_dwordx4 v[8:11], v[54:55], off offset:16
	global_load_dwordx4 v[46:49], v[54:55], off offset:2048
	;; [unrolled: 1-line block ×3, first 2 shown]
	v_cmp_ge_i64_e64 s[2:3], v[40:41], v[30:31]
	s_or_b64 s[14:15], s[2:3], s[14:15]
	s_waitcnt vmcnt(11)
	v_subrev_u32_e32 v27, s20, v27
	v_lshlrev_b32_e32 v70, 2, v27
	s_waitcnt vmcnt(10)
	v_lshlrev_b32_e32 v55, 16, v6
	s_waitcnt vmcnt(8)
	v_subrev_u32_e32 v71, s20, v64
	v_lshlrev_b32_e32 v72, 2, v71
	v_ashrrev_i32_e32 v71, 31, v70
	s_waitcnt vmcnt(5)
	v_subrev_u32_e32 v73, s20, v66
	v_lshlrev_b64 v[70:71], 1, v[70:71]
	v_lshlrev_b32_e32 v74, 2, v73
	v_ashrrev_i32_e32 v73, 31, v72
	v_add_co_u32_e32 v70, vcc, s6, v70
	s_waitcnt vmcnt(4)
	v_subrev_u32_e32 v75, s20, v67
	v_lshlrev_b64 v[72:73], 1, v[72:73]
	v_addc_co_u32_e32 v71, vcc, v25, v71, vcc
	v_lshlrev_b32_e32 v76, 2, v75
	v_ashrrev_i32_e32 v75, 31, v74
	v_add_co_u32_e32 v72, vcc, s6, v72
	v_lshlrev_b64 v[74:75], 1, v[74:75]
	v_addc_co_u32_e32 v73, vcc, v25, v73, vcc
	v_ashrrev_i32_e32 v77, 31, v76
	v_add_co_u32_e32 v74, vcc, s6, v74
	v_lshlrev_b64 v[76:77], 1, v[76:77]
	v_addc_co_u32_e32 v75, vcc, v25, v75, vcc
	v_add_co_u32_e32 v76, vcc, s6, v76
	v_addc_co_u32_e32 v77, vcc, v25, v77, vcc
	global_load_dwordx2 v[78:79], v[70:71], off
	global_load_dwordx2 v[80:81], v[72:73], off
	global_load_dwordx2 v[82:83], v[74:75], off
	global_load_dwordx2 v[84:85], v[76:77], off
	v_lshlrev_b32_e32 v54, 16, v4
	v_and_b32_e32 v57, 0xffff0000, v6
	v_and_b32_e32 v56, 0xffff0000, v4
	v_lshlrev_b32_e32 v58, 16, v5
	v_and_b32_e32 v6, 0xffff0000, v5
	v_lshlrev_b32_e32 v5, 16, v18
	v_lshlrev_b32_e32 v4, 16, v16
	s_waitcnt vmcnt(7)
	v_lshlrev_b32_e32 v73, 16, v14
	v_and_b32_e32 v75, 0xffff0000, v14
	v_lshlrev_b32_e32 v76, 16, v13
	v_and_b32_e32 v14, 0xffff0000, v13
	s_waitcnt vmcnt(5)
	v_lshlrev_b32_e32 v13, 16, v48
	v_and_b32_e32 v87, 0xffff0000, v48
	v_lshlrev_b32_e32 v48, 16, v8
	v_and_b32_e32 v90, 0xffff0000, v8
	s_waitcnt vmcnt(4)
	v_lshlrev_b32_e32 v8, 16, v50
	v_and_b32_e32 v94, 0xffff0000, v50
	v_and_b32_e32 v61, 0xffff0000, v18
	;; [unrolled: 1-line block ×3, first 2 shown]
	v_lshlrev_b32_e32 v62, 16, v17
	v_and_b32_e32 v18, 0xffff0000, v17
	v_lshlrev_b32_e32 v17, 16, v22
	v_lshlrev_b32_e32 v65, 16, v2
	v_and_b32_e32 v67, 0xffff0000, v22
	v_lshlrev_b32_e32 v68, 16, v21
	v_and_b32_e32 v22, 0xffff0000, v21
	v_and_b32_e32 v21, 0xffff0000, v2
	v_lshlrev_b32_e32 v70, 16, v1
	v_and_b32_e32 v2, 0xffff0000, v1
	v_lshlrev_b32_e32 v89, 16, v49
	v_and_b32_e32 v1, 0xffff0000, v49
	v_lshlrev_b32_e32 v49, 16, v10
	v_and_b32_e32 v91, 0xffff0000, v10
	v_lshlrev_b32_e32 v92, 16, v9
	v_and_b32_e32 v10, 0xffff0000, v9
	v_lshlrev_b32_e32 v9, 16, v52
	v_and_b32_e32 v95, 0xffff0000, v52
	v_lshlrev_b32_e32 v59, 16, v7
	v_lshlrev_b32_e32 v63, 16, v19
	v_and_b32_e32 v7, 0xffff0000, v7
	v_and_b32_e32 v19, 0xffff0000, v19
	v_lshlrev_b32_e32 v16, 16, v20
	v_lshlrev_b32_e32 v64, 16, v0
	v_and_b32_e32 v66, 0xffff0000, v20
	v_and_b32_e32 v20, 0xffff0000, v0
	v_lshlrev_b32_e32 v69, 16, v23
	;; [unrolled: 4-line block ×3, first 2 shown]
	v_and_b32_e32 v74, 0xffff0000, v12
	v_lshlrev_b32_e32 v77, 16, v15
	v_lshlrev_b32_e32 v93, 16, v11
	v_and_b32_e32 v15, 0xffff0000, v15
	v_and_b32_e32 v11, 0xffff0000, v11
	v_lshlrev_b32_e32 v12, 16, v46
	v_and_b32_e32 v86, 0xffff0000, v46
	v_lshlrev_b32_e32 v88, 16, v47
	v_lshlrev_b32_e32 v97, 16, v53
	;; [unrolled: 1-line block ×3, first 2 shown]
	v_and_b32_e32 v0, 0xffff0000, v47
	v_and_b32_e32 v46, 0xffff0000, v51
	;; [unrolled: 1-line block ×3, first 2 shown]
	s_waitcnt vmcnt(3)
	v_lshlrev_b32_e32 v50, 16, v78
	v_and_b32_e32 v52, 0xffff0000, v78
	v_pk_fma_f32 v[36:37], v[54:55], v[50:51], v[36:37] op_sel_hi:[1,0,1]
	v_pk_fma_f32 v[4:5], v[4:5], v[50:51], v[34:35] op_sel_hi:[1,0,1]
	v_lshlrev_b32_e32 v78, 16, v79
	v_pk_fma_f32 v[36:37], v[56:57], v[52:53], v[36:37] op_sel_hi:[1,0,1]
	v_pk_fma_f32 v[4:5], v[60:61], v[52:53], v[4:5] op_sel_hi:[1,0,1]
	v_and_b32_e32 v98, 0xffff0000, v79
	v_pk_fma_f32 v[36:37], v[58:59], v[78:79], v[36:37] op_sel_hi:[1,0,1]
	v_pk_fma_f32 v[4:5], v[62:63], v[78:79], v[4:5] op_sel_hi:[1,0,1]
	s_waitcnt vmcnt(2)
	v_lshlrev_b32_e32 v54, 16, v80
	v_pk_fma_f32 v[6:7], v[6:7], v[98:99], v[36:37] op_sel_hi:[1,0,1]
	v_pk_fma_f32 v[4:5], v[18:19], v[98:99], v[4:5] op_sel_hi:[1,0,1]
	v_and_b32_e32 v34, 0xffff0000, v80
	v_pk_fma_f32 v[6:7], v[16:17], v[54:55], v[6:7] op_sel_hi:[1,0,1]
	v_pk_fma_f32 v[4:5], v[64:65], v[54:55], v[4:5] op_sel_hi:[1,0,1]
	v_lshlrev_b32_e32 v50, 16, v81
	v_pk_fma_f32 v[6:7], v[66:67], v[34:35], v[6:7] op_sel_hi:[1,0,1]
	v_pk_fma_f32 v[4:5], v[20:21], v[34:35], v[4:5] op_sel_hi:[1,0,1]
	v_and_b32_e32 v80, 0xffff0000, v81
	v_pk_fma_f32 v[6:7], v[68:69], v[50:51], v[6:7] op_sel_hi:[1,0,1]
	v_pk_fma_f32 v[4:5], v[70:71], v[50:51], v[4:5] op_sel_hi:[1,0,1]
	s_waitcnt vmcnt(1)
	v_lshlrev_b32_e32 v56, 16, v82
	v_pk_fma_f32 v[6:7], v[22:23], v[80:81], v[6:7] op_sel_hi:[1,0,1]
	v_pk_fma_f32 v[2:3], v[2:3], v[80:81], v[4:5] op_sel_hi:[1,0,1]
	;; [unrolled: 13-line block ×3, first 2 shown]
	v_and_b32_e32 v62, 0xffff0000, v84
	v_pk_fma_f32 v[4:5], v[12:13], v[58:59], v[4:5] op_sel_hi:[1,0,1]
	v_pk_fma_f32 v[2:3], v[8:9], v[58:59], v[2:3] op_sel_hi:[1,0,1]
	v_lshlrev_b32_e32 v78, 16, v85
	v_pk_fma_f32 v[4:5], v[86:87], v[62:63], v[4:5] op_sel_hi:[1,0,1]
	v_pk_fma_f32 v[2:3], v[94:95], v[62:63], v[2:3] op_sel_hi:[1,0,1]
	v_and_b32_e32 v84, 0xffff0000, v85
	v_pk_fma_f32 v[4:5], v[88:89], v[78:79], v[4:5] op_sel_hi:[1,0,1]
	v_pk_fma_f32 v[2:3], v[96:97], v[78:79], v[2:3] op_sel_hi:[1,0,1]
	;; [unrolled: 1-line block ×4, first 2 shown]
	s_andn2_b64 exec, exec, s[14:15]
	s_cbranch_execnz .LBB114_21
; %bb.22:
	s_or_b64 exec, exec, s[14:15]
.LBB114_23:
	s_or_b64 exec, exec, s[10:11]
.LBB114_24:
	s_or_b64 exec, exec, s[8:9]
	s_cbranch_execz .LBB114_26
	s_branch .LBB114_37
.LBB114_25:
                                        ; implicit-def: $vgpr35
                                        ; implicit-def: $vgpr37
.LBB114_26:
	s_mov_b32 s8, 0
	v_mov_b32_e32 v35, 0
	v_mov_b32_e32 v34, 0
	;; [unrolled: 1-line block ×4, first 2 shown]
	s_and_saveexec_b64 s[2:3], s[0:1]
	s_cbranch_execz .LBB114_36
; %bb.27:
	v_or_b32_e32 v0, 64, v26
	v_mov_b32_e32 v1, s17
	v_subrev_co_u32_e32 v0, vcc, s20, v0
	v_subb_co_u32_e32 v1, vcc, 0, v1, vcc
	v_add_co_u32_e32 v0, vcc, v0, v38
	v_addc_co_u32_e32 v1, vcc, v1, v39, vcc
	v_cmp_gt_i64_e32 vcc, v[0:1], v[30:31]
	v_cndmask_b32_e32 v1, v31, v1, vcc
	v_cndmask_b32_e32 v0, v30, v0, vcc
	v_mov_b32_e32 v4, s17
	v_sub_co_u32_e32 v5, vcc, s20, v26
	v_not_b32_e32 v3, v38
	v_subbrev_co_u32_e32 v4, vcc, 0, v4, vcc
	v_not_b32_e32 v2, v39
	v_add_co_u32_e32 v3, vcc, v5, v3
	v_addc_co_u32_e32 v2, vcc, v4, v2, vcc
	v_add_co_u32_e32 v0, vcc, v3, v0
	v_addc_co_u32_e32 v1, vcc, v2, v1, vcc
	v_lshrrev_b32_e32 v2, 6, v0
	v_add_u32_e32 v2, 1, v2
	v_and_b32_e32 v2, 3, v2
	s_mov_b32 s9, s8
	v_cmp_ne_u32_e32 vcc, 0, v2
	v_pk_mov_b32 v[36:37], s[8:9], s[8:9] op_sel:[0,1]
	v_pk_mov_b32 v[34:35], s[8:9], s[8:9] op_sel:[0,1]
	s_and_saveexec_b64 s[8:9], vcc
	s_cbranch_execz .LBB114_31
; %bb.28:
	v_lshlrev_b64 v[4:5], 2, v[28:29]
	v_mov_b32_e32 v3, 0
	v_mov_b32_e32 v6, s13
	v_add_co_u32_e32 v4, vcc, s12, v4
	v_addc_co_u32_e32 v5, vcc, v6, v5, vcc
	v_lshlrev_b32_e32 v2, 3, v2
	s_mov_b64 s[10:11], 0
	v_mov_b32_e32 v6, s7
	s_movk_i32 s14, 0x800
	v_mov_b32_e32 v34, v3
	v_mov_b32_e32 v35, v3
	;; [unrolled: 1-line block ×4, first 2 shown]
.LBB114_29:                             ; =>This Inner Loop Header: Depth=1
	global_load_dword v7, v[4:5], off
	global_load_dwordx4 v[8:11], v[32:33], off
	v_add_co_u32_e64 v28, s[0:1], 64, v28
	v_addc_co_u32_e64 v29, s[0:1], 0, v29, s[0:1]
	v_add_co_u32_e64 v2, s[0:1], -8, v2
	v_addc_co_u32_e64 v3, s[0:1], -1, v3, s[0:1]
	v_cmp_eq_u64_e64 s[0:1], 0, v[2:3]
	s_or_b64 s[10:11], s[0:1], s[10:11]
	s_waitcnt vmcnt(1)
	v_subrev_u32_e32 v7, s20, v7
	v_lshlrev_b32_e32 v12, 2, v7
	v_ashrrev_i32_e32 v13, 31, v12
	v_lshlrev_b64 v[12:13], 1, v[12:13]
	v_add_co_u32_e32 v16, vcc, s6, v12
	v_addc_co_u32_e32 v17, vcc, v6, v13, vcc
	global_load_dwordx2 v[18:19], v[16:17], off
	global_load_dwordx4 v[12:15], v[32:33], off offset:16
	s_waitcnt vmcnt(2)
	v_and_b32_e32 v17, 0xffff0000, v8
	v_lshlrev_b32_e32 v16, 16, v8
	v_and_b32_e32 v21, 0xffff0000, v10
	v_lshlrev_b32_e32 v20, 16, v10
	;; [unrolled: 2-line block ×4, first 2 shown]
	v_add_co_u32_e32 v32, vcc, s14, v32
	v_addc_co_u32_e32 v33, vcc, 0, v33, vcc
	v_add_co_u32_e32 v4, vcc, 0x100, v4
	v_addc_co_u32_e32 v5, vcc, 0, v5, vcc
	s_waitcnt vmcnt(1)
	v_lshlrev_b32_e32 v42, 16, v19
	s_waitcnt vmcnt(0)
	v_and_b32_e32 v23, 0xffff0000, v12
	v_lshlrev_b32_e32 v22, 16, v12
	v_and_b32_e32 v11, 0xffff0000, v13
	v_lshlrev_b32_e32 v10, 16, v13
	;; [unrolled: 2-line block ×3, first 2 shown]
	v_lshlrev_b32_e32 v14, 16, v18
	v_and_b32_e32 v41, 0xffff0000, v15
	v_lshlrev_b32_e32 v40, 16, v15
	v_and_b32_e32 v18, 0xffff0000, v18
	v_pk_fma_f32 v[16:17], v[16:17], v[14:15], v[36:37] op_sel_hi:[1,0,1]
	v_pk_fma_f32 v[14:15], v[38:39], v[14:15], v[34:35] op_sel_hi:[1,0,1]
	;; [unrolled: 1-line block ×4, first 2 shown]
	v_and_b32_e32 v44, 0xffff0000, v19
	v_pk_fma_f32 v[14:15], v[22:23], v[42:43], v[16:17] op_sel_hi:[1,0,1]
	v_pk_fma_f32 v[8:9], v[10:11], v[42:43], v[8:9] op_sel_hi:[1,0,1]
	;; [unrolled: 1-line block ×4, first 2 shown]
	s_andn2_b64 exec, exec, s[10:11]
	s_cbranch_execnz .LBB114_29
; %bb.30:
	s_or_b64 exec, exec, s[10:11]
.LBB114_31:
	s_or_b64 exec, exec, s[8:9]
	s_mov_b64 s[0:1], 0xbf
	v_cmp_lt_u64_e32 vcc, s[0:1], v[0:1]
	s_and_saveexec_b64 s[8:9], vcc
	s_cbranch_execz .LBB114_35
; %bb.32:
	v_lshlrev_b64 v[0:1], 2, v[28:29]
	v_mov_b32_e32 v2, s13
	v_add_co_u32_e32 v0, vcc, s12, v0
	v_addc_co_u32_e32 v1, vcc, v1, v2, vcc
	v_add_co_u32_e32 v16, vcc, 0x200, v0
	v_addc_co_u32_e32 v17, vcc, 0, v1, vcc
	s_mov_b64 s[10:11], 0
	v_mov_b32_e32 v18, s7
	s_movk_i32 s7, 0x1000
.LBB114_33:                             ; =>This Inner Loop Header: Depth=1
	global_load_dwordx4 v[0:3], v[32:33], off
	global_load_dwordx4 v[4:7], v[32:33], off offset:16
	global_load_dwordx4 v[12:15], v[32:33], off offset:2048
	;; [unrolled: 1-line block ×3, first 2 shown]
	global_load_dword v19, v[16:17], off offset:-512
	global_load_dword v25, v[16:17], off offset:-256
	global_load_dword v27, v[16:17], off
	global_load_dword v68, v[16:17], off offset:256
	v_add_co_u32_e32 v50, vcc, s7, v32
	v_addc_co_u32_e32 v51, vcc, 0, v33, vcc
	v_add_co_u32_e32 v28, vcc, 0x100, v28
	v_addc_co_u32_e32 v29, vcc, 0, v29, vcc
	v_add_co_u32_e32 v16, vcc, 0x400, v16
	global_load_dwordx4 v[20:23], v[50:51], off
	global_load_dwordx4 v[38:41], v[50:51], off offset:16
	global_load_dwordx4 v[42:45], v[50:51], off offset:2048
	;; [unrolled: 1-line block ×3, first 2 shown]
	v_addc_co_u32_e32 v17, vcc, 0, v17, vcc
	v_add_co_u32_e32 v32, vcc, 0x2000, v32
	v_addc_co_u32_e32 v33, vcc, 0, v33, vcc
	v_cmp_ge_i64_e64 s[0:1], v[28:29], v[30:31]
	s_or_b64 s[10:11], s[0:1], s[10:11]
	s_waitcnt vmcnt(11)
	v_and_b32_e32 v51, 0xffff0000, v0
	v_lshlrev_b32_e32 v50, 16, v0
	v_and_b32_e32 v53, 0xffff0000, v2
	s_waitcnt vmcnt(8)
	v_and_b32_e32 v63, 0xffff0000, v8
	v_lshlrev_b32_e32 v62, 16, v8
	s_waitcnt vmcnt(7)
	v_subrev_u32_e32 v8, s20, v19
	v_lshlrev_b32_e32 v52, 16, v2
	v_and_b32_e32 v55, 0xffff0000, v4
	v_lshlrev_b32_e32 v54, 16, v4
	v_and_b32_e32 v57, 0xffff0000, v1
	;; [unrolled: 2-line block ×10, first 2 shown]
	v_lshlrev_b32_e32 v66, 16, v15
	s_waitcnt vmcnt(5)
	v_subrev_u32_e32 v15, s20, v27
	v_lshlrev_b32_e32 v14, 2, v8
	v_and_b32_e32 v65, 0xffff0000, v10
	v_lshlrev_b32_e32 v64, 16, v10
	v_subrev_u32_e32 v10, s20, v25
	v_lshlrev_b32_e32 v70, 2, v15
	v_ashrrev_i32_e32 v15, 31, v14
	s_waitcnt vmcnt(4)
	v_subrev_u32_e32 v19, s20, v68
	v_lshlrev_b32_e32 v68, 2, v10
	v_lshlrev_b64 v[14:15], 1, v[14:15]
	v_ashrrev_i32_e32 v69, 31, v68
	v_add_co_u32_e32 v14, vcc, s6, v14
	v_lshlrev_b64 v[68:69], 1, v[68:69]
	v_addc_co_u32_e32 v15, vcc, v18, v15, vcc
	v_ashrrev_i32_e32 v71, 31, v70
	v_add_co_u32_e32 v68, vcc, s6, v68
	v_lshlrev_b32_e32 v72, 2, v19
	v_lshlrev_b64 v[70:71], 1, v[70:71]
	v_addc_co_u32_e32 v69, vcc, v18, v69, vcc
	v_ashrrev_i32_e32 v73, 31, v72
	v_add_co_u32_e32 v70, vcc, s6, v70
	v_lshlrev_b64 v[72:73], 1, v[72:73]
	v_addc_co_u32_e32 v71, vcc, v18, v71, vcc
	v_add_co_u32_e32 v72, vcc, s6, v72
	v_addc_co_u32_e32 v73, vcc, v18, v73, vcc
	global_load_dwordx2 v[74:75], v[14:15], off
	global_load_dwordx2 v[76:77], v[68:69], off
	;; [unrolled: 1-line block ×4, first 2 shown]
	v_and_b32_e32 v15, 0xffff0000, v9
	v_lshlrev_b32_e32 v14, 16, v9
	v_and_b32_e32 v9, 0xffff0000, v11
	v_lshlrev_b32_e32 v8, 16, v11
	s_waitcnt vmcnt(7)
	v_and_b32_e32 v11, 0xffff0000, v20
	v_lshlrev_b32_e32 v10, 16, v20
	v_and_b32_e32 v69, 0xffff0000, v22
	v_lshlrev_b32_e32 v68, 16, v22
	v_and_b32_e32 v71, 0xffff0000, v21
	v_lshlrev_b32_e32 v70, 16, v21
	v_and_b32_e32 v21, 0xffff0000, v23
	v_lshlrev_b32_e32 v20, 16, v23
	s_waitcnt vmcnt(6)
	v_and_b32_e32 v23, 0xffff0000, v38
	v_lshlrev_b32_e32 v22, 16, v38
	v_and_b32_e32 v73, 0xffff0000, v40
	v_lshlrev_b32_e32 v72, 16, v40
	;; [unrolled: 9-line block ×4, first 2 shown]
	v_and_b32_e32 v47, 0xffff0000, v48
	v_lshlrev_b32_e32 v46, 16, v48
	v_and_b32_e32 v91, 0xffff0000, v49
	v_lshlrev_b32_e32 v90, 16, v49
	s_waitcnt vmcnt(3)
	v_lshlrev_b32_e32 v48, 16, v74
	v_and_b32_e32 v74, 0xffff0000, v74
	v_pk_fma_f32 v[36:37], v[50:51], v[48:49], v[36:37] op_sel_hi:[1,0,1]
	v_pk_fma_f32 v[34:35], v[56:57], v[48:49], v[34:35] op_sel_hi:[1,0,1]
	v_lshlrev_b32_e32 v92, 16, v75
	v_pk_fma_f32 v[36:37], v[52:53], v[74:75], v[36:37] op_sel_hi:[1,0,1]
	v_pk_fma_f32 v[0:1], v[0:1], v[74:75], v[34:35] op_sel_hi:[1,0,1]
	v_and_b32_e32 v94, 0xffff0000, v75
	v_pk_fma_f32 v[36:37], v[54:55], v[92:93], v[36:37] op_sel_hi:[1,0,1]
	v_pk_fma_f32 v[0:1], v[2:3], v[92:93], v[0:1] op_sel_hi:[1,0,1]
	s_waitcnt vmcnt(2)
	v_lshlrev_b32_e32 v50, 16, v76
	v_pk_fma_f32 v[4:5], v[4:5], v[94:95], v[36:37] op_sel_hi:[1,0,1]
	v_pk_fma_f32 v[0:1], v[58:59], v[94:95], v[0:1] op_sel_hi:[1,0,1]
	v_and_b32_e32 v48, 0xffff0000, v76
	v_pk_fma_f32 v[4:5], v[6:7], v[50:51], v[4:5] op_sel_hi:[1,0,1]
	v_pk_fma_f32 v[0:1], v[60:61], v[50:51], v[0:1] op_sel_hi:[1,0,1]
	v_lshlrev_b32_e32 v56, 16, v77
	v_pk_fma_f32 v[4:5], v[12:13], v[48:49], v[4:5] op_sel_hi:[1,0,1]
	v_pk_fma_f32 v[0:1], v[66:67], v[48:49], v[0:1] op_sel_hi:[1,0,1]
	v_and_b32_e32 v76, 0xffff0000, v77
	v_pk_fma_f32 v[4:5], v[62:63], v[56:57], v[4:5] op_sel_hi:[1,0,1]
	v_pk_fma_f32 v[0:1], v[14:15], v[56:57], v[0:1] op_sel_hi:[1,0,1]
	s_waitcnt vmcnt(1)
	v_lshlrev_b32_e32 v52, 16, v78
	v_pk_fma_f32 v[4:5], v[64:65], v[76:77], v[4:5] op_sel_hi:[1,0,1]
	v_pk_fma_f32 v[0:1], v[8:9], v[76:77], v[0:1] op_sel_hi:[1,0,1]
	v_and_b32_e32 v34, 0xffff0000, v78
	v_pk_fma_f32 v[4:5], v[10:11], v[52:53], v[4:5] op_sel_hi:[1,0,1]
	v_pk_fma_f32 v[0:1], v[70:71], v[52:53], v[0:1] op_sel_hi:[1,0,1]
	v_lshlrev_b32_e32 v74, 16, v79
	v_pk_fma_f32 v[4:5], v[68:69], v[34:35], v[4:5] op_sel_hi:[1,0,1]
	v_pk_fma_f32 v[0:1], v[20:21], v[34:35], v[0:1] op_sel_hi:[1,0,1]
	v_and_b32_e32 v78, 0xffff0000, v79
	v_pk_fma_f32 v[4:5], v[22:23], v[74:75], v[4:5] op_sel_hi:[1,0,1]
	v_pk_fma_f32 v[0:1], v[82:83], v[74:75], v[0:1] op_sel_hi:[1,0,1]
	s_waitcnt vmcnt(0)
	v_lshlrev_b32_e32 v54, 16, v80
	v_pk_fma_f32 v[4:5], v[72:73], v[78:79], v[4:5] op_sel_hi:[1,0,1]
	v_pk_fma_f32 v[0:1], v[38:39], v[78:79], v[0:1] op_sel_hi:[1,0,1]
	v_and_b32_e32 v2, 0xffff0000, v80
	v_pk_fma_f32 v[4:5], v[40:41], v[54:55], v[4:5] op_sel_hi:[1,0,1]
	v_pk_fma_f32 v[0:1], v[86:87], v[54:55], v[0:1] op_sel_hi:[1,0,1]
	v_lshlrev_b32_e32 v80, 16, v81
	v_pk_fma_f32 v[4:5], v[84:85], v[2:3], v[4:5] op_sel_hi:[1,0,1]
	v_pk_fma_f32 v[0:1], v[42:43], v[2:3], v[0:1] op_sel_hi:[1,0,1]
	v_and_b32_e32 v92, 0xffff0000, v81
	v_pk_fma_f32 v[2:3], v[44:45], v[80:81], v[4:5] op_sel_hi:[1,0,1]
	v_pk_fma_f32 v[0:1], v[88:89], v[80:81], v[0:1] op_sel_hi:[1,0,1]
	v_pk_fma_f32 v[36:37], v[46:47], v[92:93], v[2:3] op_sel_hi:[1,0,1]
	v_pk_fma_f32 v[34:35], v[90:91], v[92:93], v[0:1] op_sel_hi:[1,0,1]
	s_andn2_b64 exec, exec, s[10:11]
	s_cbranch_execnz .LBB114_33
; %bb.34:
	s_or_b64 exec, exec, s[10:11]
.LBB114_35:
	s_or_b64 exec, exec, s[8:9]
.LBB114_36:
	s_or_b64 exec, exec, s[2:3]
.LBB114_37:
	v_mov_b32_dpp v0, v36 row_shr:1 row_mask:0xf bank_mask:0xf
	v_mov_b32_dpp v1, v37 row_shr:1 row_mask:0xf bank_mask:0xf
	;; [unrolled: 1-line block ×4, first 2 shown]
	v_pk_add_f32 v[0:1], v[36:37], v[0:1]
	v_pk_add_f32 v[4:5], v[34:35], v[4:5]
	v_cmp_eq_u32_e32 vcc, 63, v26
	v_mov_b32_dpp v2, v0 row_shr:2 row_mask:0xf bank_mask:0xf
	v_mov_b32_dpp v3, v1 row_shr:2 row_mask:0xf bank_mask:0xf
	v_mov_b32_dpp v6, v4 row_shr:2 row_mask:0xf bank_mask:0xf
	v_mov_b32_dpp v7, v5 row_shr:2 row_mask:0xf bank_mask:0xf
	v_pk_add_f32 v[0:1], v[0:1], v[2:3]
	v_pk_add_f32 v[4:5], v[4:5], v[6:7]
	s_nop 0
	v_mov_b32_dpp v2, v0 row_shr:4 row_mask:0xf bank_mask:0xe
	v_mov_b32_dpp v3, v1 row_shr:4 row_mask:0xf bank_mask:0xe
	v_mov_b32_dpp v6, v4 row_shr:4 row_mask:0xf bank_mask:0xe
	v_mov_b32_dpp v7, v5 row_shr:4 row_mask:0xf bank_mask:0xe
	v_pk_add_f32 v[0:1], v[0:1], v[2:3]
	v_pk_add_f32 v[4:5], v[4:5], v[6:7]
	s_nop 0
	;; [unrolled: 7-line block ×3, first 2 shown]
	v_mov_b32_dpp v2, v0 row_bcast:15 row_mask:0xa bank_mask:0xf
	v_mov_b32_dpp v3, v1 row_bcast:15 row_mask:0xa bank_mask:0xf
	;; [unrolled: 1-line block ×4, first 2 shown]
	v_pk_add_f32 v[0:1], v[0:1], v[2:3]
	v_pk_add_f32 v[4:5], v[4:5], v[6:7]
	s_nop 0
	v_mov_b32_dpp v2, v0 row_bcast:31 row_mask:0xc bank_mask:0xf
	v_mov_b32_dpp v3, v1 row_bcast:31 row_mask:0xc bank_mask:0xf
	;; [unrolled: 1-line block ×4, first 2 shown]
	s_and_b64 exec, exec, vcc
	s_cbranch_execz .LBB114_10
; %bb.38:
	s_load_dwordx2 s[0:1], s[4:5], 0x50
	v_cmp_eq_f32_e64 s[2:3], s18, 0
	v_pk_add_f32 v[2:3], v[0:1], v[2:3]
	v_pk_add_f32 v[0:1], v[4:5], v[6:7]
	s_and_b64 vcc, exec, s[2:3]
	v_lshlrev_b32_e32 v4, 2, v24
	s_cbranch_vccz .LBB114_40
; %bb.39:
	v_ashrrev_i32_e32 v5, 31, v4
	v_lshlrev_b64 v[6:7], 2, v[4:5]
	s_waitcnt lgkmcnt(0)
	v_mov_b32_e32 v5, s1
	v_add_co_u32_e32 v10, vcc, s0, v6
	v_addc_co_u32_e32 v11, vcc, v5, v7, vcc
	v_pk_mul_f32 v[6:7], s[16:17], v[2:3] op_sel_hi:[0,1]
	v_pk_mul_f32 v[8:9], s[16:17], v[0:1] op_sel_hi:[0,1]
	global_store_dwordx4 v[10:11], v[6:9], off
	s_cbranch_execnz .LBB114_10
	s_branch .LBB114_41
.LBB114_40:
.LBB114_41:
	v_ashrrev_i32_e32 v5, 31, v4
	v_lshlrev_b64 v[4:5], 2, v[4:5]
	s_waitcnt lgkmcnt(0)
	v_mov_b32_e32 v6, s1
	v_add_co_u32_e32 v8, vcc, s0, v4
	v_addc_co_u32_e32 v9, vcc, v6, v5, vcc
	global_load_dwordx4 v[4:7], v[8:9], off
	v_pk_mul_f32 v[2:3], s[16:17], v[2:3] op_sel_hi:[0,1]
	v_pk_mul_f32 v[10:11], s[16:17], v[0:1] op_sel_hi:[0,1]
	s_waitcnt vmcnt(0)
	v_pk_fma_f32 v[0:1], s[18:19], v[4:5], v[2:3] op_sel_hi:[0,1,1]
	v_pk_fma_f32 v[2:3], s[18:19], v[6:7], v[10:11] op_sel_hi:[0,1,1]
	global_store_dwordx4 v[8:9], v[0:3], off
	s_endpgm
	.section	.rodata,"a",@progbits
	.p2align	6, 0x0
	.amdhsa_kernel _ZN9rocsparseL18bsrxmvn_4x4_kernelILj128ELj64Efli18rocsparse_bfloat16S1_fEEvT3_20rocsparse_direction_NS_24const_host_device_scalarIT1_EES2_PKS2_PKT2_SB_S8_PKT4_PKT5_S6_PT6_21rocsparse_index_base_b
		.amdhsa_group_segment_fixed_size 0
		.amdhsa_private_segment_fixed_size 0
		.amdhsa_kernarg_size 96
		.amdhsa_user_sgpr_count 6
		.amdhsa_user_sgpr_private_segment_buffer 1
		.amdhsa_user_sgpr_dispatch_ptr 0
		.amdhsa_user_sgpr_queue_ptr 0
		.amdhsa_user_sgpr_kernarg_segment_ptr 1
		.amdhsa_user_sgpr_dispatch_id 0
		.amdhsa_user_sgpr_flat_scratch_init 0
		.amdhsa_user_sgpr_kernarg_preload_length 0
		.amdhsa_user_sgpr_kernarg_preload_offset 0
		.amdhsa_user_sgpr_private_segment_size 0
		.amdhsa_uses_dynamic_stack 0
		.amdhsa_system_sgpr_private_segment_wavefront_offset 0
		.amdhsa_system_sgpr_workgroup_id_x 1
		.amdhsa_system_sgpr_workgroup_id_y 0
		.amdhsa_system_sgpr_workgroup_id_z 0
		.amdhsa_system_sgpr_workgroup_info 0
		.amdhsa_system_vgpr_workitem_id 0
		.amdhsa_next_free_vgpr 100
		.amdhsa_next_free_sgpr 22
		.amdhsa_accum_offset 100
		.amdhsa_reserve_vcc 1
		.amdhsa_reserve_flat_scratch 0
		.amdhsa_float_round_mode_32 0
		.amdhsa_float_round_mode_16_64 0
		.amdhsa_float_denorm_mode_32 3
		.amdhsa_float_denorm_mode_16_64 3
		.amdhsa_dx10_clamp 1
		.amdhsa_ieee_mode 1
		.amdhsa_fp16_overflow 0
		.amdhsa_tg_split 0
		.amdhsa_exception_fp_ieee_invalid_op 0
		.amdhsa_exception_fp_denorm_src 0
		.amdhsa_exception_fp_ieee_div_zero 0
		.amdhsa_exception_fp_ieee_overflow 0
		.amdhsa_exception_fp_ieee_underflow 0
		.amdhsa_exception_fp_ieee_inexact 0
		.amdhsa_exception_int_div_zero 0
	.end_amdhsa_kernel
	.section	.text._ZN9rocsparseL18bsrxmvn_4x4_kernelILj128ELj64Efli18rocsparse_bfloat16S1_fEEvT3_20rocsparse_direction_NS_24const_host_device_scalarIT1_EES2_PKS2_PKT2_SB_S8_PKT4_PKT5_S6_PT6_21rocsparse_index_base_b,"axG",@progbits,_ZN9rocsparseL18bsrxmvn_4x4_kernelILj128ELj64Efli18rocsparse_bfloat16S1_fEEvT3_20rocsparse_direction_NS_24const_host_device_scalarIT1_EES2_PKS2_PKT2_SB_S8_PKT4_PKT5_S6_PT6_21rocsparse_index_base_b,comdat
.Lfunc_end114:
	.size	_ZN9rocsparseL18bsrxmvn_4x4_kernelILj128ELj64Efli18rocsparse_bfloat16S1_fEEvT3_20rocsparse_direction_NS_24const_host_device_scalarIT1_EES2_PKS2_PKT2_SB_S8_PKT4_PKT5_S6_PT6_21rocsparse_index_base_b, .Lfunc_end114-_ZN9rocsparseL18bsrxmvn_4x4_kernelILj128ELj64Efli18rocsparse_bfloat16S1_fEEvT3_20rocsparse_direction_NS_24const_host_device_scalarIT1_EES2_PKS2_PKT2_SB_S8_PKT4_PKT5_S6_PT6_21rocsparse_index_base_b
                                        ; -- End function
	.section	.AMDGPU.csdata,"",@progbits
; Kernel info:
; codeLenInByte = 4384
; NumSgprs: 26
; NumVgprs: 100
; NumAgprs: 0
; TotalNumVgprs: 100
; ScratchSize: 0
; MemoryBound: 0
; FloatMode: 240
; IeeeMode: 1
; LDSByteSize: 0 bytes/workgroup (compile time only)
; SGPRBlocks: 3
; VGPRBlocks: 12
; NumSGPRsForWavesPerEU: 26
; NumVGPRsForWavesPerEU: 100
; AccumOffset: 100
; Occupancy: 4
; WaveLimiterHint : 1
; COMPUTE_PGM_RSRC2:SCRATCH_EN: 0
; COMPUTE_PGM_RSRC2:USER_SGPR: 6
; COMPUTE_PGM_RSRC2:TRAP_HANDLER: 0
; COMPUTE_PGM_RSRC2:TGID_X_EN: 1
; COMPUTE_PGM_RSRC2:TGID_Y_EN: 0
; COMPUTE_PGM_RSRC2:TGID_Z_EN: 0
; COMPUTE_PGM_RSRC2:TIDIG_COMP_CNT: 0
; COMPUTE_PGM_RSRC3_GFX90A:ACCUM_OFFSET: 24
; COMPUTE_PGM_RSRC3_GFX90A:TG_SPLIT: 0
	.section	.text._ZN9rocsparseL18bsrxmvn_4x4_kernelILj128ELj4Efll18rocsparse_bfloat16S1_fEEvT3_20rocsparse_direction_NS_24const_host_device_scalarIT1_EES2_PKS2_PKT2_SB_S8_PKT4_PKT5_S6_PT6_21rocsparse_index_base_b,"axG",@progbits,_ZN9rocsparseL18bsrxmvn_4x4_kernelILj128ELj4Efll18rocsparse_bfloat16S1_fEEvT3_20rocsparse_direction_NS_24const_host_device_scalarIT1_EES2_PKS2_PKT2_SB_S8_PKT4_PKT5_S6_PT6_21rocsparse_index_base_b,comdat
	.globl	_ZN9rocsparseL18bsrxmvn_4x4_kernelILj128ELj4Efll18rocsparse_bfloat16S1_fEEvT3_20rocsparse_direction_NS_24const_host_device_scalarIT1_EES2_PKS2_PKT2_SB_S8_PKT4_PKT5_S6_PT6_21rocsparse_index_base_b ; -- Begin function _ZN9rocsparseL18bsrxmvn_4x4_kernelILj128ELj4Efll18rocsparse_bfloat16S1_fEEvT3_20rocsparse_direction_NS_24const_host_device_scalarIT1_EES2_PKS2_PKT2_SB_S8_PKT4_PKT5_S6_PT6_21rocsparse_index_base_b
	.p2align	8
	.type	_ZN9rocsparseL18bsrxmvn_4x4_kernelILj128ELj4Efll18rocsparse_bfloat16S1_fEEvT3_20rocsparse_direction_NS_24const_host_device_scalarIT1_EES2_PKS2_PKT2_SB_S8_PKT4_PKT5_S6_PT6_21rocsparse_index_base_b,@function
_ZN9rocsparseL18bsrxmvn_4x4_kernelILj128ELj4Efll18rocsparse_bfloat16S1_fEEvT3_20rocsparse_direction_NS_24const_host_device_scalarIT1_EES2_PKS2_PKT2_SB_S8_PKT4_PKT5_S6_PT6_21rocsparse_index_base_b: ; @_ZN9rocsparseL18bsrxmvn_4x4_kernelILj128ELj4Efll18rocsparse_bfloat16S1_fEEvT3_20rocsparse_direction_NS_24const_host_device_scalarIT1_EES2_PKS2_PKT2_SB_S8_PKT4_PKT5_S6_PT6_21rocsparse_index_base_b
; %bb.0:
	s_load_dwordx2 s[22:23], s[4:5], 0x60
	s_load_dwordx4 s[16:19], s[4:5], 0x10
	s_load_dwordx2 s[20:21], s[4:5], 0x50
	s_waitcnt lgkmcnt(0)
	s_bitcmp1_b32 s23, 0
	s_cselect_b64 s[2:3], -1, 0
	s_xor_b64 s[0:1], s[2:3], -1
	s_and_b64 vcc, exec, s[2:3]
	s_cbranch_vccnz .LBB115_2
; %bb.1:
	s_load_dword s16, s[16:17], 0x0
.LBB115_2:
	s_andn2_b64 vcc, exec, s[0:1]
	s_cbranch_vccnz .LBB115_4
; %bb.3:
	s_load_dword s20, s[20:21], 0x0
.LBB115_4:
	s_waitcnt lgkmcnt(0)
	v_cmp_neq_f32_e64 s[0:1], s16, 0
	v_cmp_neq_f32_e64 s[2:3], s20, 1.0
	s_or_b64 s[0:1], s[0:1], s[2:3]
	s_andn2_b64 vcc, exec, s[0:1]
	s_cbranch_vccnz .LBB115_10
; %bb.5:
	s_load_dwordx2 s[2:3], s[4:5], 0x20
	v_lshrrev_b32_e32 v1, 2, v0
	v_lshl_or_b32 v2, s6, 5, v1
	v_mov_b32_e32 v3, 0
	s_mov_b64 s[0:1], 0
	s_waitcnt lgkmcnt(0)
	s_cmp_lg_u64 s[2:3], 0
	s_cbranch_scc0 .LBB115_11
; %bb.6:
	v_cmp_gt_i64_e32 vcc, s[18:19], v[2:3]
                                        ; implicit-def: $vgpr20_vgpr21
	s_and_saveexec_b64 s[6:7], vcc
	s_xor_b64 s[6:7], exec, s[6:7]
                                        ; implicit-def: $sgpr18_sgpr19
	s_cbranch_execz .LBB115_8
; %bb.7:
	v_lshlrev_b64 v[4:5], 3, v[2:3]
	v_mov_b32_e32 v1, s3
	v_add_co_u32_e32 v4, vcc, s2, v4
	v_addc_co_u32_e32 v5, vcc, v1, v5, vcc
	global_load_dwordx2 v[4:5], v[4:5], off
	s_mov_b64 s[0:1], exec
	s_mov_b32 s19, 0
	s_waitcnt vmcnt(0)
	v_subrev_co_u32_e32 v20, vcc, s22, v4
	v_subbrev_co_u32_e32 v21, vcc, 0, v5, vcc
.LBB115_8:
	s_or_b64 exec, exec, s[6:7]
.LBB115_9:
	s_and_saveexec_b64 s[2:3], s[0:1]
	s_cbranch_execnz .LBB115_15
.LBB115_10:
	s_endpgm
.LBB115_11:
                                        ; implicit-def: $vgpr20_vgpr21
                                        ; implicit-def: $sgpr18_sgpr19
	s_cbranch_execz .LBB115_9
; %bb.12:
	s_load_dwordx2 s[2:3], s[4:5], 0x0
                                        ; implicit-def: $vgpr20_vgpr21
	s_waitcnt lgkmcnt(0)
	v_cmp_gt_i64_e32 vcc, s[2:3], v[2:3]
	s_and_saveexec_b64 s[2:3], vcc
                                        ; implicit-def: $sgpr18_sgpr19
; %bb.13:
	s_mov_b32 s19, 0
	s_or_b64 s[0:1], s[0:1], exec
	v_pk_mov_b32 v[20:21], v[2:3], v[2:3] op_sel:[0,1]
; %bb.14:
	s_or_b64 exec, exec, s[2:3]
	s_and_saveexec_b64 s[2:3], s[0:1]
	s_cbranch_execz .LBB115_10
.LBB115_15:
	s_load_dwordx8 s[8:15], s[4:5], 0x28
	v_lshlrev_b64 v[2:3], 3, v[20:21]
	v_and_b32_e32 v22, 3, v0
	v_mov_b32_e32 v0, s19
	v_mov_b32_e32 v31, 0
	s_waitcnt lgkmcnt(0)
	v_mov_b32_e32 v1, s9
	v_add_co_u32_e32 v4, vcc, s8, v2
	v_addc_co_u32_e32 v5, vcc, v1, v3, vcc
	v_add_co_u32_e32 v1, vcc, 8, v4
	global_load_dwordx2 v[34:35], v[4:5], off
	v_addc_co_u32_e32 v4, vcc, 0, v5, vcc
	v_mov_b32_e32 v5, s11
	v_add_co_u32_e32 v2, vcc, s10, v2
	s_cmp_eq_u64 s[10:11], 0
	v_addc_co_u32_e32 v3, vcc, v5, v3, vcc
	s_cselect_b64 vcc, -1, 0
	v_cndmask_b32_e32 v3, v3, v4, vcc
	v_cndmask_b32_e32 v2, v2, v1, vcc
	global_load_dwordx2 v[2:3], v[2:3], off
	s_load_dwordx2 s[6:7], s[4:5], 0x48
	s_load_dword s0, s[4:5], 0x8
	v_mov_b32_e32 v4, s15
	s_waitcnt lgkmcnt(0)
	s_cmp_eq_u32 s0, 1
	s_waitcnt vmcnt(1)
	v_subrev_co_u32_e32 v1, vcc, s22, v34
	v_subb_co_u32_e32 v5, vcc, v35, v0, vcc
	v_add_co_u32_e32 v24, vcc, v1, v22
	v_addc_co_u32_e32 v25, vcc, 0, v5, vcc
	s_waitcnt vmcnt(0)
	v_subrev_co_u32_e32 v26, vcc, s22, v2
	v_subb_co_u32_e32 v27, vcc, v3, v0, vcc
	v_lshlrev_b64 v[0:1], 5, v[24:25]
	v_add_co_u32_e32 v28, vcc, s14, v0
	v_addc_co_u32_e32 v29, vcc, v4, v1, vcc
	v_cmp_lt_i64_e64 s[0:1], v[24:25], v[26:27]
	s_cbranch_scc1 .LBB115_27
; %bb.16:
	v_mov_b32_e32 v30, 0
	v_mov_b32_e32 v33, 0
	;; [unrolled: 1-line block ×3, first 2 shown]
	s_and_saveexec_b64 s[8:9], s[0:1]
	s_cbranch_execz .LBB115_26
; %bb.17:
	v_or_b32_e32 v0, 4, v22
	v_mov_b32_e32 v1, s19
	v_subrev_co_u32_e32 v0, vcc, s22, v0
	v_subb_co_u32_e32 v1, vcc, 0, v1, vcc
	v_add_co_u32_e32 v0, vcc, v0, v34
	v_addc_co_u32_e32 v1, vcc, v1, v35, vcc
	v_cmp_gt_i64_e32 vcc, v[0:1], v[26:27]
	v_cndmask_b32_e32 v1, v27, v1, vcc
	v_cndmask_b32_e32 v0, v26, v0, vcc
	v_mov_b32_e32 v4, s19
	v_sub_co_u32_e32 v5, vcc, s22, v22
	v_not_b32_e32 v3, v34
	v_subbrev_co_u32_e32 v4, vcc, 0, v4, vcc
	v_not_b32_e32 v2, v35
	v_add_co_u32_e32 v3, vcc, v5, v3
	v_addc_co_u32_e32 v2, vcc, v4, v2, vcc
	v_add_co_u32_e32 v0, vcc, v3, v0
	v_addc_co_u32_e32 v1, vcc, v2, v1, vcc
	v_lshrrev_b32_e32 v2, 2, v0
	v_add_u32_e32 v2, 1, v2
	v_and_b32_e32 v2, 3, v2
	v_mov_b32_e32 v32, 0
	v_cmp_ne_u32_e32 vcc, 0, v2
	v_mov_b32_e32 v33, v32
	v_mov_b32_e32 v30, v32
	;; [unrolled: 1-line block ×3, first 2 shown]
	v_pk_mov_b32 v[36:37], v[24:25], v[24:25] op_sel:[0,1]
	v_pk_mov_b32 v[38:39], v[28:29], v[28:29] op_sel:[0,1]
	s_and_saveexec_b64 s[2:3], vcc
	s_cbranch_execz .LBB115_21
; %bb.18:
	v_lshlrev_b64 v[4:5], 3, v[24:25]
	v_mov_b32_e32 v3, 0
	v_mov_b32_e32 v6, s13
	v_add_co_u32_e32 v4, vcc, s12, v4
	v_addc_co_u32_e32 v5, vcc, v6, v5, vcc
	v_lshlrev_b32_e32 v2, 2, v2
	s_mov_b64 s[10:11], 0
	v_mov_b32_e32 v6, s19
	v_mov_b32_e32 v7, s7
	s_movk_i32 s14, 0x80
	v_pk_mov_b32 v[38:39], v[28:29], v[28:29] op_sel:[0,1]
	v_pk_mov_b32 v[36:37], v[24:25], v[24:25] op_sel:[0,1]
	v_mov_b32_e32 v32, v3
	v_mov_b32_e32 v33, v3
	;; [unrolled: 1-line block ×4, first 2 shown]
.LBB115_19:                             ; =>This Inner Loop Header: Depth=1
	global_load_dwordx2 v[16:17], v[4:5], off
	global_load_dwordx4 v[8:11], v[38:39], off
	global_load_dwordx4 v[12:15], v[38:39], off offset:16
	s_waitcnt vmcnt(2)
	v_subrev_co_u32_e32 v16, vcc, s22, v16
	v_subb_co_u32_e32 v17, vcc, v17, v6, vcc
	v_lshlrev_b64 v[16:17], 3, v[16:17]
	v_add_co_u32_e32 v16, vcc, s6, v16
	v_addc_co_u32_e32 v17, vcc, v7, v17, vcc
	global_load_dwordx2 v[16:17], v[16:17], off
	v_add_co_u32_e32 v38, vcc, s14, v38
	v_addc_co_u32_e32 v39, vcc, 0, v39, vcc
	v_add_co_u32_e32 v36, vcc, 4, v36
	v_addc_co_u32_e32 v37, vcc, 0, v37, vcc
	;; [unrolled: 2-line block ×3, first 2 shown]
	s_waitcnt vmcnt(2)
	v_lshlrev_b32_e32 v18, 16, v8
	v_lshlrev_b32_e32 v19, 16, v10
	v_and_b32_e32 v41, 0xffff0000, v10
	v_and_b32_e32 v40, 0xffff0000, v8
	v_lshlrev_b32_e32 v42, 16, v9
	v_and_b32_e32 v10, 0xffff0000, v9
	s_waitcnt vmcnt(1)
	v_lshlrev_b32_e32 v8, 16, v12
	v_lshlrev_b32_e32 v9, 16, v14
	v_and_b32_e32 v44, 0xffff0000, v12
	v_add_co_u32_e32 v2, vcc, -4, v2
	v_and_b32_e32 v45, 0xffff0000, v14
	v_addc_co_u32_e32 v3, vcc, -1, v3, vcc
	v_lshlrev_b32_e32 v43, 16, v11
	v_lshlrev_b32_e32 v47, 16, v15
	v_lshlrev_b32_e32 v46, 16, v13
	v_and_b32_e32 v14, 0xffff0000, v13
	v_cmp_eq_u64_e32 vcc, 0, v[2:3]
	v_and_b32_e32 v11, 0xffff0000, v11
	v_and_b32_e32 v15, 0xffff0000, v15
	s_or_b64 s[10:11], vcc, s[10:11]
	s_waitcnt vmcnt(0)
	v_lshlrev_b32_e32 v12, 16, v16
	v_and_b32_e32 v16, 0xffff0000, v16
	v_pk_fma_f32 v[18:19], v[18:19], v[12:13], v[32:33] op_sel_hi:[1,0,1]
	v_pk_fma_f32 v[8:9], v[8:9], v[12:13], v[30:31] op_sel_hi:[1,0,1]
	v_lshlrev_b32_e32 v48, 16, v17
	v_pk_fma_f32 v[12:13], v[40:41], v[16:17], v[18:19] op_sel_hi:[1,0,1]
	v_pk_fma_f32 v[8:9], v[44:45], v[16:17], v[8:9] op_sel_hi:[1,0,1]
	v_and_b32_e32 v50, 0xffff0000, v17
	v_pk_fma_f32 v[12:13], v[42:43], v[48:49], v[12:13] op_sel_hi:[1,0,1]
	v_pk_fma_f32 v[8:9], v[46:47], v[48:49], v[8:9] op_sel_hi:[1,0,1]
	;; [unrolled: 1-line block ×4, first 2 shown]
	s_andn2_b64 exec, exec, s[10:11]
	s_cbranch_execnz .LBB115_19
; %bb.20:
	s_or_b64 exec, exec, s[10:11]
.LBB115_21:
	s_or_b64 exec, exec, s[2:3]
	v_cmp_lt_u64_e32 vcc, 11, v[0:1]
	s_and_saveexec_b64 s[10:11], vcc
	s_cbranch_execz .LBB115_25
; %bb.22:
	v_lshlrev_b64 v[0:1], 3, v[36:37]
	v_mov_b32_e32 v2, s13
	v_add_co_u32_e32 v0, vcc, s12, v0
	v_addc_co_u32_e32 v1, vcc, v1, v2, vcc
	v_add_co_u32_e32 v40, vcc, 64, v0
	v_addc_co_u32_e32 v41, vcc, 0, v1, vcc
	s_mov_b64 s[14:15], 0
	v_mov_b32_e32 v23, s19
	v_mov_b32_e32 v46, s7
.LBB115_23:                             ; =>This Inner Loop Header: Depth=1
	global_load_dwordx2 v[60:61], v[40:41], off offset:-64
	global_load_dwordx4 v[4:7], v[38:39], off
	global_load_dwordx4 v[0:3], v[38:39], off offset:16
	global_load_dwordx2 v[44:45], v[40:41], off offset:-32
	global_load_dwordx2 v[42:43], v[40:41], off
	global_load_dwordx4 v[8:11], v[38:39], off offset:256
	global_load_dwordx4 v[12:15], v[38:39], off offset:128
	;; [unrolled: 1-line block ×3, first 2 shown]
	global_load_dwordx2 v[62:63], v[40:41], off offset:32
	global_load_dwordx4 v[48:51], v[38:39], off offset:144
	global_load_dwordx4 v[52:55], v[38:39], off offset:384
	;; [unrolled: 1-line block ×3, first 2 shown]
	v_add_co_u32_e32 v36, vcc, 16, v36
	v_addc_co_u32_e32 v37, vcc, 0, v37, vcc
	v_add_co_u32_e32 v40, vcc, 0x80, v40
	v_addc_co_u32_e32 v41, vcc, 0, v41, vcc
	;; [unrolled: 2-line block ×3, first 2 shown]
	v_cmp_ge_i64_e64 s[2:3], v[36:37], v[26:27]
	s_or_b64 s[14:15], s[2:3], s[14:15]
	s_waitcnt vmcnt(11)
	v_subrev_co_u32_e32 v60, vcc, s22, v60
	v_subb_co_u32_e32 v61, vcc, v61, v23, vcc
	s_waitcnt vmcnt(8)
	v_subrev_co_u32_e32 v44, vcc, s22, v44
	v_subb_co_u32_e32 v45, vcc, v45, v23, vcc
	;; [unrolled: 3-line block ×4, first 2 shown]
	v_lshlrev_b64 v[60:61], 3, v[60:61]
	v_add_co_u32_e32 v60, vcc, s6, v60
	v_lshlrev_b64 v[44:45], 3, v[44:45]
	v_addc_co_u32_e32 v61, vcc, v46, v61, vcc
	v_add_co_u32_e32 v44, vcc, s6, v44
	v_lshlrev_b64 v[42:43], 3, v[42:43]
	v_addc_co_u32_e32 v45, vcc, v46, v45, vcc
	;; [unrolled: 3-line block ×3, first 2 shown]
	v_add_co_u32_e32 v62, vcc, s6, v62
	v_addc_co_u32_e32 v63, vcc, v46, v63, vcc
	global_load_dwordx2 v[82:83], v[60:61], off
	global_load_dwordx2 v[84:85], v[44:45], off
	;; [unrolled: 1-line block ×4, first 2 shown]
	v_lshlrev_b32_e32 v64, 16, v4
	v_lshlrev_b32_e32 v65, 16, v6
	;; [unrolled: 1-line block ×4, first 2 shown]
	v_and_b32_e32 v71, 0xffff0000, v6
	v_lshlrev_b32_e32 v72, 16, v5
	v_and_b32_e32 v6, 0xffff0000, v5
	v_lshlrev_b32_e32 v5, 16, v14
	;; [unrolled: 2-line block ×5, first 2 shown]
	v_and_b32_e32 v69, 0xffff0000, v11
	v_and_b32_e32 v11, 0xffff0000, v2
	;; [unrolled: 1-line block ×3, first 2 shown]
	v_lshlrev_b32_e32 v42, 16, v1
	v_and_b32_e32 v2, 0xffff0000, v1
	s_waitcnt vmcnt(6)
	v_lshlrev_b32_e32 v1, 16, v50
	v_lshlrev_b32_e32 v0, 16, v48
	v_and_b32_e32 v45, 0xffff0000, v50
	v_and_b32_e32 v44, 0xffff0000, v48
	v_lshlrev_b32_e32 v60, 16, v49
	v_and_b32_e32 v50, 0xffff0000, v49
	v_lshlrev_b32_e32 v49, 16, v18
	v_lshlrev_b32_e32 v48, 16, v16
	v_and_b32_e32 v63, 0xffff0000, v18
	v_and_b32_e32 v62, 0xffff0000, v16
	s_waitcnt vmcnt(5)
	v_lshlrev_b32_e32 v16, 16, v52
	v_and_b32_e32 v18, 0xffff0000, v52
	s_waitcnt vmcnt(4)
	v_lshlrev_b32_e32 v52, 16, v56
	v_and_b32_e32 v94, 0xffff0000, v56
	v_and_b32_e32 v70, 0xffff0000, v4
	v_lshlrev_b32_e32 v73, 16, v7
	v_lshlrev_b32_e32 v43, 16, v3
	v_and_b32_e32 v7, 0xffff0000, v7
	v_and_b32_e32 v3, 0xffff0000, v3
	v_lshlrev_b32_e32 v4, 16, v12
	v_and_b32_e32 v74, 0xffff0000, v12
	v_lshlrev_b32_e32 v77, 16, v15
	v_lshlrev_b32_e32 v61, 16, v51
	v_and_b32_e32 v15, 0xffff0000, v15
	v_and_b32_e32 v51, 0xffff0000, v51
	v_lshlrev_b32_e32 v12, 16, v8
	v_and_b32_e32 v78, 0xffff0000, v8
	v_lshlrev_b32_e32 v80, 16, v9
	v_lshlrev_b32_e32 v91, 16, v19
	;; [unrolled: 1-line block ×3, first 2 shown]
	v_and_b32_e32 v68, 0xffff0000, v9
	v_and_b32_e32 v8, 0xffff0000, v17
	;; [unrolled: 1-line block ×3, first 2 shown]
	v_lshlrev_b32_e32 v17, 16, v54
	v_and_b32_e32 v19, 0xffff0000, v54
	v_lshlrev_b32_e32 v92, 16, v53
	v_and_b32_e32 v54, 0xffff0000, v53
	;; [unrolled: 2-line block ×3, first 2 shown]
	v_lshlrev_b32_e32 v93, 16, v55
	v_lshlrev_b32_e32 v97, 16, v59
	v_lshlrev_b32_e32 v96, 16, v57
	v_and_b32_e32 v55, 0xffff0000, v55
	v_and_b32_e32 v59, 0xffff0000, v59
	;; [unrolled: 1-line block ×3, first 2 shown]
	s_waitcnt vmcnt(3)
	v_lshlrev_b32_e32 v56, 16, v82
	v_and_b32_e32 v82, 0xffff0000, v82
	v_pk_fma_f32 v[32:33], v[64:65], v[56:57], v[32:33] op_sel_hi:[1,0,1]
	v_pk_fma_f32 v[30:31], v[66:67], v[56:57], v[30:31] op_sel_hi:[1,0,1]
	v_lshlrev_b32_e32 v98, 16, v83
	v_pk_fma_f32 v[32:33], v[70:71], v[82:83], v[32:33] op_sel_hi:[1,0,1]
	v_pk_fma_f32 v[10:11], v[10:11], v[82:83], v[30:31] op_sel_hi:[1,0,1]
	v_and_b32_e32 v100, 0xffff0000, v83
	v_pk_fma_f32 v[32:33], v[72:73], v[98:99], v[32:33] op_sel_hi:[1,0,1]
	v_pk_fma_f32 v[10:11], v[42:43], v[98:99], v[10:11] op_sel_hi:[1,0,1]
	s_waitcnt vmcnt(2)
	v_lshlrev_b32_e32 v64, 16, v84
	v_pk_fma_f32 v[6:7], v[6:7], v[100:101], v[32:33] op_sel_hi:[1,0,1]
	v_pk_fma_f32 v[2:3], v[2:3], v[100:101], v[10:11] op_sel_hi:[1,0,1]
	v_and_b32_e32 v56, 0xffff0000, v84
	v_pk_fma_f32 v[4:5], v[4:5], v[64:65], v[6:7] op_sel_hi:[1,0,1]
	v_pk_fma_f32 v[0:1], v[0:1], v[64:65], v[2:3] op_sel_hi:[1,0,1]
	v_lshlrev_b32_e32 v66, 16, v85
	v_pk_fma_f32 v[2:3], v[74:75], v[56:57], v[4:5] op_sel_hi:[1,0,1]
	v_pk_fma_f32 v[0:1], v[44:45], v[56:57], v[0:1] op_sel_hi:[1,0,1]
	v_and_b32_e32 v84, 0xffff0000, v85
	v_pk_fma_f32 v[2:3], v[76:77], v[66:67], v[2:3] op_sel_hi:[1,0,1]
	v_pk_fma_f32 v[0:1], v[60:61], v[66:67], v[0:1] op_sel_hi:[1,0,1]
	s_waitcnt vmcnt(1)
	v_lshlrev_b32_e32 v70, 16, v86
	v_pk_fma_f32 v[2:3], v[14:15], v[84:85], v[2:3] op_sel_hi:[1,0,1]
	v_pk_fma_f32 v[0:1], v[50:51], v[84:85], v[0:1] op_sel_hi:[1,0,1]
	;; [unrolled: 13-line block ×3, first 2 shown]
	v_and_b32_e32 v42, 0xffff0000, v88
	v_pk_fma_f32 v[2:3], v[16:17], v[72:73], v[2:3] op_sel_hi:[1,0,1]
	v_pk_fma_f32 v[0:1], v[52:53], v[72:73], v[0:1] op_sel_hi:[1,0,1]
	v_lshlrev_b32_e32 v88, 16, v89
	v_pk_fma_f32 v[2:3], v[18:19], v[42:43], v[2:3] op_sel_hi:[1,0,1]
	v_pk_fma_f32 v[0:1], v[94:95], v[42:43], v[0:1] op_sel_hi:[1,0,1]
	v_and_b32_e32 v98, 0xffff0000, v89
	v_pk_fma_f32 v[2:3], v[92:93], v[88:89], v[2:3] op_sel_hi:[1,0,1]
	v_pk_fma_f32 v[0:1], v[96:97], v[88:89], v[0:1] op_sel_hi:[1,0,1]
	;; [unrolled: 1-line block ×4, first 2 shown]
	s_andn2_b64 exec, exec, s[14:15]
	s_cbranch_execnz .LBB115_23
; %bb.24:
	s_or_b64 exec, exec, s[14:15]
.LBB115_25:
	s_or_b64 exec, exec, s[10:11]
.LBB115_26:
	s_or_b64 exec, exec, s[8:9]
	s_cbranch_execz .LBB115_28
	s_branch .LBB115_39
.LBB115_27:
                                        ; implicit-def: $vgpr31
                                        ; implicit-def: $vgpr33
.LBB115_28:
	v_mov_b32_e32 v31, 0
	v_mov_b32_e32 v30, 0
	;; [unrolled: 1-line block ×4, first 2 shown]
	s_and_saveexec_b64 s[2:3], s[0:1]
	s_cbranch_execz .LBB115_38
; %bb.29:
	v_or_b32_e32 v0, 4, v22
	v_mov_b32_e32 v1, s19
	v_subrev_co_u32_e32 v0, vcc, s22, v0
	v_subb_co_u32_e32 v1, vcc, 0, v1, vcc
	v_add_co_u32_e32 v0, vcc, v0, v34
	v_addc_co_u32_e32 v1, vcc, v1, v35, vcc
	v_cmp_gt_i64_e32 vcc, v[0:1], v[26:27]
	v_cndmask_b32_e32 v1, v27, v1, vcc
	v_cndmask_b32_e32 v0, v26, v0, vcc
	v_mov_b32_e32 v4, s19
	v_sub_co_u32_e32 v5, vcc, s22, v22
	v_not_b32_e32 v3, v34
	v_subbrev_co_u32_e32 v4, vcc, 0, v4, vcc
	v_not_b32_e32 v2, v35
	v_add_co_u32_e32 v3, vcc, v5, v3
	v_addc_co_u32_e32 v2, vcc, v4, v2, vcc
	v_add_co_u32_e32 v0, vcc, v3, v0
	v_addc_co_u32_e32 v1, vcc, v2, v1, vcc
	v_lshrrev_b32_e32 v2, 2, v0
	v_add_u32_e32 v2, 1, v2
	v_and_b32_e32 v2, 3, v2
	v_mov_b32_e32 v32, 0
	v_cmp_ne_u32_e32 vcc, 0, v2
	v_mov_b32_e32 v33, v32
	v_mov_b32_e32 v30, v32
	;; [unrolled: 1-line block ×3, first 2 shown]
	s_and_saveexec_b64 s[0:1], vcc
	s_cbranch_execz .LBB115_33
; %bb.30:
	v_lshlrev_b64 v[4:5], 3, v[24:25]
	v_mov_b32_e32 v3, 0
	v_mov_b32_e32 v6, s13
	v_add_co_u32_e32 v4, vcc, s12, v4
	v_addc_co_u32_e32 v5, vcc, v6, v5, vcc
	v_lshlrev_b32_e32 v2, 2, v2
	s_mov_b64 s[8:9], 0
	v_mov_b32_e32 v6, s19
	v_mov_b32_e32 v7, s7
	s_movk_i32 s10, 0x80
	v_mov_b32_e32 v32, v3
	v_mov_b32_e32 v33, v3
	v_mov_b32_e32 v30, v3
	v_mov_b32_e32 v31, v3
.LBB115_31:                             ; =>This Inner Loop Header: Depth=1
	global_load_dwordx2 v[12:13], v[4:5], off
	global_load_dwordx4 v[8:11], v[28:29], off
	s_waitcnt vmcnt(1)
	v_subrev_co_u32_e32 v12, vcc, s22, v12
	v_subb_co_u32_e32 v13, vcc, v13, v6, vcc
	v_lshlrev_b64 v[12:13], 3, v[12:13]
	v_add_co_u32_e32 v16, vcc, s6, v12
	v_addc_co_u32_e32 v17, vcc, v7, v13, vcc
	global_load_dwordx2 v[18:19], v[16:17], off
	global_load_dwordx4 v[12:15], v[28:29], off offset:16
	v_add_co_u32_e32 v28, vcc, s10, v28
	v_addc_co_u32_e32 v29, vcc, 0, v29, vcc
	v_add_co_u32_e32 v24, vcc, 4, v24
	v_addc_co_u32_e32 v25, vcc, 0, v25, vcc
	v_add_co_u32_e32 v4, vcc, 32, v4
	v_addc_co_u32_e32 v5, vcc, 0, v5, vcc
	s_waitcnt vmcnt(2)
	v_and_b32_e32 v17, 0xffff0000, v8
	v_lshlrev_b32_e32 v16, 16, v8
	v_and_b32_e32 v35, 0xffff0000, v9
	v_lshlrev_b32_e32 v34, 16, v9
	v_add_co_u32_e32 v2, vcc, -4, v2
	v_and_b32_e32 v9, 0xffff0000, v10
	v_lshlrev_b32_e32 v8, 16, v10
	v_and_b32_e32 v41, 0xffff0000, v11
	v_lshlrev_b32_e32 v40, 16, v11
	v_addc_co_u32_e32 v3, vcc, -1, v3, vcc
	v_cmp_eq_u64_e32 vcc, 0, v[2:3]
	s_or_b64 s[8:9], vcc, s[8:9]
	s_waitcnt vmcnt(1)
	v_lshlrev_b32_e32 v42, 16, v19
	s_waitcnt vmcnt(0)
	v_and_b32_e32 v39, 0xffff0000, v14
	v_lshlrev_b32_e32 v38, 16, v14
	v_lshlrev_b32_e32 v14, 16, v18
	v_and_b32_e32 v37, 0xffff0000, v12
	v_lshlrev_b32_e32 v36, 16, v12
	v_and_b32_e32 v11, 0xffff0000, v13
	;; [unrolled: 2-line block ×4, first 2 shown]
	v_pk_fma_f32 v[16:17], v[16:17], v[14:15], v[32:33] op_sel_hi:[1,0,1]
	v_pk_fma_f32 v[14:15], v[34:35], v[14:15], v[30:31] op_sel_hi:[1,0,1]
	;; [unrolled: 1-line block ×4, first 2 shown]
	v_and_b32_e32 v44, 0xffff0000, v19
	v_pk_fma_f32 v[8:9], v[36:37], v[42:43], v[8:9] op_sel_hi:[1,0,1]
	v_pk_fma_f32 v[10:11], v[10:11], v[42:43], v[14:15] op_sel_hi:[1,0,1]
	;; [unrolled: 1-line block ×4, first 2 shown]
	s_andn2_b64 exec, exec, s[8:9]
	s_cbranch_execnz .LBB115_31
; %bb.32:
	s_or_b64 exec, exec, s[8:9]
.LBB115_33:
	s_or_b64 exec, exec, s[0:1]
	v_cmp_lt_u64_e32 vcc, 11, v[0:1]
	s_and_saveexec_b64 s[8:9], vcc
	s_cbranch_execz .LBB115_37
; %bb.34:
	v_lshlrev_b64 v[0:1], 3, v[24:25]
	v_mov_b32_e32 v2, s13
	v_add_co_u32_e32 v0, vcc, s12, v0
	v_addc_co_u32_e32 v1, vcc, v1, v2, vcc
	v_add_co_u32_e32 v34, vcc, 64, v0
	v_addc_co_u32_e32 v35, vcc, 0, v1, vcc
	s_mov_b64 s[10:11], 0
	v_mov_b32_e32 v23, s19
	v_mov_b32_e32 v36, s7
.LBB115_35:                             ; =>This Inner Loop Header: Depth=1
	global_load_dwordx4 v[0:3], v[28:29], off
	global_load_dwordx4 v[4:7], v[28:29], off offset:16
	global_load_dwordx4 v[8:11], v[28:29], off offset:128
	;; [unrolled: 1-line block ×4, first 2 shown]
	global_load_dwordx2 v[50:51], v[34:35], off offset:-64
	global_load_dwordx2 v[52:53], v[34:35], off offset:-32
	global_load_dwordx2 v[54:55], v[34:35], off
	global_load_dwordx2 v[56:57], v[34:35], off offset:32
	global_load_dwordx4 v[38:41], v[28:29], off offset:272
	global_load_dwordx4 v[42:45], v[28:29], off offset:384
	;; [unrolled: 1-line block ×3, first 2 shown]
	v_add_co_u32_e32 v24, vcc, 16, v24
	v_addc_co_u32_e32 v25, vcc, 0, v25, vcc
	v_add_co_u32_e32 v34, vcc, 0x80, v34
	v_addc_co_u32_e32 v35, vcc, 0, v35, vcc
	;; [unrolled: 2-line block ×3, first 2 shown]
	v_cmp_ge_i64_e64 s[0:1], v[24:25], v[26:27]
	s_or_b64 s[10:11], s[0:1], s[10:11]
	s_waitcnt vmcnt(11)
	v_and_b32_e32 v59, 0xffff0000, v0
	v_lshlrev_b32_e32 v58, 16, v0
	s_waitcnt vmcnt(9)
	v_and_b32_e32 v67, 0xffff0000, v8
	v_lshlrev_b32_e32 v66, 16, v8
	v_and_b32_e32 v61, 0xffff0000, v1
	s_waitcnt vmcnt(6)
	v_subrev_co_u32_e32 v8, vcc, s22, v50
	v_lshlrev_b32_e32 v60, 16, v1
	v_and_b32_e32 v1, 0xffff0000, v2
	v_lshlrev_b32_e32 v0, 16, v2
	v_and_b32_e32 v63, 0xffff0000, v4
	;; [unrolled: 2-line block ×7, first 2 shown]
	v_lshlrev_b32_e32 v6, 16, v9
	v_subb_co_u32_e32 v9, vcc, v51, v23, vcc
	s_waitcnt vmcnt(5)
	v_subrev_co_u32_e32 v50, vcc, s22, v52
	v_subb_co_u32_e32 v51, vcc, v53, v23, vcc
	s_waitcnt vmcnt(4)
	v_subrev_co_u32_e32 v52, vcc, s22, v54
	;; [unrolled: 3-line block ×3, first 2 shown]
	v_subb_co_u32_e32 v55, vcc, v57, v23, vcc
	v_lshlrev_b64 v[8:9], 3, v[8:9]
	v_add_co_u32_e32 v8, vcc, s6, v8
	v_lshlrev_b64 v[50:51], 3, v[50:51]
	v_addc_co_u32_e32 v9, vcc, v36, v9, vcc
	v_add_co_u32_e32 v50, vcc, s6, v50
	v_lshlrev_b64 v[52:53], 3, v[52:53]
	v_addc_co_u32_e32 v51, vcc, v36, v51, vcc
	;; [unrolled: 3-line block ×3, first 2 shown]
	v_add_co_u32_e32 v54, vcc, s6, v54
	v_addc_co_u32_e32 v55, vcc, v36, v55, vcc
	global_load_dwordx2 v[56:57], v[8:9], off
	global_load_dwordx2 v[78:79], v[50:51], off
	;; [unrolled: 1-line block ×4, first 2 shown]
	s_waitcnt vmcnt(4)
	v_and_b32_e32 v89, 0xffff0000, v48
	v_lshlrev_b32_e32 v88, 16, v48
	v_and_b32_e32 v69, 0xffff0000, v10
	v_lshlrev_b32_e32 v68, 16, v10
	v_and_b32_e32 v9, 0xffff0000, v11
	v_lshlrev_b32_e32 v8, 16, v11
	v_and_b32_e32 v71, 0xffff0000, v12
	v_lshlrev_b32_e32 v70, 16, v12
	v_and_b32_e32 v11, 0xffff0000, v13
	v_lshlrev_b32_e32 v10, 16, v13
	v_and_b32_e32 v73, 0xffff0000, v14
	v_lshlrev_b32_e32 v72, 16, v14
	v_and_b32_e32 v13, 0xffff0000, v15
	v_lshlrev_b32_e32 v12, 16, v15
	v_and_b32_e32 v75, 0xffff0000, v16
	v_lshlrev_b32_e32 v74, 16, v16
	v_and_b32_e32 v51, 0xffff0000, v17
	v_lshlrev_b32_e32 v50, 16, v17
	v_and_b32_e32 v15, 0xffff0000, v18
	v_lshlrev_b32_e32 v14, 16, v18
	v_and_b32_e32 v17, 0xffff0000, v19
	v_lshlrev_b32_e32 v16, 16, v19
	v_and_b32_e32 v19, 0xffff0000, v38
	v_lshlrev_b32_e32 v18, 16, v38
	v_and_b32_e32 v53, 0xffff0000, v39
	v_lshlrev_b32_e32 v52, 16, v39
	v_and_b32_e32 v39, 0xffff0000, v40
	v_lshlrev_b32_e32 v38, 16, v40
	v_and_b32_e32 v55, 0xffff0000, v41
	v_lshlrev_b32_e32 v54, 16, v41
	v_and_b32_e32 v41, 0xffff0000, v42
	v_lshlrev_b32_e32 v40, 16, v42
	v_and_b32_e32 v87, 0xffff0000, v43
	v_lshlrev_b32_e32 v86, 16, v43
	v_and_b32_e32 v85, 0xffff0000, v44
	v_lshlrev_b32_e32 v84, 16, v44
	v_and_b32_e32 v43, 0xffff0000, v45
	v_lshlrev_b32_e32 v42, 16, v45
	v_and_b32_e32 v45, 0xffff0000, v46
	v_lshlrev_b32_e32 v44, 16, v46
	v_and_b32_e32 v91, 0xffff0000, v47
	v_lshlrev_b32_e32 v90, 16, v47
	v_and_b32_e32 v47, 0xffff0000, v49
	v_lshlrev_b32_e32 v46, 16, v49
	s_waitcnt vmcnt(3)
	v_lshlrev_b32_e32 v48, 16, v56
	v_and_b32_e32 v56, 0xffff0000, v56
	v_pk_fma_f32 v[32:33], v[58:59], v[48:49], v[32:33] op_sel_hi:[1,0,1]
	v_pk_fma_f32 v[30:31], v[60:61], v[48:49], v[30:31] op_sel_hi:[1,0,1]
	v_lshlrev_b32_e32 v92, 16, v57
	v_pk_fma_f32 v[0:1], v[0:1], v[56:57], v[32:33] op_sel_hi:[1,0,1]
	v_pk_fma_f32 v[30:31], v[76:77], v[56:57], v[30:31] op_sel_hi:[1,0,1]
	v_and_b32_e32 v94, 0xffff0000, v57
	v_pk_fma_f32 v[0:1], v[62:63], v[92:93], v[0:1] op_sel_hi:[1,0,1]
	v_pk_fma_f32 v[2:3], v[2:3], v[92:93], v[30:31] op_sel_hi:[1,0,1]
	s_waitcnt vmcnt(2)
	v_lshlrev_b32_e32 v58, 16, v78
	v_pk_fma_f32 v[0:1], v[64:65], v[94:95], v[0:1] op_sel_hi:[1,0,1]
	v_pk_fma_f32 v[2:3], v[4:5], v[94:95], v[2:3] op_sel_hi:[1,0,1]
	v_and_b32_e32 v48, 0xffff0000, v78
	v_pk_fma_f32 v[0:1], v[66:67], v[58:59], v[0:1] op_sel_hi:[1,0,1]
	v_pk_fma_f32 v[2:3], v[6:7], v[58:59], v[2:3] op_sel_hi:[1,0,1]
	v_lshlrev_b32_e32 v60, 16, v79
	v_pk_fma_f32 v[0:1], v[68:69], v[48:49], v[0:1] op_sel_hi:[1,0,1]
	v_pk_fma_f32 v[2:3], v[8:9], v[48:49], v[2:3] op_sel_hi:[1,0,1]
	v_and_b32_e32 v78, 0xffff0000, v79
	v_pk_fma_f32 v[0:1], v[70:71], v[60:61], v[0:1] op_sel_hi:[1,0,1]
	v_pk_fma_f32 v[2:3], v[10:11], v[60:61], v[2:3] op_sel_hi:[1,0,1]
	s_waitcnt vmcnt(1)
	v_lshlrev_b32_e32 v32, 16, v80
	v_pk_fma_f32 v[0:1], v[72:73], v[78:79], v[0:1] op_sel_hi:[1,0,1]
	v_pk_fma_f32 v[2:3], v[12:13], v[78:79], v[2:3] op_sel_hi:[1,0,1]
	;; [unrolled: 13-line block ×3, first 2 shown]
	v_and_b32_e32 v30, 0xffff0000, v82
	v_pk_fma_f32 v[0:1], v[40:41], v[62:63], v[0:1] op_sel_hi:[1,0,1]
	v_pk_fma_f32 v[2:3], v[86:87], v[62:63], v[2:3] op_sel_hi:[1,0,1]
	v_lshlrev_b32_e32 v82, 16, v83
	v_pk_fma_f32 v[0:1], v[84:85], v[30:31], v[0:1] op_sel_hi:[1,0,1]
	v_pk_fma_f32 v[2:3], v[42:43], v[30:31], v[2:3] op_sel_hi:[1,0,1]
	v_and_b32_e32 v92, 0xffff0000, v83
	v_pk_fma_f32 v[0:1], v[44:45], v[82:83], v[0:1] op_sel_hi:[1,0,1]
	v_pk_fma_f32 v[2:3], v[90:91], v[82:83], v[2:3] op_sel_hi:[1,0,1]
	;; [unrolled: 1-line block ×4, first 2 shown]
	s_andn2_b64 exec, exec, s[10:11]
	s_cbranch_execnz .LBB115_35
; %bb.36:
	s_or_b64 exec, exec, s[10:11]
.LBB115_37:
	s_or_b64 exec, exec, s[8:9]
.LBB115_38:
	s_or_b64 exec, exec, s[2:3]
.LBB115_39:
	v_mov_b32_dpp v0, v32 row_shr:1 row_mask:0xf bank_mask:0xf
	v_mov_b32_dpp v1, v33 row_shr:1 row_mask:0xf bank_mask:0xf
	;; [unrolled: 1-line block ×4, first 2 shown]
	v_pk_add_f32 v[0:1], v[32:33], v[0:1]
	v_pk_add_f32 v[4:5], v[30:31], v[4:5]
	v_cmp_eq_u32_e32 vcc, 3, v22
	v_mov_b32_dpp v2, v0 row_shr:2 row_mask:0xf bank_mask:0xf
	v_mov_b32_dpp v3, v1 row_shr:2 row_mask:0xf bank_mask:0xf
	;; [unrolled: 1-line block ×4, first 2 shown]
	s_and_b64 exec, exec, vcc
	s_cbranch_execz .LBB115_10
; %bb.40:
	s_load_dwordx2 s[0:1], s[4:5], 0x58
	v_cmp_eq_f32_e64 s[2:3], s20, 0
	v_pk_add_f32 v[2:3], v[0:1], v[2:3]
	v_pk_add_f32 v[0:1], v[4:5], v[6:7]
	s_and_b64 vcc, exec, s[2:3]
	v_lshlrev_b64 v[4:5], 4, v[20:21]
	s_cbranch_vccz .LBB115_42
; %bb.41:
	s_waitcnt lgkmcnt(0)
	v_mov_b32_e32 v6, s1
	v_add_co_u32_e32 v10, vcc, s0, v4
	v_addc_co_u32_e32 v11, vcc, v6, v5, vcc
	v_pk_mul_f32 v[6:7], s[16:17], v[2:3] op_sel_hi:[0,1]
	v_pk_mul_f32 v[8:9], s[16:17], v[0:1] op_sel_hi:[0,1]
	global_store_dwordx4 v[10:11], v[6:9], off
	s_cbranch_execnz .LBB115_10
	s_branch .LBB115_43
.LBB115_42:
.LBB115_43:
	s_waitcnt lgkmcnt(0)
	v_mov_b32_e32 v6, s1
	v_add_co_u32_e32 v8, vcc, s0, v4
	v_addc_co_u32_e32 v9, vcc, v6, v5, vcc
	global_load_dwordx4 v[4:7], v[8:9], off
	v_pk_mul_f32 v[2:3], s[16:17], v[2:3] op_sel_hi:[0,1]
	v_pk_mul_f32 v[10:11], s[16:17], v[0:1] op_sel_hi:[0,1]
	s_waitcnt vmcnt(0)
	v_pk_fma_f32 v[0:1], s[20:21], v[4:5], v[2:3] op_sel_hi:[0,1,1]
	v_pk_fma_f32 v[2:3], s[20:21], v[6:7], v[10:11] op_sel_hi:[0,1,1]
	global_store_dwordx4 v[8:9], v[0:3], off
	s_endpgm
	.section	.rodata,"a",@progbits
	.p2align	6, 0x0
	.amdhsa_kernel _ZN9rocsparseL18bsrxmvn_4x4_kernelILj128ELj4Efll18rocsparse_bfloat16S1_fEEvT3_20rocsparse_direction_NS_24const_host_device_scalarIT1_EES2_PKS2_PKT2_SB_S8_PKT4_PKT5_S6_PT6_21rocsparse_index_base_b
		.amdhsa_group_segment_fixed_size 0
		.amdhsa_private_segment_fixed_size 0
		.amdhsa_kernarg_size 104
		.amdhsa_user_sgpr_count 6
		.amdhsa_user_sgpr_private_segment_buffer 1
		.amdhsa_user_sgpr_dispatch_ptr 0
		.amdhsa_user_sgpr_queue_ptr 0
		.amdhsa_user_sgpr_kernarg_segment_ptr 1
		.amdhsa_user_sgpr_dispatch_id 0
		.amdhsa_user_sgpr_flat_scratch_init 0
		.amdhsa_user_sgpr_kernarg_preload_length 0
		.amdhsa_user_sgpr_kernarg_preload_offset 0
		.amdhsa_user_sgpr_private_segment_size 0
		.amdhsa_uses_dynamic_stack 0
		.amdhsa_system_sgpr_private_segment_wavefront_offset 0
		.amdhsa_system_sgpr_workgroup_id_x 1
		.amdhsa_system_sgpr_workgroup_id_y 0
		.amdhsa_system_sgpr_workgroup_id_z 0
		.amdhsa_system_sgpr_workgroup_info 0
		.amdhsa_system_vgpr_workitem_id 0
		.amdhsa_next_free_vgpr 102
		.amdhsa_next_free_sgpr 24
		.amdhsa_accum_offset 104
		.amdhsa_reserve_vcc 1
		.amdhsa_reserve_flat_scratch 0
		.amdhsa_float_round_mode_32 0
		.amdhsa_float_round_mode_16_64 0
		.amdhsa_float_denorm_mode_32 3
		.amdhsa_float_denorm_mode_16_64 3
		.amdhsa_dx10_clamp 1
		.amdhsa_ieee_mode 1
		.amdhsa_fp16_overflow 0
		.amdhsa_tg_split 0
		.amdhsa_exception_fp_ieee_invalid_op 0
		.amdhsa_exception_fp_denorm_src 0
		.amdhsa_exception_fp_ieee_div_zero 0
		.amdhsa_exception_fp_ieee_overflow 0
		.amdhsa_exception_fp_ieee_underflow 0
		.amdhsa_exception_fp_ieee_inexact 0
		.amdhsa_exception_int_div_zero 0
	.end_amdhsa_kernel
	.section	.text._ZN9rocsparseL18bsrxmvn_4x4_kernelILj128ELj4Efll18rocsparse_bfloat16S1_fEEvT3_20rocsparse_direction_NS_24const_host_device_scalarIT1_EES2_PKS2_PKT2_SB_S8_PKT4_PKT5_S6_PT6_21rocsparse_index_base_b,"axG",@progbits,_ZN9rocsparseL18bsrxmvn_4x4_kernelILj128ELj4Efll18rocsparse_bfloat16S1_fEEvT3_20rocsparse_direction_NS_24const_host_device_scalarIT1_EES2_PKS2_PKT2_SB_S8_PKT4_PKT5_S6_PT6_21rocsparse_index_base_b,comdat
.Lfunc_end115:
	.size	_ZN9rocsparseL18bsrxmvn_4x4_kernelILj128ELj4Efll18rocsparse_bfloat16S1_fEEvT3_20rocsparse_direction_NS_24const_host_device_scalarIT1_EES2_PKS2_PKT2_SB_S8_PKT4_PKT5_S6_PT6_21rocsparse_index_base_b, .Lfunc_end115-_ZN9rocsparseL18bsrxmvn_4x4_kernelILj128ELj4Efll18rocsparse_bfloat16S1_fEEvT3_20rocsparse_direction_NS_24const_host_device_scalarIT1_EES2_PKS2_PKT2_SB_S8_PKT4_PKT5_S6_PT6_21rocsparse_index_base_b
                                        ; -- End function
	.section	.AMDGPU.csdata,"",@progbits
; Kernel info:
; codeLenInByte = 4012
; NumSgprs: 28
; NumVgprs: 102
; NumAgprs: 0
; TotalNumVgprs: 102
; ScratchSize: 0
; MemoryBound: 0
; FloatMode: 240
; IeeeMode: 1
; LDSByteSize: 0 bytes/workgroup (compile time only)
; SGPRBlocks: 3
; VGPRBlocks: 12
; NumSGPRsForWavesPerEU: 28
; NumVGPRsForWavesPerEU: 102
; AccumOffset: 104
; Occupancy: 4
; WaveLimiterHint : 1
; COMPUTE_PGM_RSRC2:SCRATCH_EN: 0
; COMPUTE_PGM_RSRC2:USER_SGPR: 6
; COMPUTE_PGM_RSRC2:TRAP_HANDLER: 0
; COMPUTE_PGM_RSRC2:TGID_X_EN: 1
; COMPUTE_PGM_RSRC2:TGID_Y_EN: 0
; COMPUTE_PGM_RSRC2:TGID_Z_EN: 0
; COMPUTE_PGM_RSRC2:TIDIG_COMP_CNT: 0
; COMPUTE_PGM_RSRC3_GFX90A:ACCUM_OFFSET: 25
; COMPUTE_PGM_RSRC3_GFX90A:TG_SPLIT: 0
	.section	.text._ZN9rocsparseL18bsrxmvn_4x4_kernelILj128ELj8Efll18rocsparse_bfloat16S1_fEEvT3_20rocsparse_direction_NS_24const_host_device_scalarIT1_EES2_PKS2_PKT2_SB_S8_PKT4_PKT5_S6_PT6_21rocsparse_index_base_b,"axG",@progbits,_ZN9rocsparseL18bsrxmvn_4x4_kernelILj128ELj8Efll18rocsparse_bfloat16S1_fEEvT3_20rocsparse_direction_NS_24const_host_device_scalarIT1_EES2_PKS2_PKT2_SB_S8_PKT4_PKT5_S6_PT6_21rocsparse_index_base_b,comdat
	.globl	_ZN9rocsparseL18bsrxmvn_4x4_kernelILj128ELj8Efll18rocsparse_bfloat16S1_fEEvT3_20rocsparse_direction_NS_24const_host_device_scalarIT1_EES2_PKS2_PKT2_SB_S8_PKT4_PKT5_S6_PT6_21rocsparse_index_base_b ; -- Begin function _ZN9rocsparseL18bsrxmvn_4x4_kernelILj128ELj8Efll18rocsparse_bfloat16S1_fEEvT3_20rocsparse_direction_NS_24const_host_device_scalarIT1_EES2_PKS2_PKT2_SB_S8_PKT4_PKT5_S6_PT6_21rocsparse_index_base_b
	.p2align	8
	.type	_ZN9rocsparseL18bsrxmvn_4x4_kernelILj128ELj8Efll18rocsparse_bfloat16S1_fEEvT3_20rocsparse_direction_NS_24const_host_device_scalarIT1_EES2_PKS2_PKT2_SB_S8_PKT4_PKT5_S6_PT6_21rocsparse_index_base_b,@function
_ZN9rocsparseL18bsrxmvn_4x4_kernelILj128ELj8Efll18rocsparse_bfloat16S1_fEEvT3_20rocsparse_direction_NS_24const_host_device_scalarIT1_EES2_PKS2_PKT2_SB_S8_PKT4_PKT5_S6_PT6_21rocsparse_index_base_b: ; @_ZN9rocsparseL18bsrxmvn_4x4_kernelILj128ELj8Efll18rocsparse_bfloat16S1_fEEvT3_20rocsparse_direction_NS_24const_host_device_scalarIT1_EES2_PKS2_PKT2_SB_S8_PKT4_PKT5_S6_PT6_21rocsparse_index_base_b
; %bb.0:
	s_load_dwordx2 s[22:23], s[4:5], 0x60
	s_load_dwordx4 s[16:19], s[4:5], 0x10
	s_load_dwordx2 s[20:21], s[4:5], 0x50
	s_waitcnt lgkmcnt(0)
	s_bitcmp1_b32 s23, 0
	s_cselect_b64 s[2:3], -1, 0
	s_xor_b64 s[0:1], s[2:3], -1
	s_and_b64 vcc, exec, s[2:3]
	s_cbranch_vccnz .LBB116_2
; %bb.1:
	s_load_dword s16, s[16:17], 0x0
.LBB116_2:
	s_andn2_b64 vcc, exec, s[0:1]
	s_cbranch_vccnz .LBB116_4
; %bb.3:
	s_load_dword s20, s[20:21], 0x0
.LBB116_4:
	s_waitcnt lgkmcnt(0)
	v_cmp_neq_f32_e64 s[0:1], s16, 0
	v_cmp_neq_f32_e64 s[2:3], s20, 1.0
	s_or_b64 s[0:1], s[0:1], s[2:3]
	s_andn2_b64 vcc, exec, s[0:1]
	s_cbranch_vccnz .LBB116_10
; %bb.5:
	s_load_dwordx2 s[2:3], s[4:5], 0x20
	v_lshrrev_b32_e32 v1, 3, v0
	v_lshl_or_b32 v2, s6, 4, v1
	v_mov_b32_e32 v3, 0
	s_mov_b64 s[0:1], 0
	s_waitcnt lgkmcnt(0)
	s_cmp_lg_u64 s[2:3], 0
	s_cbranch_scc0 .LBB116_11
; %bb.6:
	v_cmp_gt_i64_e32 vcc, s[18:19], v[2:3]
                                        ; implicit-def: $vgpr20_vgpr21
	s_and_saveexec_b64 s[6:7], vcc
	s_xor_b64 s[6:7], exec, s[6:7]
                                        ; implicit-def: $sgpr18_sgpr19
	s_cbranch_execz .LBB116_8
; %bb.7:
	v_lshlrev_b64 v[4:5], 3, v[2:3]
	v_mov_b32_e32 v1, s3
	v_add_co_u32_e32 v4, vcc, s2, v4
	v_addc_co_u32_e32 v5, vcc, v1, v5, vcc
	global_load_dwordx2 v[4:5], v[4:5], off
	s_mov_b64 s[0:1], exec
	s_mov_b32 s19, 0
	s_waitcnt vmcnt(0)
	v_subrev_co_u32_e32 v20, vcc, s22, v4
	v_subbrev_co_u32_e32 v21, vcc, 0, v5, vcc
.LBB116_8:
	s_or_b64 exec, exec, s[6:7]
.LBB116_9:
	s_and_saveexec_b64 s[2:3], s[0:1]
	s_cbranch_execnz .LBB116_15
.LBB116_10:
	s_endpgm
.LBB116_11:
                                        ; implicit-def: $vgpr20_vgpr21
                                        ; implicit-def: $sgpr18_sgpr19
	s_cbranch_execz .LBB116_9
; %bb.12:
	s_load_dwordx2 s[2:3], s[4:5], 0x0
                                        ; implicit-def: $vgpr20_vgpr21
	s_waitcnt lgkmcnt(0)
	v_cmp_gt_i64_e32 vcc, s[2:3], v[2:3]
	s_and_saveexec_b64 s[2:3], vcc
                                        ; implicit-def: $sgpr18_sgpr19
; %bb.13:
	s_mov_b32 s19, 0
	s_or_b64 s[0:1], s[0:1], exec
	v_pk_mov_b32 v[20:21], v[2:3], v[2:3] op_sel:[0,1]
; %bb.14:
	s_or_b64 exec, exec, s[2:3]
	s_and_saveexec_b64 s[2:3], s[0:1]
	s_cbranch_execz .LBB116_10
.LBB116_15:
	s_load_dwordx8 s[8:15], s[4:5], 0x28
	v_lshlrev_b64 v[2:3], 3, v[20:21]
	v_and_b32_e32 v22, 7, v0
	v_mov_b32_e32 v0, s19
	v_mov_b32_e32 v31, 0
	s_waitcnt lgkmcnt(0)
	v_mov_b32_e32 v1, s9
	v_add_co_u32_e32 v4, vcc, s8, v2
	v_addc_co_u32_e32 v5, vcc, v1, v3, vcc
	v_add_co_u32_e32 v1, vcc, 8, v4
	global_load_dwordx2 v[16:17], v[4:5], off
	v_addc_co_u32_e32 v4, vcc, 0, v5, vcc
	v_mov_b32_e32 v5, s11
	v_add_co_u32_e32 v2, vcc, s10, v2
	s_cmp_eq_u64 s[10:11], 0
	v_addc_co_u32_e32 v3, vcc, v5, v3, vcc
	s_cselect_b64 vcc, -1, 0
	v_cndmask_b32_e32 v3, v3, v4, vcc
	v_cndmask_b32_e32 v2, v2, v1, vcc
	global_load_dwordx2 v[2:3], v[2:3], off
	s_load_dwordx2 s[6:7], s[4:5], 0x48
	s_load_dword s0, s[4:5], 0x8
	v_mov_b32_e32 v4, s15
	s_waitcnt lgkmcnt(0)
	s_cmp_eq_u32 s0, 1
	s_waitcnt vmcnt(1)
	v_subrev_co_u32_e32 v1, vcc, s22, v16
	v_subb_co_u32_e32 v5, vcc, v17, v0, vcc
	v_add_co_u32_e32 v24, vcc, v1, v22
	v_addc_co_u32_e32 v25, vcc, 0, v5, vcc
	s_waitcnt vmcnt(0)
	v_subrev_co_u32_e32 v26, vcc, s22, v2
	v_subb_co_u32_e32 v27, vcc, v3, v0, vcc
	v_lshlrev_b64 v[0:1], 5, v[24:25]
	v_add_co_u32_e32 v28, vcc, s14, v0
	v_addc_co_u32_e32 v29, vcc, v4, v1, vcc
	v_cmp_lt_i64_e64 s[0:1], v[24:25], v[26:27]
	s_cbranch_scc1 .LBB116_27
; %bb.16:
	v_mov_b32_e32 v30, 0
	v_mov_b32_e32 v33, 0
	v_mov_b32_e32 v32, 0
	s_and_saveexec_b64 s[8:9], s[0:1]
	s_cbranch_execz .LBB116_26
; %bb.17:
	v_or_b32_e32 v0, 8, v22
	v_mov_b32_e32 v1, s19
	v_subrev_co_u32_e32 v0, vcc, s22, v0
	v_subb_co_u32_e32 v1, vcc, 0, v1, vcc
	v_add_co_u32_e32 v0, vcc, v0, v16
	v_addc_co_u32_e32 v1, vcc, v1, v17, vcc
	v_cmp_gt_i64_e32 vcc, v[0:1], v[26:27]
	v_cndmask_b32_e32 v1, v27, v1, vcc
	v_cndmask_b32_e32 v0, v26, v0, vcc
	v_mov_b32_e32 v4, s19
	v_sub_co_u32_e32 v5, vcc, s22, v22
	v_not_b32_e32 v3, v16
	v_subbrev_co_u32_e32 v4, vcc, 0, v4, vcc
	v_not_b32_e32 v2, v17
	v_add_co_u32_e32 v3, vcc, v5, v3
	v_addc_co_u32_e32 v2, vcc, v4, v2, vcc
	v_add_co_u32_e32 v0, vcc, v3, v0
	v_addc_co_u32_e32 v1, vcc, v2, v1, vcc
	v_lshrrev_b32_e32 v2, 3, v0
	v_add_u32_e32 v2, 1, v2
	v_and_b32_e32 v2, 3, v2
	v_mov_b32_e32 v32, 0
	v_cmp_ne_u32_e32 vcc, 0, v2
	v_mov_b32_e32 v33, v32
	v_mov_b32_e32 v30, v32
	;; [unrolled: 1-line block ×3, first 2 shown]
	v_pk_mov_b32 v[18:19], v[24:25], v[24:25] op_sel:[0,1]
	v_pk_mov_b32 v[34:35], v[28:29], v[28:29] op_sel:[0,1]
	s_and_saveexec_b64 s[2:3], vcc
	s_cbranch_execz .LBB116_21
; %bb.18:
	v_lshlrev_b64 v[4:5], 3, v[24:25]
	v_mov_b32_e32 v3, 0
	v_mov_b32_e32 v6, s13
	v_add_co_u32_e32 v4, vcc, s12, v4
	v_addc_co_u32_e32 v5, vcc, v6, v5, vcc
	v_lshlrev_b32_e32 v2, 2, v2
	s_mov_b64 s[10:11], 0
	v_mov_b32_e32 v6, s19
	v_mov_b32_e32 v7, s7
	s_movk_i32 s14, 0x100
	v_pk_mov_b32 v[34:35], v[28:29], v[28:29] op_sel:[0,1]
	v_pk_mov_b32 v[18:19], v[24:25], v[24:25] op_sel:[0,1]
	v_mov_b32_e32 v31, v3
	v_mov_b32_e32 v30, v3
	;; [unrolled: 1-line block ×4, first 2 shown]
.LBB116_19:                             ; =>This Inner Loop Header: Depth=1
	global_load_dwordx2 v[36:37], v[4:5], off
	global_load_dwordx4 v[8:11], v[34:35], off
	global_load_dwordx4 v[12:15], v[34:35], off offset:16
	s_waitcnt vmcnt(2)
	v_subrev_co_u32_e32 v36, vcc, s22, v36
	v_subb_co_u32_e32 v37, vcc, v37, v6, vcc
	v_lshlrev_b64 v[36:37], 3, v[36:37]
	v_add_co_u32_e32 v36, vcc, s6, v36
	v_addc_co_u32_e32 v37, vcc, v7, v37, vcc
	global_load_dwordx2 v[36:37], v[36:37], off
	v_add_co_u32_e32 v34, vcc, s14, v34
	v_addc_co_u32_e32 v35, vcc, 0, v35, vcc
	v_add_co_u32_e32 v18, vcc, 8, v18
	v_addc_co_u32_e32 v19, vcc, 0, v19, vcc
	;; [unrolled: 2-line block ×3, first 2 shown]
	s_waitcnt vmcnt(2)
	v_and_b32_e32 v38, 0xffff0000, v8
	v_lshlrev_b32_e32 v41, 16, v10
	v_lshlrev_b32_e32 v40, 16, v8
	s_waitcnt vmcnt(1)
	v_and_b32_e32 v8, 0xffff0000, v12
	v_lshlrev_b32_e32 v45, 16, v14
	v_lshlrev_b32_e32 v44, 16, v12
	v_add_co_u32_e32 v2, vcc, -4, v2
	v_and_b32_e32 v39, 0xffff0000, v10
	v_lshlrev_b32_e32 v42, 16, v9
	v_and_b32_e32 v10, 0xffff0000, v9
	v_and_b32_e32 v9, 0xffff0000, v14
	v_lshlrev_b32_e32 v46, 16, v13
	v_and_b32_e32 v14, 0xffff0000, v13
	v_addc_co_u32_e32 v3, vcc, -1, v3, vcc
	v_lshlrev_b32_e32 v43, 16, v11
	v_lshlrev_b32_e32 v47, 16, v15
	v_cmp_eq_u64_e32 vcc, 0, v[2:3]
	v_and_b32_e32 v11, 0xffff0000, v11
	v_and_b32_e32 v15, 0xffff0000, v15
	s_or_b64 s[10:11], vcc, s[10:11]
	s_waitcnt vmcnt(0)
	v_lshlrev_b32_e32 v12, 16, v36
	v_and_b32_e32 v36, 0xffff0000, v36
	v_pk_fma_f32 v[32:33], v[40:41], v[12:13], v[32:33] op_sel_hi:[1,0,1]
	v_pk_fma_f32 v[12:13], v[44:45], v[12:13], v[30:31] op_sel_hi:[1,0,1]
	v_lshlrev_b32_e32 v48, 16, v37
	v_pk_fma_f32 v[30:31], v[38:39], v[36:37], v[32:33] op_sel_hi:[1,0,1]
	v_pk_fma_f32 v[8:9], v[8:9], v[36:37], v[12:13] op_sel_hi:[1,0,1]
	v_and_b32_e32 v50, 0xffff0000, v37
	v_pk_fma_f32 v[12:13], v[42:43], v[48:49], v[30:31] op_sel_hi:[1,0,1]
	v_pk_fma_f32 v[8:9], v[46:47], v[48:49], v[8:9] op_sel_hi:[1,0,1]
	;; [unrolled: 1-line block ×4, first 2 shown]
	s_andn2_b64 exec, exec, s[10:11]
	s_cbranch_execnz .LBB116_19
; %bb.20:
	s_or_b64 exec, exec, s[10:11]
.LBB116_21:
	s_or_b64 exec, exec, s[2:3]
	v_cmp_lt_u64_e32 vcc, 23, v[0:1]
	s_and_saveexec_b64 s[10:11], vcc
	s_cbranch_execz .LBB116_25
; %bb.22:
	v_lshlrev_b64 v[0:1], 3, v[18:19]
	v_mov_b32_e32 v2, s13
	v_add_co_u32_e32 v0, vcc, s12, v0
	v_addc_co_u32_e32 v1, vcc, v1, v2, vcc
	v_add_co_u32_e32 v36, vcc, 0x80, v0
	v_addc_co_u32_e32 v37, vcc, 0, v1, vcc
	s_mov_b64 s[14:15], 0
	v_mov_b32_e32 v23, s19
	v_mov_b32_e32 v44, s7
.LBB116_23:                             ; =>This Inner Loop Header: Depth=1
	global_load_dwordx2 v[62:63], v[36:37], off offset:-128
	global_load_dwordx4 v[4:7], v[34:35], off
	global_load_dwordx4 v[0:3], v[34:35], off offset:16
	global_load_dwordx2 v[40:41], v[36:37], off offset:-64
	global_load_dwordx2 v[38:39], v[36:37], off
	global_load_dwordx4 v[12:15], v[34:35], off offset:256
	global_load_dwordx4 v[8:11], v[34:35], off offset:512
	global_load_dwordx2 v[42:43], v[36:37], off offset:64
	global_load_dwordx4 v[46:49], v[34:35], off offset:272
	global_load_dwordx4 v[50:53], v[34:35], off offset:528
	;; [unrolled: 1-line block ×4, first 2 shown]
	v_add_co_u32_e32 v18, vcc, 32, v18
	v_addc_co_u32_e32 v19, vcc, 0, v19, vcc
	v_add_co_u32_e32 v36, vcc, 0x100, v36
	v_addc_co_u32_e32 v37, vcc, 0, v37, vcc
	;; [unrolled: 2-line block ×3, first 2 shown]
	v_cmp_ge_i64_e64 s[2:3], v[18:19], v[26:27]
	s_or_b64 s[14:15], s[2:3], s[14:15]
	s_waitcnt vmcnt(11)
	v_subrev_co_u32_e32 v62, vcc, s22, v62
	v_subb_co_u32_e32 v63, vcc, v63, v23, vcc
	s_waitcnt vmcnt(8)
	v_subrev_co_u32_e32 v40, vcc, s22, v40
	v_subb_co_u32_e32 v41, vcc, v41, v23, vcc
	;; [unrolled: 3-line block ×3, first 2 shown]
	v_and_b32_e32 v64, 0xffff0000, v4
	v_lshlrev_b32_e32 v66, 16, v4
	s_waitcnt vmcnt(6)
	v_lshlrev_b32_e32 v4, 16, v12
	v_and_b32_e32 v74, 0xffff0000, v12
	s_waitcnt vmcnt(5)
	v_lshlrev_b32_e32 v12, 16, v8
	v_and_b32_e32 v78, 0xffff0000, v8
	s_waitcnt vmcnt(4)
	v_subrev_co_u32_e32 v8, vcc, s22, v42
	v_lshlrev_b32_e32 v67, 16, v6
	v_and_b32_e32 v65, 0xffff0000, v6
	v_lshlrev_b32_e32 v72, 16, v5
	v_and_b32_e32 v6, 0xffff0000, v5
	;; [unrolled: 2-line block ×6, first 2 shown]
	v_subb_co_u32_e32 v9, vcc, v43, v23, vcc
	v_lshlrev_b64 v[42:43], 3, v[62:63]
	v_add_co_u32_e32 v42, vcc, s6, v42
	v_lshlrev_b64 v[40:41], 3, v[40:41]
	v_addc_co_u32_e32 v43, vcc, v44, v43, vcc
	v_add_co_u32_e32 v40, vcc, s6, v40
	v_lshlrev_b64 v[38:39], 3, v[38:39]
	v_addc_co_u32_e32 v41, vcc, v44, v41, vcc
	;; [unrolled: 3-line block ×3, first 2 shown]
	v_add_co_u32_e32 v8, vcc, s6, v8
	v_addc_co_u32_e32 v9, vcc, v44, v9, vcc
	global_load_dwordx2 v[62:63], v[42:43], off
	global_load_dwordx2 v[82:83], v[40:41], off
	;; [unrolled: 1-line block ×4, first 2 shown]
	v_and_b32_e32 v68, 0xffff0000, v0
	v_lshlrev_b32_e32 v71, 16, v2
	v_lshlrev_b32_e32 v70, 16, v0
	v_and_b32_e32 v69, 0xffff0000, v2
	v_lshlrev_b32_e32 v8, 16, v1
	v_and_b32_e32 v2, 0xffff0000, v1
	s_waitcnt vmcnt(7)
	v_lshlrev_b32_e32 v1, 16, v48
	v_lshlrev_b32_e32 v0, 16, v46
	v_and_b32_e32 v39, 0xffff0000, v48
	v_and_b32_e32 v38, 0xffff0000, v46
	s_waitcnt vmcnt(6)
	v_lshlrev_b32_e32 v46, 16, v50
	v_and_b32_e32 v48, 0xffff0000, v50
	s_waitcnt vmcnt(5)
	v_lshlrev_b32_e32 v50, 16, v54
	;; [unrolled: 3-line block ×3, first 2 shown]
	v_and_b32_e32 v94, 0xffff0000, v58
	v_lshlrev_b32_e32 v73, 16, v7
	v_lshlrev_b32_e32 v9, 16, v3
	v_and_b32_e32 v7, 0xffff0000, v7
	v_and_b32_e32 v3, 0xffff0000, v3
	v_lshlrev_b32_e32 v77, 16, v15
	v_lshlrev_b32_e32 v41, 16, v49
	;; [unrolled: 1-line block ×3, first 2 shown]
	v_and_b32_e32 v15, 0xffff0000, v15
	v_and_b32_e32 v43, 0xffff0000, v49
	;; [unrolled: 1-line block ×3, first 2 shown]
	v_lshlrev_b32_e32 v47, 16, v52
	v_and_b32_e32 v49, 0xffff0000, v52
	v_lshlrev_b32_e32 v81, 16, v11
	v_lshlrev_b32_e32 v89, 16, v53
	;; [unrolled: 1-line block ×3, first 2 shown]
	v_and_b32_e32 v11, 0xffff0000, v11
	v_and_b32_e32 v53, 0xffff0000, v53
	;; [unrolled: 1-line block ×3, first 2 shown]
	v_lshlrev_b32_e32 v51, 16, v56
	v_and_b32_e32 v91, 0xffff0000, v56
	v_lshlrev_b32_e32 v92, 16, v55
	v_and_b32_e32 v56, 0xffff0000, v55
	;; [unrolled: 2-line block ×3, first 2 shown]
	v_lshlrev_b32_e32 v93, 16, v57
	v_lshlrev_b32_e32 v97, 16, v61
	;; [unrolled: 1-line block ×3, first 2 shown]
	v_and_b32_e32 v57, 0xffff0000, v57
	v_and_b32_e32 v61, 0xffff0000, v61
	;; [unrolled: 1-line block ×3, first 2 shown]
	s_waitcnt vmcnt(3)
	v_lshlrev_b32_e32 v58, 16, v62
	v_and_b32_e32 v62, 0xffff0000, v62
	v_pk_fma_f32 v[32:33], v[66:67], v[58:59], v[32:33] op_sel_hi:[1,0,1]
	v_pk_fma_f32 v[30:31], v[70:71], v[58:59], v[30:31] op_sel_hi:[1,0,1]
	v_lshlrev_b32_e32 v98, 16, v63
	v_pk_fma_f32 v[32:33], v[64:65], v[62:63], v[32:33] op_sel_hi:[1,0,1]
	v_pk_fma_f32 v[30:31], v[68:69], v[62:63], v[30:31] op_sel_hi:[1,0,1]
	v_and_b32_e32 v100, 0xffff0000, v63
	v_pk_fma_f32 v[32:33], v[72:73], v[98:99], v[32:33] op_sel_hi:[1,0,1]
	v_pk_fma_f32 v[8:9], v[8:9], v[98:99], v[30:31] op_sel_hi:[1,0,1]
	s_waitcnt vmcnt(2)
	v_lshlrev_b32_e32 v66, 16, v82
	v_pk_fma_f32 v[6:7], v[6:7], v[100:101], v[32:33] op_sel_hi:[1,0,1]
	v_pk_fma_f32 v[2:3], v[2:3], v[100:101], v[8:9] op_sel_hi:[1,0,1]
	v_and_b32_e32 v58, 0xffff0000, v82
	v_pk_fma_f32 v[4:5], v[4:5], v[66:67], v[6:7] op_sel_hi:[1,0,1]
	v_pk_fma_f32 v[0:1], v[0:1], v[66:67], v[2:3] op_sel_hi:[1,0,1]
	v_lshlrev_b32_e32 v70, 16, v83
	v_pk_fma_f32 v[2:3], v[74:75], v[58:59], v[4:5] op_sel_hi:[1,0,1]
	v_pk_fma_f32 v[0:1], v[38:39], v[58:59], v[0:1] op_sel_hi:[1,0,1]
	v_and_b32_e32 v82, 0xffff0000, v83
	v_pk_fma_f32 v[2:3], v[76:77], v[70:71], v[2:3] op_sel_hi:[1,0,1]
	v_pk_fma_f32 v[0:1], v[40:41], v[70:71], v[0:1] op_sel_hi:[1,0,1]
	s_waitcnt vmcnt(1)
	v_lshlrev_b32_e32 v64, 16, v84
	v_pk_fma_f32 v[2:3], v[14:15], v[82:83], v[2:3] op_sel_hi:[1,0,1]
	v_pk_fma_f32 v[0:1], v[42:43], v[82:83], v[0:1] op_sel_hi:[1,0,1]
	v_and_b32_e32 v62, 0xffff0000, v84
	v_pk_fma_f32 v[2:3], v[12:13], v[64:65], v[2:3] op_sel_hi:[1,0,1]
	v_pk_fma_f32 v[0:1], v[46:47], v[64:65], v[0:1] op_sel_hi:[1,0,1]
	v_lshlrev_b32_e32 v68, 16, v85
	v_pk_fma_f32 v[2:3], v[78:79], v[62:63], v[2:3] op_sel_hi:[1,0,1]
	v_pk_fma_f32 v[0:1], v[48:49], v[62:63], v[0:1] op_sel_hi:[1,0,1]
	v_and_b32_e32 v84, 0xffff0000, v85
	v_pk_fma_f32 v[2:3], v[80:81], v[68:69], v[2:3] op_sel_hi:[1,0,1]
	v_pk_fma_f32 v[0:1], v[88:89], v[68:69], v[0:1] op_sel_hi:[1,0,1]
	s_waitcnt vmcnt(0)
	v_lshlrev_b32_e32 v72, 16, v86
	v_pk_fma_f32 v[2:3], v[10:11], v[84:85], v[2:3] op_sel_hi:[1,0,1]
	v_pk_fma_f32 v[0:1], v[52:53], v[84:85], v[0:1] op_sel_hi:[1,0,1]
	v_and_b32_e32 v30, 0xffff0000, v86
	v_pk_fma_f32 v[2:3], v[50:51], v[72:73], v[2:3] op_sel_hi:[1,0,1]
	v_pk_fma_f32 v[0:1], v[54:55], v[72:73], v[0:1] op_sel_hi:[1,0,1]
	v_lshlrev_b32_e32 v86, 16, v87
	v_pk_fma_f32 v[2:3], v[90:91], v[30:31], v[2:3] op_sel_hi:[1,0,1]
	v_pk_fma_f32 v[0:1], v[94:95], v[30:31], v[0:1] op_sel_hi:[1,0,1]
	v_and_b32_e32 v98, 0xffff0000, v87
	v_pk_fma_f32 v[2:3], v[92:93], v[86:87], v[2:3] op_sel_hi:[1,0,1]
	v_pk_fma_f32 v[0:1], v[96:97], v[86:87], v[0:1] op_sel_hi:[1,0,1]
	;; [unrolled: 1-line block ×4, first 2 shown]
	s_andn2_b64 exec, exec, s[14:15]
	s_cbranch_execnz .LBB116_23
; %bb.24:
	s_or_b64 exec, exec, s[14:15]
.LBB116_25:
	s_or_b64 exec, exec, s[10:11]
.LBB116_26:
	s_or_b64 exec, exec, s[8:9]
	s_cbranch_execz .LBB116_28
	s_branch .LBB116_39
.LBB116_27:
                                        ; implicit-def: $vgpr31
                                        ; implicit-def: $vgpr33
.LBB116_28:
	v_mov_b32_e32 v31, 0
	v_mov_b32_e32 v30, 0
	;; [unrolled: 1-line block ×4, first 2 shown]
	s_and_saveexec_b64 s[2:3], s[0:1]
	s_cbranch_execz .LBB116_38
; %bb.29:
	v_or_b32_e32 v0, 8, v22
	v_mov_b32_e32 v1, s19
	v_subrev_co_u32_e32 v0, vcc, s22, v0
	v_subb_co_u32_e32 v1, vcc, 0, v1, vcc
	v_add_co_u32_e32 v0, vcc, v0, v16
	v_addc_co_u32_e32 v1, vcc, v1, v17, vcc
	v_cmp_gt_i64_e32 vcc, v[0:1], v[26:27]
	v_cndmask_b32_e32 v1, v27, v1, vcc
	v_cndmask_b32_e32 v0, v26, v0, vcc
	v_mov_b32_e32 v4, s19
	v_sub_co_u32_e32 v5, vcc, s22, v22
	v_not_b32_e32 v3, v16
	v_subbrev_co_u32_e32 v4, vcc, 0, v4, vcc
	v_not_b32_e32 v2, v17
	v_add_co_u32_e32 v3, vcc, v5, v3
	v_addc_co_u32_e32 v2, vcc, v4, v2, vcc
	v_add_co_u32_e32 v0, vcc, v3, v0
	v_addc_co_u32_e32 v1, vcc, v2, v1, vcc
	v_lshrrev_b32_e32 v2, 3, v0
	v_add_u32_e32 v2, 1, v2
	v_and_b32_e32 v2, 3, v2
	v_mov_b32_e32 v32, 0
	v_cmp_ne_u32_e32 vcc, 0, v2
	v_mov_b32_e32 v33, v32
	v_mov_b32_e32 v30, v32
	;; [unrolled: 1-line block ×3, first 2 shown]
	s_and_saveexec_b64 s[0:1], vcc
	s_cbranch_execz .LBB116_33
; %bb.30:
	v_lshlrev_b64 v[4:5], 3, v[24:25]
	v_mov_b32_e32 v3, 0
	v_mov_b32_e32 v6, s13
	v_add_co_u32_e32 v4, vcc, s12, v4
	v_addc_co_u32_e32 v5, vcc, v6, v5, vcc
	v_lshlrev_b32_e32 v2, 2, v2
	s_mov_b64 s[8:9], 0
	v_mov_b32_e32 v6, s19
	v_mov_b32_e32 v7, s7
	s_movk_i32 s10, 0x100
	v_mov_b32_e32 v31, v3
	v_mov_b32_e32 v30, v3
	;; [unrolled: 1-line block ×4, first 2 shown]
.LBB116_31:                             ; =>This Inner Loop Header: Depth=1
	global_load_dwordx2 v[12:13], v[4:5], off
	global_load_dwordx4 v[8:11], v[28:29], off
	s_waitcnt vmcnt(1)
	v_subrev_co_u32_e32 v12, vcc, s22, v12
	v_subb_co_u32_e32 v13, vcc, v13, v6, vcc
	v_lshlrev_b64 v[12:13], 3, v[12:13]
	v_add_co_u32_e32 v16, vcc, s6, v12
	v_addc_co_u32_e32 v17, vcc, v7, v13, vcc
	global_load_dwordx2 v[18:19], v[16:17], off
	global_load_dwordx4 v[12:15], v[28:29], off offset:16
	v_add_co_u32_e32 v28, vcc, s10, v28
	v_addc_co_u32_e32 v29, vcc, 0, v29, vcc
	v_add_co_u32_e32 v24, vcc, 8, v24
	v_addc_co_u32_e32 v25, vcc, 0, v25, vcc
	;; [unrolled: 2-line block ×3, first 2 shown]
	s_waitcnt vmcnt(2)
	v_and_b32_e32 v17, 0xffff0000, v8
	v_lshlrev_b32_e32 v16, 16, v8
	v_and_b32_e32 v35, 0xffff0000, v9
	v_lshlrev_b32_e32 v34, 16, v9
	v_add_co_u32_e32 v2, vcc, -4, v2
	v_and_b32_e32 v9, 0xffff0000, v10
	v_lshlrev_b32_e32 v8, 16, v10
	v_and_b32_e32 v37, 0xffff0000, v11
	v_lshlrev_b32_e32 v36, 16, v11
	v_addc_co_u32_e32 v3, vcc, -1, v3, vcc
	v_cmp_eq_u64_e32 vcc, 0, v[2:3]
	s_or_b64 s[8:9], vcc, s[8:9]
	s_waitcnt vmcnt(1)
	v_lshlrev_b32_e32 v42, 16, v19
	s_waitcnt vmcnt(0)
	v_and_b32_e32 v39, 0xffff0000, v14
	v_lshlrev_b32_e32 v38, 16, v14
	v_lshlrev_b32_e32 v14, 16, v18
	v_and_b32_e32 v11, 0xffff0000, v12
	v_lshlrev_b32_e32 v10, 16, v12
	v_and_b32_e32 v41, 0xffff0000, v13
	;; [unrolled: 2-line block ×4, first 2 shown]
	v_pk_fma_f32 v[16:17], v[16:17], v[14:15], v[32:33] op_sel_hi:[1,0,1]
	v_pk_fma_f32 v[14:15], v[34:35], v[14:15], v[30:31] op_sel_hi:[1,0,1]
	;; [unrolled: 1-line block ×4, first 2 shown]
	v_and_b32_e32 v44, 0xffff0000, v19
	v_pk_fma_f32 v[8:9], v[10:11], v[42:43], v[8:9] op_sel_hi:[1,0,1]
	v_pk_fma_f32 v[10:11], v[40:41], v[42:43], v[14:15] op_sel_hi:[1,0,1]
	;; [unrolled: 1-line block ×4, first 2 shown]
	s_andn2_b64 exec, exec, s[8:9]
	s_cbranch_execnz .LBB116_31
; %bb.32:
	s_or_b64 exec, exec, s[8:9]
.LBB116_33:
	s_or_b64 exec, exec, s[0:1]
	v_cmp_lt_u64_e32 vcc, 23, v[0:1]
	s_and_saveexec_b64 s[8:9], vcc
	s_cbranch_execz .LBB116_37
; %bb.34:
	v_lshlrev_b64 v[0:1], 3, v[24:25]
	v_mov_b32_e32 v2, s13
	v_add_co_u32_e32 v0, vcc, s12, v0
	v_addc_co_u32_e32 v1, vcc, v1, v2, vcc
	v_add_co_u32_e32 v34, vcc, 0x80, v0
	v_addc_co_u32_e32 v35, vcc, 0, v1, vcc
	s_mov_b64 s[10:11], 0
	v_mov_b32_e32 v23, s19
	v_mov_b32_e32 v36, s7
.LBB116_35:                             ; =>This Inner Loop Header: Depth=1
	global_load_dwordx4 v[4:7], v[28:29], off
	global_load_dwordx4 v[0:3], v[28:29], off offset:16
	global_load_dwordx4 v[8:11], v[28:29], off offset:256
	;; [unrolled: 1-line block ×4, first 2 shown]
	global_load_dwordx2 v[50:51], v[34:35], off offset:-128
	global_load_dwordx2 v[52:53], v[34:35], off offset:-64
	global_load_dwordx2 v[54:55], v[34:35], off
	global_load_dwordx2 v[56:57], v[34:35], off offset:64
	global_load_dwordx4 v[38:41], v[28:29], off offset:528
	global_load_dwordx4 v[42:45], v[28:29], off offset:768
	;; [unrolled: 1-line block ×3, first 2 shown]
	v_add_co_u32_e32 v24, vcc, 32, v24
	v_addc_co_u32_e32 v25, vcc, 0, v25, vcc
	v_add_co_u32_e32 v34, vcc, 0x100, v34
	v_addc_co_u32_e32 v35, vcc, 0, v35, vcc
	;; [unrolled: 2-line block ×3, first 2 shown]
	v_cmp_ge_i64_e64 s[0:1], v[24:25], v[26:27]
	s_or_b64 s[10:11], s[0:1], s[10:11]
	s_waitcnt vmcnt(11)
	v_and_b32_e32 v59, 0xffff0000, v4
	v_lshlrev_b32_e32 v58, 16, v4
	s_waitcnt vmcnt(9)
	v_and_b32_e32 v67, 0xffff0000, v8
	v_lshlrev_b32_e32 v66, 16, v8
	v_and_b32_e32 v61, 0xffff0000, v5
	s_waitcnt vmcnt(6)
	v_subrev_co_u32_e32 v8, vcc, s22, v50
	v_lshlrev_b32_e32 v60, 16, v5
	v_and_b32_e32 v5, 0xffff0000, v6
	v_lshlrev_b32_e32 v4, 16, v6
	v_and_b32_e32 v63, 0xffff0000, v7
	v_lshlrev_b32_e32 v62, 16, v7
	v_and_b32_e32 v7, 0xffff0000, v0
	v_lshlrev_b32_e32 v6, 16, v0
	v_and_b32_e32 v65, 0xffff0000, v2
	v_lshlrev_b32_e32 v64, 16, v2
	v_and_b32_e32 v77, 0xffff0000, v1
	v_lshlrev_b32_e32 v76, 16, v1
	v_and_b32_e32 v1, 0xffff0000, v3
	v_lshlrev_b32_e32 v0, 16, v3
	v_and_b32_e32 v3, 0xffff0000, v9
	v_lshlrev_b32_e32 v2, 16, v9
	v_subb_co_u32_e32 v9, vcc, v51, v23, vcc
	s_waitcnt vmcnt(5)
	v_subrev_co_u32_e32 v50, vcc, s22, v52
	v_subb_co_u32_e32 v51, vcc, v53, v23, vcc
	s_waitcnt vmcnt(4)
	v_subrev_co_u32_e32 v52, vcc, s22, v54
	;; [unrolled: 3-line block ×3, first 2 shown]
	v_subb_co_u32_e32 v55, vcc, v57, v23, vcc
	v_lshlrev_b64 v[8:9], 3, v[8:9]
	v_add_co_u32_e32 v8, vcc, s6, v8
	v_lshlrev_b64 v[50:51], 3, v[50:51]
	v_addc_co_u32_e32 v9, vcc, v36, v9, vcc
	v_add_co_u32_e32 v50, vcc, s6, v50
	v_lshlrev_b64 v[52:53], 3, v[52:53]
	v_addc_co_u32_e32 v51, vcc, v36, v51, vcc
	;; [unrolled: 3-line block ×3, first 2 shown]
	v_add_co_u32_e32 v54, vcc, s6, v54
	v_addc_co_u32_e32 v55, vcc, v36, v55, vcc
	global_load_dwordx2 v[56:57], v[8:9], off
	global_load_dwordx2 v[78:79], v[50:51], off
	;; [unrolled: 1-line block ×4, first 2 shown]
	s_waitcnt vmcnt(4)
	v_and_b32_e32 v89, 0xffff0000, v48
	v_lshlrev_b32_e32 v88, 16, v48
	v_and_b32_e32 v69, 0xffff0000, v10
	v_lshlrev_b32_e32 v68, 16, v10
	;; [unrolled: 2-line block ×22, first 2 shown]
	s_waitcnt vmcnt(3)
	v_lshlrev_b32_e32 v48, 16, v56
	v_and_b32_e32 v56, 0xffff0000, v56
	v_pk_fma_f32 v[32:33], v[58:59], v[48:49], v[32:33] op_sel_hi:[1,0,1]
	v_pk_fma_f32 v[30:31], v[60:61], v[48:49], v[30:31] op_sel_hi:[1,0,1]
	v_lshlrev_b32_e32 v92, 16, v57
	v_pk_fma_f32 v[4:5], v[4:5], v[56:57], v[32:33] op_sel_hi:[1,0,1]
	v_pk_fma_f32 v[30:31], v[62:63], v[56:57], v[30:31] op_sel_hi:[1,0,1]
	v_and_b32_e32 v94, 0xffff0000, v57
	v_pk_fma_f32 v[4:5], v[6:7], v[92:93], v[4:5] op_sel_hi:[1,0,1]
	v_pk_fma_f32 v[30:31], v[76:77], v[92:93], v[30:31] op_sel_hi:[1,0,1]
	s_waitcnt vmcnt(2)
	v_lshlrev_b32_e32 v58, 16, v78
	v_pk_fma_f32 v[4:5], v[64:65], v[94:95], v[4:5] op_sel_hi:[1,0,1]
	v_pk_fma_f32 v[0:1], v[0:1], v[94:95], v[30:31] op_sel_hi:[1,0,1]
	v_and_b32_e32 v48, 0xffff0000, v78
	v_pk_fma_f32 v[4:5], v[66:67], v[58:59], v[4:5] op_sel_hi:[1,0,1]
	v_pk_fma_f32 v[0:1], v[2:3], v[58:59], v[0:1] op_sel_hi:[1,0,1]
	v_lshlrev_b32_e32 v60, 16, v79
	v_pk_fma_f32 v[2:3], v[68:69], v[48:49], v[4:5] op_sel_hi:[1,0,1]
	v_pk_fma_f32 v[0:1], v[8:9], v[48:49], v[0:1] op_sel_hi:[1,0,1]
	v_and_b32_e32 v78, 0xffff0000, v79
	v_pk_fma_f32 v[2:3], v[70:71], v[60:61], v[2:3] op_sel_hi:[1,0,1]
	v_pk_fma_f32 v[0:1], v[10:11], v[60:61], v[0:1] op_sel_hi:[1,0,1]
	s_waitcnt vmcnt(1)
	v_lshlrev_b32_e32 v32, 16, v80
	v_pk_fma_f32 v[2:3], v[72:73], v[78:79], v[2:3] op_sel_hi:[1,0,1]
	v_pk_fma_f32 v[0:1], v[12:13], v[78:79], v[0:1] op_sel_hi:[1,0,1]
	;; [unrolled: 13-line block ×3, first 2 shown]
	v_and_b32_e32 v76, 0xffff0000, v82
	v_pk_fma_f32 v[2:3], v[40:41], v[6:7], v[2:3] op_sel_hi:[1,0,1]
	v_pk_fma_f32 v[0:1], v[84:85], v[6:7], v[0:1] op_sel_hi:[1,0,1]
	v_lshlrev_b32_e32 v82, 16, v83
	v_pk_fma_f32 v[2:3], v[42:43], v[76:77], v[2:3] op_sel_hi:[1,0,1]
	v_pk_fma_f32 v[0:1], v[86:87], v[76:77], v[0:1] op_sel_hi:[1,0,1]
	v_and_b32_e32 v92, 0xffff0000, v83
	v_pk_fma_f32 v[2:3], v[44:45], v[82:83], v[2:3] op_sel_hi:[1,0,1]
	v_pk_fma_f32 v[0:1], v[90:91], v[82:83], v[0:1] op_sel_hi:[1,0,1]
	;; [unrolled: 1-line block ×4, first 2 shown]
	s_andn2_b64 exec, exec, s[10:11]
	s_cbranch_execnz .LBB116_35
; %bb.36:
	s_or_b64 exec, exec, s[10:11]
.LBB116_37:
	s_or_b64 exec, exec, s[8:9]
.LBB116_38:
	s_or_b64 exec, exec, s[2:3]
.LBB116_39:
	v_mov_b32_dpp v0, v32 row_shr:1 row_mask:0xf bank_mask:0xf
	v_mov_b32_dpp v1, v33 row_shr:1 row_mask:0xf bank_mask:0xf
	;; [unrolled: 1-line block ×4, first 2 shown]
	v_pk_add_f32 v[0:1], v[32:33], v[0:1]
	v_pk_add_f32 v[4:5], v[30:31], v[4:5]
	v_cmp_eq_u32_e32 vcc, 7, v22
	v_mov_b32_dpp v2, v0 row_shr:2 row_mask:0xf bank_mask:0xf
	v_mov_b32_dpp v3, v1 row_shr:2 row_mask:0xf bank_mask:0xf
	;; [unrolled: 1-line block ×4, first 2 shown]
	v_pk_add_f32 v[0:1], v[0:1], v[2:3]
	v_pk_add_f32 v[4:5], v[4:5], v[6:7]
	s_nop 0
	v_mov_b32_dpp v2, v0 row_shr:4 row_mask:0xf bank_mask:0xe
	v_mov_b32_dpp v3, v1 row_shr:4 row_mask:0xf bank_mask:0xe
	;; [unrolled: 1-line block ×4, first 2 shown]
	s_and_b64 exec, exec, vcc
	s_cbranch_execz .LBB116_10
; %bb.40:
	s_load_dwordx2 s[0:1], s[4:5], 0x58
	v_cmp_eq_f32_e64 s[2:3], s20, 0
	v_pk_add_f32 v[2:3], v[0:1], v[2:3]
	v_pk_add_f32 v[0:1], v[4:5], v[6:7]
	s_and_b64 vcc, exec, s[2:3]
	v_lshlrev_b64 v[4:5], 4, v[20:21]
	s_cbranch_vccz .LBB116_42
; %bb.41:
	s_waitcnt lgkmcnt(0)
	v_mov_b32_e32 v6, s1
	v_add_co_u32_e32 v10, vcc, s0, v4
	v_addc_co_u32_e32 v11, vcc, v6, v5, vcc
	v_pk_mul_f32 v[6:7], s[16:17], v[2:3] op_sel_hi:[0,1]
	v_pk_mul_f32 v[8:9], s[16:17], v[0:1] op_sel_hi:[0,1]
	global_store_dwordx4 v[10:11], v[6:9], off
	s_cbranch_execnz .LBB116_10
	s_branch .LBB116_43
.LBB116_42:
.LBB116_43:
	s_waitcnt lgkmcnt(0)
	v_mov_b32_e32 v6, s1
	v_add_co_u32_e32 v8, vcc, s0, v4
	v_addc_co_u32_e32 v9, vcc, v6, v5, vcc
	global_load_dwordx4 v[4:7], v[8:9], off
	v_pk_mul_f32 v[2:3], s[16:17], v[2:3] op_sel_hi:[0,1]
	v_pk_mul_f32 v[10:11], s[16:17], v[0:1] op_sel_hi:[0,1]
	s_waitcnt vmcnt(0)
	v_pk_fma_f32 v[0:1], s[20:21], v[4:5], v[2:3] op_sel_hi:[0,1,1]
	v_pk_fma_f32 v[2:3], s[20:21], v[6:7], v[10:11] op_sel_hi:[0,1,1]
	global_store_dwordx4 v[8:9], v[0:3], off
	s_endpgm
	.section	.rodata,"a",@progbits
	.p2align	6, 0x0
	.amdhsa_kernel _ZN9rocsparseL18bsrxmvn_4x4_kernelILj128ELj8Efll18rocsparse_bfloat16S1_fEEvT3_20rocsparse_direction_NS_24const_host_device_scalarIT1_EES2_PKS2_PKT2_SB_S8_PKT4_PKT5_S6_PT6_21rocsparse_index_base_b
		.amdhsa_group_segment_fixed_size 0
		.amdhsa_private_segment_fixed_size 0
		.amdhsa_kernarg_size 104
		.amdhsa_user_sgpr_count 6
		.amdhsa_user_sgpr_private_segment_buffer 1
		.amdhsa_user_sgpr_dispatch_ptr 0
		.amdhsa_user_sgpr_queue_ptr 0
		.amdhsa_user_sgpr_kernarg_segment_ptr 1
		.amdhsa_user_sgpr_dispatch_id 0
		.amdhsa_user_sgpr_flat_scratch_init 0
		.amdhsa_user_sgpr_kernarg_preload_length 0
		.amdhsa_user_sgpr_kernarg_preload_offset 0
		.amdhsa_user_sgpr_private_segment_size 0
		.amdhsa_uses_dynamic_stack 0
		.amdhsa_system_sgpr_private_segment_wavefront_offset 0
		.amdhsa_system_sgpr_workgroup_id_x 1
		.amdhsa_system_sgpr_workgroup_id_y 0
		.amdhsa_system_sgpr_workgroup_id_z 0
		.amdhsa_system_sgpr_workgroup_info 0
		.amdhsa_system_vgpr_workitem_id 0
		.amdhsa_next_free_vgpr 102
		.amdhsa_next_free_sgpr 24
		.amdhsa_accum_offset 104
		.amdhsa_reserve_vcc 1
		.amdhsa_reserve_flat_scratch 0
		.amdhsa_float_round_mode_32 0
		.amdhsa_float_round_mode_16_64 0
		.amdhsa_float_denorm_mode_32 3
		.amdhsa_float_denorm_mode_16_64 3
		.amdhsa_dx10_clamp 1
		.amdhsa_ieee_mode 1
		.amdhsa_fp16_overflow 0
		.amdhsa_tg_split 0
		.amdhsa_exception_fp_ieee_invalid_op 0
		.amdhsa_exception_fp_denorm_src 0
		.amdhsa_exception_fp_ieee_div_zero 0
		.amdhsa_exception_fp_ieee_overflow 0
		.amdhsa_exception_fp_ieee_underflow 0
		.amdhsa_exception_fp_ieee_inexact 0
		.amdhsa_exception_int_div_zero 0
	.end_amdhsa_kernel
	.section	.text._ZN9rocsparseL18bsrxmvn_4x4_kernelILj128ELj8Efll18rocsparse_bfloat16S1_fEEvT3_20rocsparse_direction_NS_24const_host_device_scalarIT1_EES2_PKS2_PKT2_SB_S8_PKT4_PKT5_S6_PT6_21rocsparse_index_base_b,"axG",@progbits,_ZN9rocsparseL18bsrxmvn_4x4_kernelILj128ELj8Efll18rocsparse_bfloat16S1_fEEvT3_20rocsparse_direction_NS_24const_host_device_scalarIT1_EES2_PKS2_PKT2_SB_S8_PKT4_PKT5_S6_PT6_21rocsparse_index_base_b,comdat
.Lfunc_end116:
	.size	_ZN9rocsparseL18bsrxmvn_4x4_kernelILj128ELj8Efll18rocsparse_bfloat16S1_fEEvT3_20rocsparse_direction_NS_24const_host_device_scalarIT1_EES2_PKS2_PKT2_SB_S8_PKT4_PKT5_S6_PT6_21rocsparse_index_base_b, .Lfunc_end116-_ZN9rocsparseL18bsrxmvn_4x4_kernelILj128ELj8Efll18rocsparse_bfloat16S1_fEEvT3_20rocsparse_direction_NS_24const_host_device_scalarIT1_EES2_PKS2_PKT2_SB_S8_PKT4_PKT5_S6_PT6_21rocsparse_index_base_b
                                        ; -- End function
	.section	.AMDGPU.csdata,"",@progbits
; Kernel info:
; codeLenInByte = 4084
; NumSgprs: 28
; NumVgprs: 102
; NumAgprs: 0
; TotalNumVgprs: 102
; ScratchSize: 0
; MemoryBound: 0
; FloatMode: 240
; IeeeMode: 1
; LDSByteSize: 0 bytes/workgroup (compile time only)
; SGPRBlocks: 3
; VGPRBlocks: 12
; NumSGPRsForWavesPerEU: 28
; NumVGPRsForWavesPerEU: 102
; AccumOffset: 104
; Occupancy: 4
; WaveLimiterHint : 1
; COMPUTE_PGM_RSRC2:SCRATCH_EN: 0
; COMPUTE_PGM_RSRC2:USER_SGPR: 6
; COMPUTE_PGM_RSRC2:TRAP_HANDLER: 0
; COMPUTE_PGM_RSRC2:TGID_X_EN: 1
; COMPUTE_PGM_RSRC2:TGID_Y_EN: 0
; COMPUTE_PGM_RSRC2:TGID_Z_EN: 0
; COMPUTE_PGM_RSRC2:TIDIG_COMP_CNT: 0
; COMPUTE_PGM_RSRC3_GFX90A:ACCUM_OFFSET: 25
; COMPUTE_PGM_RSRC3_GFX90A:TG_SPLIT: 0
	.section	.text._ZN9rocsparseL18bsrxmvn_4x4_kernelILj128ELj16Efll18rocsparse_bfloat16S1_fEEvT3_20rocsparse_direction_NS_24const_host_device_scalarIT1_EES2_PKS2_PKT2_SB_S8_PKT4_PKT5_S6_PT6_21rocsparse_index_base_b,"axG",@progbits,_ZN9rocsparseL18bsrxmvn_4x4_kernelILj128ELj16Efll18rocsparse_bfloat16S1_fEEvT3_20rocsparse_direction_NS_24const_host_device_scalarIT1_EES2_PKS2_PKT2_SB_S8_PKT4_PKT5_S6_PT6_21rocsparse_index_base_b,comdat
	.globl	_ZN9rocsparseL18bsrxmvn_4x4_kernelILj128ELj16Efll18rocsparse_bfloat16S1_fEEvT3_20rocsparse_direction_NS_24const_host_device_scalarIT1_EES2_PKS2_PKT2_SB_S8_PKT4_PKT5_S6_PT6_21rocsparse_index_base_b ; -- Begin function _ZN9rocsparseL18bsrxmvn_4x4_kernelILj128ELj16Efll18rocsparse_bfloat16S1_fEEvT3_20rocsparse_direction_NS_24const_host_device_scalarIT1_EES2_PKS2_PKT2_SB_S8_PKT4_PKT5_S6_PT6_21rocsparse_index_base_b
	.p2align	8
	.type	_ZN9rocsparseL18bsrxmvn_4x4_kernelILj128ELj16Efll18rocsparse_bfloat16S1_fEEvT3_20rocsparse_direction_NS_24const_host_device_scalarIT1_EES2_PKS2_PKT2_SB_S8_PKT4_PKT5_S6_PT6_21rocsparse_index_base_b,@function
_ZN9rocsparseL18bsrxmvn_4x4_kernelILj128ELj16Efll18rocsparse_bfloat16S1_fEEvT3_20rocsparse_direction_NS_24const_host_device_scalarIT1_EES2_PKS2_PKT2_SB_S8_PKT4_PKT5_S6_PT6_21rocsparse_index_base_b: ; @_ZN9rocsparseL18bsrxmvn_4x4_kernelILj128ELj16Efll18rocsparse_bfloat16S1_fEEvT3_20rocsparse_direction_NS_24const_host_device_scalarIT1_EES2_PKS2_PKT2_SB_S8_PKT4_PKT5_S6_PT6_21rocsparse_index_base_b
; %bb.0:
	s_load_dwordx2 s[22:23], s[4:5], 0x60
	s_load_dwordx4 s[16:19], s[4:5], 0x10
	s_load_dwordx2 s[20:21], s[4:5], 0x50
	s_waitcnt lgkmcnt(0)
	s_bitcmp1_b32 s23, 0
	s_cselect_b64 s[2:3], -1, 0
	s_xor_b64 s[0:1], s[2:3], -1
	s_and_b64 vcc, exec, s[2:3]
	s_cbranch_vccnz .LBB117_2
; %bb.1:
	s_load_dword s16, s[16:17], 0x0
.LBB117_2:
	s_andn2_b64 vcc, exec, s[0:1]
	s_cbranch_vccnz .LBB117_4
; %bb.3:
	s_load_dword s20, s[20:21], 0x0
.LBB117_4:
	s_waitcnt lgkmcnt(0)
	v_cmp_neq_f32_e64 s[0:1], s16, 0
	v_cmp_neq_f32_e64 s[2:3], s20, 1.0
	s_or_b64 s[0:1], s[0:1], s[2:3]
	s_andn2_b64 vcc, exec, s[0:1]
	s_cbranch_vccnz .LBB117_10
; %bb.5:
	s_load_dwordx2 s[2:3], s[4:5], 0x20
	v_lshrrev_b32_e32 v1, 4, v0
	v_lshl_or_b32 v2, s6, 3, v1
	v_mov_b32_e32 v3, 0
	s_mov_b64 s[0:1], 0
	s_waitcnt lgkmcnt(0)
	s_cmp_lg_u64 s[2:3], 0
	s_cbranch_scc0 .LBB117_11
; %bb.6:
	v_cmp_gt_i64_e32 vcc, s[18:19], v[2:3]
                                        ; implicit-def: $vgpr20_vgpr21
	s_and_saveexec_b64 s[6:7], vcc
	s_xor_b64 s[6:7], exec, s[6:7]
                                        ; implicit-def: $sgpr18_sgpr19
	s_cbranch_execz .LBB117_8
; %bb.7:
	v_lshlrev_b64 v[4:5], 3, v[2:3]
	v_mov_b32_e32 v1, s3
	v_add_co_u32_e32 v4, vcc, s2, v4
	v_addc_co_u32_e32 v5, vcc, v1, v5, vcc
	global_load_dwordx2 v[4:5], v[4:5], off
	s_mov_b64 s[0:1], exec
	s_mov_b32 s19, 0
	s_waitcnt vmcnt(0)
	v_subrev_co_u32_e32 v20, vcc, s22, v4
	v_subbrev_co_u32_e32 v21, vcc, 0, v5, vcc
.LBB117_8:
	s_or_b64 exec, exec, s[6:7]
.LBB117_9:
	s_and_saveexec_b64 s[2:3], s[0:1]
	s_cbranch_execnz .LBB117_15
.LBB117_10:
	s_endpgm
.LBB117_11:
                                        ; implicit-def: $vgpr20_vgpr21
                                        ; implicit-def: $sgpr18_sgpr19
	s_cbranch_execz .LBB117_9
; %bb.12:
	s_load_dwordx2 s[2:3], s[4:5], 0x0
                                        ; implicit-def: $vgpr20_vgpr21
	s_waitcnt lgkmcnt(0)
	v_cmp_gt_i64_e32 vcc, s[2:3], v[2:3]
	s_and_saveexec_b64 s[2:3], vcc
                                        ; implicit-def: $sgpr18_sgpr19
; %bb.13:
	s_mov_b32 s19, 0
	s_or_b64 s[0:1], s[0:1], exec
	v_pk_mov_b32 v[20:21], v[2:3], v[2:3] op_sel:[0,1]
; %bb.14:
	s_or_b64 exec, exec, s[2:3]
	s_and_saveexec_b64 s[2:3], s[0:1]
	s_cbranch_execz .LBB117_10
.LBB117_15:
	s_load_dwordx8 s[8:15], s[4:5], 0x28
	v_lshlrev_b64 v[2:3], 3, v[20:21]
	v_and_b32_e32 v22, 15, v0
	v_mov_b32_e32 v0, s19
	v_mov_b32_e32 v31, 0
	s_waitcnt lgkmcnt(0)
	v_mov_b32_e32 v1, s9
	v_add_co_u32_e32 v4, vcc, s8, v2
	v_addc_co_u32_e32 v5, vcc, v1, v3, vcc
	v_add_co_u32_e32 v1, vcc, 8, v4
	global_load_dwordx2 v[16:17], v[4:5], off
	v_addc_co_u32_e32 v4, vcc, 0, v5, vcc
	v_mov_b32_e32 v5, s11
	v_add_co_u32_e32 v2, vcc, s10, v2
	s_cmp_eq_u64 s[10:11], 0
	v_addc_co_u32_e32 v3, vcc, v5, v3, vcc
	s_cselect_b64 vcc, -1, 0
	v_cndmask_b32_e32 v3, v3, v4, vcc
	v_cndmask_b32_e32 v2, v2, v1, vcc
	global_load_dwordx2 v[2:3], v[2:3], off
	s_load_dwordx2 s[6:7], s[4:5], 0x48
	s_load_dword s0, s[4:5], 0x8
	v_mov_b32_e32 v4, s15
	s_waitcnt lgkmcnt(0)
	s_cmp_eq_u32 s0, 1
	s_waitcnt vmcnt(1)
	v_subrev_co_u32_e32 v1, vcc, s22, v16
	v_subb_co_u32_e32 v5, vcc, v17, v0, vcc
	v_add_co_u32_e32 v24, vcc, v1, v22
	v_addc_co_u32_e32 v25, vcc, 0, v5, vcc
	s_waitcnt vmcnt(0)
	v_subrev_co_u32_e32 v26, vcc, s22, v2
	v_subb_co_u32_e32 v27, vcc, v3, v0, vcc
	v_lshlrev_b64 v[0:1], 5, v[24:25]
	v_add_co_u32_e32 v28, vcc, s14, v0
	v_addc_co_u32_e32 v29, vcc, v4, v1, vcc
	v_cmp_lt_i64_e64 s[0:1], v[24:25], v[26:27]
	s_cbranch_scc1 .LBB117_27
; %bb.16:
	s_mov_b32 s2, 0
	v_mov_b32_e32 v30, 0
	v_mov_b32_e32 v33, 0
	;; [unrolled: 1-line block ×3, first 2 shown]
	s_and_saveexec_b64 s[8:9], s[0:1]
	s_cbranch_execz .LBB117_26
; %bb.17:
	v_or_b32_e32 v0, 16, v22
	v_mov_b32_e32 v1, s19
	v_subrev_co_u32_e32 v0, vcc, s22, v0
	v_subb_co_u32_e32 v1, vcc, 0, v1, vcc
	v_add_co_u32_e32 v0, vcc, v0, v16
	v_addc_co_u32_e32 v1, vcc, v1, v17, vcc
	v_cmp_gt_i64_e32 vcc, v[0:1], v[26:27]
	v_cndmask_b32_e32 v1, v27, v1, vcc
	v_cndmask_b32_e32 v0, v26, v0, vcc
	v_mov_b32_e32 v4, s19
	v_sub_co_u32_e32 v5, vcc, s22, v22
	v_not_b32_e32 v3, v16
	v_subbrev_co_u32_e32 v4, vcc, 0, v4, vcc
	v_not_b32_e32 v2, v17
	v_add_co_u32_e32 v3, vcc, v5, v3
	v_addc_co_u32_e32 v2, vcc, v4, v2, vcc
	v_add_co_u32_e32 v0, vcc, v3, v0
	v_addc_co_u32_e32 v1, vcc, v2, v1, vcc
	v_lshrrev_b32_e32 v2, 4, v0
	v_add_u32_e32 v2, 1, v2
	v_and_b32_e32 v2, 3, v2
	s_mov_b32 s3, s2
	v_cmp_ne_u32_e32 vcc, 0, v2
	v_pk_mov_b32 v[32:33], s[2:3], s[2:3] op_sel:[0,1]
	v_pk_mov_b32 v[30:31], s[2:3], s[2:3] op_sel:[0,1]
	;; [unrolled: 1-line block ×4, first 2 shown]
	s_and_saveexec_b64 s[10:11], vcc
	s_cbranch_execz .LBB117_21
; %bb.18:
	v_lshlrev_b64 v[4:5], 3, v[24:25]
	v_mov_b32_e32 v3, 0
	v_mov_b32_e32 v6, s13
	v_add_co_u32_e32 v4, vcc, s12, v4
	v_addc_co_u32_e32 v5, vcc, v6, v5, vcc
	v_lshlrev_b32_e32 v2, 2, v2
	s_mov_b64 s[14:15], 0
	v_mov_b32_e32 v6, s19
	v_mov_b32_e32 v7, s7
	s_movk_i32 s17, 0x200
	v_pk_mov_b32 v[34:35], v[28:29], v[28:29] op_sel:[0,1]
	v_pk_mov_b32 v[18:19], v[24:25], v[24:25] op_sel:[0,1]
	v_mov_b32_e32 v30, v3
	v_mov_b32_e32 v31, v3
	;; [unrolled: 1-line block ×4, first 2 shown]
.LBB117_19:                             ; =>This Inner Loop Header: Depth=1
	global_load_dwordx2 v[36:37], v[4:5], off
	global_load_dwordx4 v[8:11], v[34:35], off
	global_load_dwordx4 v[12:15], v[34:35], off offset:16
	v_add_co_u32_e64 v18, s[2:3], 16, v18
	v_addc_co_u32_e64 v19, s[2:3], 0, v19, s[2:3]
	v_add_co_u32_e64 v2, s[2:3], -4, v2
	v_addc_co_u32_e64 v3, s[2:3], -1, v3, s[2:3]
	v_cmp_eq_u64_e64 s[2:3], 0, v[2:3]
	s_or_b64 s[14:15], s[2:3], s[14:15]
	s_waitcnt vmcnt(2)
	v_subrev_co_u32_e32 v36, vcc, s22, v36
	v_subb_co_u32_e32 v37, vcc, v37, v6, vcc
	v_lshlrev_b64 v[36:37], 3, v[36:37]
	v_add_co_u32_e32 v36, vcc, s6, v36
	v_addc_co_u32_e32 v37, vcc, v7, v37, vcc
	global_load_dwordx2 v[36:37], v[36:37], off
	s_waitcnt vmcnt(2)
	v_lshlrev_b32_e32 v41, 16, v10
	v_lshlrev_b32_e32 v40, 16, v8
	s_waitcnt vmcnt(1)
	v_lshlrev_b32_e32 v45, 16, v14
	v_lshlrev_b32_e32 v44, 16, v12
	v_and_b32_e32 v46, 0xffff0000, v12
	v_add_co_u32_e32 v34, vcc, s17, v34
	v_and_b32_e32 v43, 0xffff0000, v10
	v_and_b32_e32 v42, 0xffff0000, v8
	v_lshlrev_b32_e32 v8, 16, v13
	v_and_b32_e32 v47, 0xffff0000, v14
	v_and_b32_e32 v14, 0xffff0000, v13
	v_addc_co_u32_e32 v35, vcc, 0, v35, vcc
	v_lshlrev_b32_e32 v38, 16, v9
	v_lshlrev_b32_e32 v39, 16, v11
	v_and_b32_e32 v10, 0xffff0000, v9
	v_lshlrev_b32_e32 v9, 16, v15
	v_add_co_u32_e32 v4, vcc, 0x80, v4
	v_and_b32_e32 v11, 0xffff0000, v11
	v_and_b32_e32 v15, 0xffff0000, v15
	v_addc_co_u32_e32 v5, vcc, 0, v5, vcc
	s_waitcnt vmcnt(0)
	v_lshlrev_b32_e32 v12, 16, v36
	v_and_b32_e32 v36, 0xffff0000, v36
	v_pk_fma_f32 v[32:33], v[40:41], v[12:13], v[32:33] op_sel_hi:[1,0,1]
	v_pk_fma_f32 v[12:13], v[44:45], v[12:13], v[30:31] op_sel_hi:[1,0,1]
	v_lshlrev_b32_e32 v48, 16, v37
	v_pk_fma_f32 v[30:31], v[42:43], v[36:37], v[32:33] op_sel_hi:[1,0,1]
	v_pk_fma_f32 v[12:13], v[46:47], v[36:37], v[12:13] op_sel_hi:[1,0,1]
	v_and_b32_e32 v50, 0xffff0000, v37
	v_pk_fma_f32 v[30:31], v[38:39], v[48:49], v[30:31] op_sel_hi:[1,0,1]
	v_pk_fma_f32 v[8:9], v[8:9], v[48:49], v[12:13] op_sel_hi:[1,0,1]
	;; [unrolled: 1-line block ×4, first 2 shown]
	s_andn2_b64 exec, exec, s[14:15]
	s_cbranch_execnz .LBB117_19
; %bb.20:
	s_or_b64 exec, exec, s[14:15]
.LBB117_21:
	s_or_b64 exec, exec, s[10:11]
	v_cmp_lt_u64_e32 vcc, 47, v[0:1]
	s_and_saveexec_b64 s[10:11], vcc
	s_cbranch_execz .LBB117_25
; %bb.22:
	v_lshlrev_b64 v[0:1], 3, v[18:19]
	v_mov_b32_e32 v2, s13
	v_add_co_u32_e32 v0, vcc, s12, v0
	v_addc_co_u32_e32 v1, vcc, v1, v2, vcc
	v_add_co_u32_e32 v36, vcc, 0x100, v0
	v_addc_co_u32_e32 v37, vcc, 0, v1, vcc
	s_mov_b64 s[14:15], 0
	v_mov_b32_e32 v23, s19
	v_mov_b32_e32 v44, s7
	s_movk_i32 s17, 0x800
.LBB117_23:                             ; =>This Inner Loop Header: Depth=1
	global_load_dwordx2 v[62:63], v[36:37], off offset:-256
	global_load_dwordx4 v[4:7], v[34:35], off
	global_load_dwordx4 v[0:3], v[34:35], off offset:16
	global_load_dwordx2 v[40:41], v[36:37], off offset:-128
	global_load_dwordx2 v[38:39], v[36:37], off
	global_load_dwordx4 v[12:15], v[34:35], off offset:512
	global_load_dwordx4 v[8:11], v[34:35], off offset:1024
	global_load_dwordx2 v[42:43], v[36:37], off offset:128
	global_load_dwordx4 v[46:49], v[34:35], off offset:528
	global_load_dwordx4 v[50:53], v[34:35], off offset:1040
	;; [unrolled: 1-line block ×4, first 2 shown]
	v_add_co_u32_e32 v34, vcc, s17, v34
	v_addc_co_u32_e32 v35, vcc, 0, v35, vcc
	v_add_co_u32_e32 v36, vcc, 0x200, v36
	v_addc_co_u32_e32 v37, vcc, 0, v37, vcc
	v_add_co_u32_e64 v18, s[2:3], 64, v18
	v_addc_co_u32_e64 v19, s[2:3], 0, v19, s[2:3]
	v_cmp_ge_i64_e64 s[2:3], v[18:19], v[26:27]
	s_or_b64 s[14:15], s[2:3], s[14:15]
	s_waitcnt vmcnt(11)
	v_subrev_co_u32_e32 v62, vcc, s22, v62
	v_subb_co_u32_e32 v63, vcc, v63, v23, vcc
	s_waitcnt vmcnt(8)
	v_subrev_co_u32_e32 v40, vcc, s22, v40
	v_subb_co_u32_e32 v41, vcc, v41, v23, vcc
	;; [unrolled: 3-line block ×4, first 2 shown]
	v_lshlrev_b64 v[62:63], 3, v[62:63]
	v_add_co_u32_e32 v62, vcc, s6, v62
	v_lshlrev_b64 v[40:41], 3, v[40:41]
	v_addc_co_u32_e32 v63, vcc, v44, v63, vcc
	v_add_co_u32_e32 v40, vcc, s6, v40
	v_lshlrev_b64 v[38:39], 3, v[38:39]
	v_addc_co_u32_e32 v41, vcc, v44, v41, vcc
	;; [unrolled: 3-line block ×3, first 2 shown]
	v_add_co_u32_e32 v42, vcc, s6, v42
	v_addc_co_u32_e32 v43, vcc, v44, v43, vcc
	global_load_dwordx2 v[84:85], v[62:63], off
	global_load_dwordx2 v[86:87], v[40:41], off
	;; [unrolled: 1-line block ×4, first 2 shown]
	v_lshlrev_b32_e32 v67, 16, v6
	v_lshlrev_b32_e32 v66, 16, v4
	v_and_b32_e32 v68, 0xffff0000, v4
	v_lshlrev_b32_e32 v73, 16, v2
	v_lshlrev_b32_e32 v72, 16, v0
	v_and_b32_e32 v74, 0xffff0000, v0
	v_lshlrev_b32_e32 v4, 16, v12
	v_and_b32_e32 v76, 0xffff0000, v12
	;; [unrolled: 2-line block ×3, first 2 shown]
	s_waitcnt vmcnt(7)
	v_lshlrev_b32_e32 v0, 16, v46
	v_and_b32_e32 v8, 0xffff0000, v46
	s_waitcnt vmcnt(6)
	v_lshlrev_b32_e32 v42, 16, v50
	v_and_b32_e32 v46, 0xffff0000, v50
	s_waitcnt vmcnt(5)
	v_and_b32_e32 v50, 0xffff0000, v54
	v_lshlrev_b32_e32 v62, 16, v54
	s_waitcnt vmcnt(4)
	v_and_b32_e32 v54, 0xffff0000, v58
	v_lshlrev_b32_e32 v94, 16, v58
	v_and_b32_e32 v69, 0xffff0000, v6
	v_and_b32_e32 v75, 0xffff0000, v2
	v_lshlrev_b32_e32 v64, 16, v5
	v_lshlrev_b32_e32 v65, 16, v7
	;; [unrolled: 1-line block ×4, first 2 shown]
	v_and_b32_e32 v7, 0xffff0000, v7
	v_and_b32_e32 v6, 0xffff0000, v5
	v_and_b32_e32 v3, 0xffff0000, v3
	v_and_b32_e32 v2, 0xffff0000, v1
	v_lshlrev_b32_e32 v5, 16, v14
	v_lshlrev_b32_e32 v1, 16, v48
	v_and_b32_e32 v77, 0xffff0000, v14
	v_lshlrev_b32_e32 v78, 16, v13
	v_and_b32_e32 v14, 0xffff0000, v13
	;; [unrolled: 2-line block ×4, first 2 shown]
	v_and_b32_e32 v9, 0xffff0000, v48
	v_lshlrev_b32_e32 v79, 16, v15
	v_lshlrev_b32_e32 v39, 16, v49
	v_lshlrev_b32_e32 v38, 16, v47
	v_and_b32_e32 v15, 0xffff0000, v15
	v_and_b32_e32 v41, 0xffff0000, v49
	;; [unrolled: 1-line block ×3, first 2 shown]
	v_lshlrev_b32_e32 v43, 16, v52
	v_and_b32_e32 v47, 0xffff0000, v52
	v_lshlrev_b32_e32 v83, 16, v11
	v_lshlrev_b32_e32 v49, 16, v53
	v_lshlrev_b32_e32 v48, 16, v51
	v_and_b32_e32 v11, 0xffff0000, v11
	v_and_b32_e32 v53, 0xffff0000, v53
	;; [unrolled: 1-line block ×3, first 2 shown]
	v_lshlrev_b32_e32 v63, 16, v56
	v_lshlrev_b32_e32 v95, 16, v60
	v_and_b32_e32 v51, 0xffff0000, v56
	v_lshlrev_b32_e32 v92, 16, v55
	v_and_b32_e32 v56, 0xffff0000, v55
	v_and_b32_e32 v55, 0xffff0000, v60
	v_lshlrev_b32_e32 v93, 16, v57
	v_lshlrev_b32_e32 v97, 16, v61
	;; [unrolled: 1-line block ×3, first 2 shown]
	v_and_b32_e32 v57, 0xffff0000, v57
	v_and_b32_e32 v61, 0xffff0000, v61
	;; [unrolled: 1-line block ×3, first 2 shown]
	s_waitcnt vmcnt(3)
	v_lshlrev_b32_e32 v58, 16, v84
	v_and_b32_e32 v84, 0xffff0000, v84
	v_pk_fma_f32 v[32:33], v[66:67], v[58:59], v[32:33] op_sel_hi:[1,0,1]
	v_pk_fma_f32 v[30:31], v[72:73], v[58:59], v[30:31] op_sel_hi:[1,0,1]
	v_lshlrev_b32_e32 v98, 16, v85
	v_pk_fma_f32 v[32:33], v[68:69], v[84:85], v[32:33] op_sel_hi:[1,0,1]
	v_pk_fma_f32 v[30:31], v[74:75], v[84:85], v[30:31] op_sel_hi:[1,0,1]
	v_and_b32_e32 v100, 0xffff0000, v85
	v_pk_fma_f32 v[32:33], v[64:65], v[98:99], v[32:33] op_sel_hi:[1,0,1]
	v_pk_fma_f32 v[30:31], v[70:71], v[98:99], v[30:31] op_sel_hi:[1,0,1]
	s_waitcnt vmcnt(2)
	v_lshlrev_b32_e32 v66, 16, v86
	v_pk_fma_f32 v[6:7], v[6:7], v[100:101], v[32:33] op_sel_hi:[1,0,1]
	v_pk_fma_f32 v[2:3], v[2:3], v[100:101], v[30:31] op_sel_hi:[1,0,1]
	v_and_b32_e32 v58, 0xffff0000, v86
	v_pk_fma_f32 v[4:5], v[4:5], v[66:67], v[6:7] op_sel_hi:[1,0,1]
	v_pk_fma_f32 v[0:1], v[0:1], v[66:67], v[2:3] op_sel_hi:[1,0,1]
	v_lshlrev_b32_e32 v72, 16, v87
	v_pk_fma_f32 v[2:3], v[76:77], v[58:59], v[4:5] op_sel_hi:[1,0,1]
	v_pk_fma_f32 v[0:1], v[8:9], v[58:59], v[0:1] op_sel_hi:[1,0,1]
	v_and_b32_e32 v86, 0xffff0000, v87
	v_pk_fma_f32 v[2:3], v[78:79], v[72:73], v[2:3] op_sel_hi:[1,0,1]
	v_pk_fma_f32 v[0:1], v[38:39], v[72:73], v[0:1] op_sel_hi:[1,0,1]
	s_waitcnt vmcnt(1)
	v_lshlrev_b32_e32 v68, 16, v88
	v_pk_fma_f32 v[2:3], v[14:15], v[86:87], v[2:3] op_sel_hi:[1,0,1]
	v_pk_fma_f32 v[0:1], v[40:41], v[86:87], v[0:1] op_sel_hi:[1,0,1]
	;; [unrolled: 13-line block ×3, first 2 shown]
	v_and_b32_e32 v70, 0xffff0000, v90
	v_pk_fma_f32 v[2:3], v[62:63], v[64:65], v[2:3] op_sel_hi:[1,0,1]
	v_pk_fma_f32 v[0:1], v[94:95], v[64:65], v[0:1] op_sel_hi:[1,0,1]
	v_lshlrev_b32_e32 v90, 16, v91
	v_pk_fma_f32 v[2:3], v[50:51], v[70:71], v[2:3] op_sel_hi:[1,0,1]
	v_pk_fma_f32 v[0:1], v[54:55], v[70:71], v[0:1] op_sel_hi:[1,0,1]
	v_and_b32_e32 v98, 0xffff0000, v91
	v_pk_fma_f32 v[2:3], v[92:93], v[90:91], v[2:3] op_sel_hi:[1,0,1]
	v_pk_fma_f32 v[0:1], v[96:97], v[90:91], v[0:1] op_sel_hi:[1,0,1]
	;; [unrolled: 1-line block ×4, first 2 shown]
	s_andn2_b64 exec, exec, s[14:15]
	s_cbranch_execnz .LBB117_23
; %bb.24:
	s_or_b64 exec, exec, s[14:15]
.LBB117_25:
	s_or_b64 exec, exec, s[10:11]
.LBB117_26:
	s_or_b64 exec, exec, s[8:9]
	s_cbranch_execz .LBB117_28
	s_branch .LBB117_39
.LBB117_27:
                                        ; implicit-def: $vgpr31
                                        ; implicit-def: $vgpr33
.LBB117_28:
	s_mov_b32 s8, 0
	v_mov_b32_e32 v31, 0
	v_mov_b32_e32 v30, 0
	;; [unrolled: 1-line block ×4, first 2 shown]
	s_and_saveexec_b64 s[2:3], s[0:1]
	s_cbranch_execz .LBB117_38
; %bb.29:
	v_or_b32_e32 v0, 16, v22
	v_mov_b32_e32 v1, s19
	v_subrev_co_u32_e32 v0, vcc, s22, v0
	v_subb_co_u32_e32 v1, vcc, 0, v1, vcc
	v_add_co_u32_e32 v0, vcc, v0, v16
	v_addc_co_u32_e32 v1, vcc, v1, v17, vcc
	v_cmp_gt_i64_e32 vcc, v[0:1], v[26:27]
	v_cndmask_b32_e32 v1, v27, v1, vcc
	v_cndmask_b32_e32 v0, v26, v0, vcc
	v_mov_b32_e32 v4, s19
	v_sub_co_u32_e32 v5, vcc, s22, v22
	v_not_b32_e32 v3, v16
	v_subbrev_co_u32_e32 v4, vcc, 0, v4, vcc
	v_not_b32_e32 v2, v17
	v_add_co_u32_e32 v3, vcc, v5, v3
	v_addc_co_u32_e32 v2, vcc, v4, v2, vcc
	v_add_co_u32_e32 v0, vcc, v3, v0
	v_addc_co_u32_e32 v1, vcc, v2, v1, vcc
	v_lshrrev_b32_e32 v2, 4, v0
	v_add_u32_e32 v2, 1, v2
	v_and_b32_e32 v2, 3, v2
	s_mov_b32 s9, s8
	v_cmp_ne_u32_e32 vcc, 0, v2
	v_pk_mov_b32 v[32:33], s[8:9], s[8:9] op_sel:[0,1]
	v_pk_mov_b32 v[30:31], s[8:9], s[8:9] op_sel:[0,1]
	s_and_saveexec_b64 s[8:9], vcc
	s_cbranch_execz .LBB117_33
; %bb.30:
	v_lshlrev_b64 v[4:5], 3, v[24:25]
	v_mov_b32_e32 v3, 0
	v_mov_b32_e32 v6, s13
	v_add_co_u32_e32 v4, vcc, s12, v4
	v_addc_co_u32_e32 v5, vcc, v6, v5, vcc
	v_lshlrev_b32_e32 v2, 2, v2
	s_mov_b64 s[10:11], 0
	v_mov_b32_e32 v6, s19
	v_mov_b32_e32 v7, s7
	s_movk_i32 s14, 0x200
	v_mov_b32_e32 v30, v3
	v_mov_b32_e32 v31, v3
	v_mov_b32_e32 v32, v3
	v_mov_b32_e32 v33, v3
.LBB117_31:                             ; =>This Inner Loop Header: Depth=1
	global_load_dwordx2 v[12:13], v[4:5], off
	global_load_dwordx4 v[8:11], v[28:29], off
	v_add_co_u32_e64 v24, s[0:1], 16, v24
	v_addc_co_u32_e64 v25, s[0:1], 0, v25, s[0:1]
	v_add_co_u32_e64 v2, s[0:1], -4, v2
	v_addc_co_u32_e64 v3, s[0:1], -1, v3, s[0:1]
	v_cmp_eq_u64_e64 s[0:1], 0, v[2:3]
	s_or_b64 s[10:11], s[0:1], s[10:11]
	s_waitcnt vmcnt(1)
	v_subrev_co_u32_e32 v12, vcc, s22, v12
	v_subb_co_u32_e32 v13, vcc, v13, v6, vcc
	v_lshlrev_b64 v[12:13], 3, v[12:13]
	v_add_co_u32_e32 v16, vcc, s6, v12
	v_addc_co_u32_e32 v17, vcc, v7, v13, vcc
	global_load_dwordx2 v[18:19], v[16:17], off
	global_load_dwordx4 v[12:15], v[28:29], off offset:16
	s_waitcnt vmcnt(2)
	v_and_b32_e32 v17, 0xffff0000, v8
	v_lshlrev_b32_e32 v16, 16, v8
	v_and_b32_e32 v35, 0xffff0000, v9
	v_lshlrev_b32_e32 v34, 16, v9
	;; [unrolled: 2-line block ×4, first 2 shown]
	v_add_co_u32_e32 v28, vcc, s14, v28
	v_addc_co_u32_e32 v29, vcc, 0, v29, vcc
	v_add_co_u32_e32 v4, vcc, 0x80, v4
	v_addc_co_u32_e32 v5, vcc, 0, v5, vcc
	s_waitcnt vmcnt(1)
	v_lshlrev_b32_e32 v42, 16, v19
	s_waitcnt vmcnt(0)
	v_and_b32_e32 v11, 0xffff0000, v12
	v_lshlrev_b32_e32 v10, 16, v12
	v_and_b32_e32 v39, 0xffff0000, v13
	v_lshlrev_b32_e32 v38, 16, v13
	;; [unrolled: 2-line block ×3, first 2 shown]
	v_lshlrev_b32_e32 v14, 16, v18
	v_and_b32_e32 v41, 0xffff0000, v15
	v_lshlrev_b32_e32 v40, 16, v15
	v_and_b32_e32 v18, 0xffff0000, v18
	v_pk_fma_f32 v[16:17], v[16:17], v[14:15], v[32:33] op_sel_hi:[1,0,1]
	v_pk_fma_f32 v[14:15], v[34:35], v[14:15], v[30:31] op_sel_hi:[1,0,1]
	;; [unrolled: 1-line block ×4, first 2 shown]
	v_and_b32_e32 v44, 0xffff0000, v19
	v_pk_fma_f32 v[8:9], v[10:11], v[42:43], v[8:9] op_sel_hi:[1,0,1]
	v_pk_fma_f32 v[10:11], v[38:39], v[42:43], v[14:15] op_sel_hi:[1,0,1]
	;; [unrolled: 1-line block ×4, first 2 shown]
	s_andn2_b64 exec, exec, s[10:11]
	s_cbranch_execnz .LBB117_31
; %bb.32:
	s_or_b64 exec, exec, s[10:11]
.LBB117_33:
	s_or_b64 exec, exec, s[8:9]
	v_cmp_lt_u64_e32 vcc, 47, v[0:1]
	s_and_saveexec_b64 s[8:9], vcc
	s_cbranch_execz .LBB117_37
; %bb.34:
	v_lshlrev_b64 v[0:1], 3, v[24:25]
	v_mov_b32_e32 v2, s13
	v_add_co_u32_e32 v0, vcc, s12, v0
	v_addc_co_u32_e32 v1, vcc, v1, v2, vcc
	v_add_co_u32_e32 v34, vcc, 0x100, v0
	v_addc_co_u32_e32 v35, vcc, 0, v1, vcc
	s_mov_b64 s[10:11], 0
	v_mov_b32_e32 v23, s19
	v_mov_b32_e32 v36, s7
	s_movk_i32 s7, 0x800
.LBB117_35:                             ; =>This Inner Loop Header: Depth=1
	global_load_dwordx4 v[4:7], v[28:29], off
	global_load_dwordx4 v[8:11], v[28:29], off offset:16
	global_load_dwordx4 v[0:3], v[28:29], off offset:512
	global_load_dwordx4 v[12:15], v[28:29], off offset:528
	global_load_dwordx4 v[16:19], v[28:29], off offset:1024
	global_load_dwordx2 v[50:51], v[34:35], off offset:-256
	global_load_dwordx2 v[52:53], v[34:35], off offset:-128
	global_load_dwordx2 v[54:55], v[34:35], off
	global_load_dwordx2 v[56:57], v[34:35], off offset:128
	global_load_dwordx4 v[38:41], v[28:29], off offset:1040
	global_load_dwordx4 v[42:45], v[28:29], off offset:1536
	;; [unrolled: 1-line block ×3, first 2 shown]
	v_add_co_u32_e32 v28, vcc, s7, v28
	v_addc_co_u32_e32 v29, vcc, 0, v29, vcc
	v_add_co_u32_e32 v34, vcc, 0x200, v34
	v_addc_co_u32_e32 v35, vcc, 0, v35, vcc
	v_add_co_u32_e64 v24, s[0:1], 64, v24
	v_addc_co_u32_e64 v25, s[0:1], 0, v25, s[0:1]
	v_cmp_ge_i64_e64 s[0:1], v[24:25], v[26:27]
	s_or_b64 s[10:11], s[0:1], s[10:11]
	s_waitcnt vmcnt(11)
	v_and_b32_e32 v59, 0xffff0000, v4
	v_lshlrev_b32_e32 v58, 16, v4
	s_waitcnt vmcnt(9)
	v_and_b32_e32 v67, 0xffff0000, v0
	v_lshlrev_b32_e32 v66, 16, v0
	v_and_b32_e32 v61, 0xffff0000, v5
	s_waitcnt vmcnt(6)
	v_subrev_co_u32_e32 v0, vcc, s22, v50
	v_lshlrev_b32_e32 v60, 16, v5
	v_and_b32_e32 v5, 0xffff0000, v6
	v_lshlrev_b32_e32 v4, 16, v6
	v_and_b32_e32 v63, 0xffff0000, v7
	;; [unrolled: 2-line block ×7, first 2 shown]
	v_lshlrev_b32_e32 v10, 16, v1
	v_subb_co_u32_e32 v1, vcc, v51, v23, vcc
	s_waitcnt vmcnt(5)
	v_subrev_co_u32_e32 v50, vcc, s22, v52
	v_subb_co_u32_e32 v51, vcc, v53, v23, vcc
	s_waitcnt vmcnt(4)
	v_subrev_co_u32_e32 v52, vcc, s22, v54
	;; [unrolled: 3-line block ×3, first 2 shown]
	v_subb_co_u32_e32 v55, vcc, v57, v23, vcc
	v_lshlrev_b64 v[0:1], 3, v[0:1]
	v_add_co_u32_e32 v0, vcc, s6, v0
	v_lshlrev_b64 v[50:51], 3, v[50:51]
	v_addc_co_u32_e32 v1, vcc, v36, v1, vcc
	v_add_co_u32_e32 v50, vcc, s6, v50
	v_lshlrev_b64 v[52:53], 3, v[52:53]
	v_addc_co_u32_e32 v51, vcc, v36, v51, vcc
	;; [unrolled: 3-line block ×3, first 2 shown]
	v_add_co_u32_e32 v54, vcc, s6, v54
	v_addc_co_u32_e32 v55, vcc, v36, v55, vcc
	global_load_dwordx2 v[56:57], v[0:1], off
	global_load_dwordx2 v[78:79], v[50:51], off
	;; [unrolled: 1-line block ×4, first 2 shown]
	s_waitcnt vmcnt(4)
	v_and_b32_e32 v89, 0xffff0000, v48
	v_lshlrev_b32_e32 v88, 16, v48
	v_and_b32_e32 v69, 0xffff0000, v2
	v_lshlrev_b32_e32 v68, 16, v2
	;; [unrolled: 2-line block ×22, first 2 shown]
	s_waitcnt vmcnt(3)
	v_lshlrev_b32_e32 v48, 16, v56
	v_and_b32_e32 v56, 0xffff0000, v56
	v_pk_fma_f32 v[32:33], v[58:59], v[48:49], v[32:33] op_sel_hi:[1,0,1]
	v_pk_fma_f32 v[30:31], v[60:61], v[48:49], v[30:31] op_sel_hi:[1,0,1]
	v_lshlrev_b32_e32 v92, 16, v57
	v_pk_fma_f32 v[4:5], v[4:5], v[56:57], v[32:33] op_sel_hi:[1,0,1]
	v_pk_fma_f32 v[30:31], v[62:63], v[56:57], v[30:31] op_sel_hi:[1,0,1]
	v_and_b32_e32 v94, 0xffff0000, v57
	v_pk_fma_f32 v[4:5], v[6:7], v[92:93], v[4:5] op_sel_hi:[1,0,1]
	v_pk_fma_f32 v[30:31], v[64:65], v[92:93], v[30:31] op_sel_hi:[1,0,1]
	s_waitcnt vmcnt(2)
	v_lshlrev_b32_e32 v58, 16, v78
	v_pk_fma_f32 v[4:5], v[8:9], v[94:95], v[4:5] op_sel_hi:[1,0,1]
	v_pk_fma_f32 v[8:9], v[76:77], v[94:95], v[30:31] op_sel_hi:[1,0,1]
	v_and_b32_e32 v48, 0xffff0000, v78
	v_pk_fma_f32 v[4:5], v[66:67], v[58:59], v[4:5] op_sel_hi:[1,0,1]
	v_pk_fma_f32 v[8:9], v[10:11], v[58:59], v[8:9] op_sel_hi:[1,0,1]
	v_lshlrev_b32_e32 v60, 16, v79
	v_pk_fma_f32 v[4:5], v[68:69], v[48:49], v[4:5] op_sel_hi:[1,0,1]
	v_pk_fma_f32 v[0:1], v[0:1], v[48:49], v[8:9] op_sel_hi:[1,0,1]
	v_and_b32_e32 v78, 0xffff0000, v79
	v_pk_fma_f32 v[4:5], v[70:71], v[60:61], v[4:5] op_sel_hi:[1,0,1]
	v_pk_fma_f32 v[0:1], v[2:3], v[60:61], v[0:1] op_sel_hi:[1,0,1]
	s_waitcnt vmcnt(1)
	v_lshlrev_b32_e32 v32, 16, v80
	v_pk_fma_f32 v[2:3], v[72:73], v[78:79], v[4:5] op_sel_hi:[1,0,1]
	v_pk_fma_f32 v[0:1], v[12:13], v[78:79], v[0:1] op_sel_hi:[1,0,1]
	;; [unrolled: 13-line block ×3, first 2 shown]
	v_and_b32_e32 v64, 0xffff0000, v82
	v_pk_fma_f32 v[2:3], v[40:41], v[6:7], v[2:3] op_sel_hi:[1,0,1]
	v_pk_fma_f32 v[0:1], v[84:85], v[6:7], v[0:1] op_sel_hi:[1,0,1]
	v_lshlrev_b32_e32 v82, 16, v83
	v_pk_fma_f32 v[2:3], v[42:43], v[64:65], v[2:3] op_sel_hi:[1,0,1]
	v_pk_fma_f32 v[0:1], v[86:87], v[64:65], v[0:1] op_sel_hi:[1,0,1]
	v_and_b32_e32 v92, 0xffff0000, v83
	v_pk_fma_f32 v[2:3], v[44:45], v[82:83], v[2:3] op_sel_hi:[1,0,1]
	v_pk_fma_f32 v[0:1], v[90:91], v[82:83], v[0:1] op_sel_hi:[1,0,1]
	;; [unrolled: 1-line block ×4, first 2 shown]
	s_andn2_b64 exec, exec, s[10:11]
	s_cbranch_execnz .LBB117_35
; %bb.36:
	s_or_b64 exec, exec, s[10:11]
.LBB117_37:
	s_or_b64 exec, exec, s[8:9]
.LBB117_38:
	s_or_b64 exec, exec, s[2:3]
.LBB117_39:
	v_mov_b32_dpp v0, v32 row_shr:1 row_mask:0xf bank_mask:0xf
	v_mov_b32_dpp v1, v33 row_shr:1 row_mask:0xf bank_mask:0xf
	v_mov_b32_dpp v4, v30 row_shr:1 row_mask:0xf bank_mask:0xf
	v_mov_b32_dpp v5, v31 row_shr:1 row_mask:0xf bank_mask:0xf
	v_pk_add_f32 v[0:1], v[32:33], v[0:1]
	v_pk_add_f32 v[4:5], v[30:31], v[4:5]
	v_cmp_eq_u32_e32 vcc, 15, v22
	v_mov_b32_dpp v2, v0 row_shr:2 row_mask:0xf bank_mask:0xf
	v_mov_b32_dpp v3, v1 row_shr:2 row_mask:0xf bank_mask:0xf
	;; [unrolled: 1-line block ×4, first 2 shown]
	v_pk_add_f32 v[0:1], v[0:1], v[2:3]
	v_pk_add_f32 v[4:5], v[4:5], v[6:7]
	s_nop 0
	v_mov_b32_dpp v2, v0 row_shr:4 row_mask:0xf bank_mask:0xe
	v_mov_b32_dpp v3, v1 row_shr:4 row_mask:0xf bank_mask:0xe
	;; [unrolled: 1-line block ×4, first 2 shown]
	v_pk_add_f32 v[0:1], v[0:1], v[2:3]
	v_pk_add_f32 v[4:5], v[4:5], v[6:7]
	s_nop 0
	v_mov_b32_dpp v2, v0 row_shr:8 row_mask:0xf bank_mask:0xc
	v_mov_b32_dpp v3, v1 row_shr:8 row_mask:0xf bank_mask:0xc
	;; [unrolled: 1-line block ×4, first 2 shown]
	s_and_b64 exec, exec, vcc
	s_cbranch_execz .LBB117_10
; %bb.40:
	s_load_dwordx2 s[0:1], s[4:5], 0x58
	v_cmp_eq_f32_e64 s[2:3], s20, 0
	v_pk_add_f32 v[2:3], v[0:1], v[2:3]
	v_pk_add_f32 v[0:1], v[4:5], v[6:7]
	s_and_b64 vcc, exec, s[2:3]
	v_lshlrev_b64 v[4:5], 4, v[20:21]
	s_cbranch_vccz .LBB117_42
; %bb.41:
	s_waitcnt lgkmcnt(0)
	v_mov_b32_e32 v6, s1
	v_add_co_u32_e32 v10, vcc, s0, v4
	v_addc_co_u32_e32 v11, vcc, v6, v5, vcc
	v_pk_mul_f32 v[6:7], s[16:17], v[2:3] op_sel_hi:[0,1]
	v_pk_mul_f32 v[8:9], s[16:17], v[0:1] op_sel_hi:[0,1]
	global_store_dwordx4 v[10:11], v[6:9], off
	s_cbranch_execnz .LBB117_10
	s_branch .LBB117_43
.LBB117_42:
.LBB117_43:
	s_waitcnt lgkmcnt(0)
	v_mov_b32_e32 v6, s1
	v_add_co_u32_e32 v8, vcc, s0, v4
	v_addc_co_u32_e32 v9, vcc, v6, v5, vcc
	global_load_dwordx4 v[4:7], v[8:9], off
	v_pk_mul_f32 v[2:3], s[16:17], v[2:3] op_sel_hi:[0,1]
	v_pk_mul_f32 v[10:11], s[16:17], v[0:1] op_sel_hi:[0,1]
	s_waitcnt vmcnt(0)
	v_pk_fma_f32 v[0:1], s[20:21], v[4:5], v[2:3] op_sel_hi:[0,1,1]
	v_pk_fma_f32 v[2:3], s[20:21], v[6:7], v[10:11] op_sel_hi:[0,1,1]
	global_store_dwordx4 v[8:9], v[0:3], off
	s_endpgm
	.section	.rodata,"a",@progbits
	.p2align	6, 0x0
	.amdhsa_kernel _ZN9rocsparseL18bsrxmvn_4x4_kernelILj128ELj16Efll18rocsparse_bfloat16S1_fEEvT3_20rocsparse_direction_NS_24const_host_device_scalarIT1_EES2_PKS2_PKT2_SB_S8_PKT4_PKT5_S6_PT6_21rocsparse_index_base_b
		.amdhsa_group_segment_fixed_size 0
		.amdhsa_private_segment_fixed_size 0
		.amdhsa_kernarg_size 104
		.amdhsa_user_sgpr_count 6
		.amdhsa_user_sgpr_private_segment_buffer 1
		.amdhsa_user_sgpr_dispatch_ptr 0
		.amdhsa_user_sgpr_queue_ptr 0
		.amdhsa_user_sgpr_kernarg_segment_ptr 1
		.amdhsa_user_sgpr_dispatch_id 0
		.amdhsa_user_sgpr_flat_scratch_init 0
		.amdhsa_user_sgpr_kernarg_preload_length 0
		.amdhsa_user_sgpr_kernarg_preload_offset 0
		.amdhsa_user_sgpr_private_segment_size 0
		.amdhsa_uses_dynamic_stack 0
		.amdhsa_system_sgpr_private_segment_wavefront_offset 0
		.amdhsa_system_sgpr_workgroup_id_x 1
		.amdhsa_system_sgpr_workgroup_id_y 0
		.amdhsa_system_sgpr_workgroup_id_z 0
		.amdhsa_system_sgpr_workgroup_info 0
		.amdhsa_system_vgpr_workitem_id 0
		.amdhsa_next_free_vgpr 102
		.amdhsa_next_free_sgpr 24
		.amdhsa_accum_offset 104
		.amdhsa_reserve_vcc 1
		.amdhsa_reserve_flat_scratch 0
		.amdhsa_float_round_mode_32 0
		.amdhsa_float_round_mode_16_64 0
		.amdhsa_float_denorm_mode_32 3
		.amdhsa_float_denorm_mode_16_64 3
		.amdhsa_dx10_clamp 1
		.amdhsa_ieee_mode 1
		.amdhsa_fp16_overflow 0
		.amdhsa_tg_split 0
		.amdhsa_exception_fp_ieee_invalid_op 0
		.amdhsa_exception_fp_denorm_src 0
		.amdhsa_exception_fp_ieee_div_zero 0
		.amdhsa_exception_fp_ieee_overflow 0
		.amdhsa_exception_fp_ieee_underflow 0
		.amdhsa_exception_fp_ieee_inexact 0
		.amdhsa_exception_int_div_zero 0
	.end_amdhsa_kernel
	.section	.text._ZN9rocsparseL18bsrxmvn_4x4_kernelILj128ELj16Efll18rocsparse_bfloat16S1_fEEvT3_20rocsparse_direction_NS_24const_host_device_scalarIT1_EES2_PKS2_PKT2_SB_S8_PKT4_PKT5_S6_PT6_21rocsparse_index_base_b,"axG",@progbits,_ZN9rocsparseL18bsrxmvn_4x4_kernelILj128ELj16Efll18rocsparse_bfloat16S1_fEEvT3_20rocsparse_direction_NS_24const_host_device_scalarIT1_EES2_PKS2_PKT2_SB_S8_PKT4_PKT5_S6_PT6_21rocsparse_index_base_b,comdat
.Lfunc_end117:
	.size	_ZN9rocsparseL18bsrxmvn_4x4_kernelILj128ELj16Efll18rocsparse_bfloat16S1_fEEvT3_20rocsparse_direction_NS_24const_host_device_scalarIT1_EES2_PKS2_PKT2_SB_S8_PKT4_PKT5_S6_PT6_21rocsparse_index_base_b, .Lfunc_end117-_ZN9rocsparseL18bsrxmvn_4x4_kernelILj128ELj16Efll18rocsparse_bfloat16S1_fEEvT3_20rocsparse_direction_NS_24const_host_device_scalarIT1_EES2_PKS2_PKT2_SB_S8_PKT4_PKT5_S6_PT6_21rocsparse_index_base_b
                                        ; -- End function
	.section	.AMDGPU.csdata,"",@progbits
; Kernel info:
; codeLenInByte = 4208
; NumSgprs: 28
; NumVgprs: 102
; NumAgprs: 0
; TotalNumVgprs: 102
; ScratchSize: 0
; MemoryBound: 0
; FloatMode: 240
; IeeeMode: 1
; LDSByteSize: 0 bytes/workgroup (compile time only)
; SGPRBlocks: 3
; VGPRBlocks: 12
; NumSGPRsForWavesPerEU: 28
; NumVGPRsForWavesPerEU: 102
; AccumOffset: 104
; Occupancy: 4
; WaveLimiterHint : 1
; COMPUTE_PGM_RSRC2:SCRATCH_EN: 0
; COMPUTE_PGM_RSRC2:USER_SGPR: 6
; COMPUTE_PGM_RSRC2:TRAP_HANDLER: 0
; COMPUTE_PGM_RSRC2:TGID_X_EN: 1
; COMPUTE_PGM_RSRC2:TGID_Y_EN: 0
; COMPUTE_PGM_RSRC2:TGID_Z_EN: 0
; COMPUTE_PGM_RSRC2:TIDIG_COMP_CNT: 0
; COMPUTE_PGM_RSRC3_GFX90A:ACCUM_OFFSET: 25
; COMPUTE_PGM_RSRC3_GFX90A:TG_SPLIT: 0
	.section	.text._ZN9rocsparseL18bsrxmvn_4x4_kernelILj128ELj32Efll18rocsparse_bfloat16S1_fEEvT3_20rocsparse_direction_NS_24const_host_device_scalarIT1_EES2_PKS2_PKT2_SB_S8_PKT4_PKT5_S6_PT6_21rocsparse_index_base_b,"axG",@progbits,_ZN9rocsparseL18bsrxmvn_4x4_kernelILj128ELj32Efll18rocsparse_bfloat16S1_fEEvT3_20rocsparse_direction_NS_24const_host_device_scalarIT1_EES2_PKS2_PKT2_SB_S8_PKT4_PKT5_S6_PT6_21rocsparse_index_base_b,comdat
	.globl	_ZN9rocsparseL18bsrxmvn_4x4_kernelILj128ELj32Efll18rocsparse_bfloat16S1_fEEvT3_20rocsparse_direction_NS_24const_host_device_scalarIT1_EES2_PKS2_PKT2_SB_S8_PKT4_PKT5_S6_PT6_21rocsparse_index_base_b ; -- Begin function _ZN9rocsparseL18bsrxmvn_4x4_kernelILj128ELj32Efll18rocsparse_bfloat16S1_fEEvT3_20rocsparse_direction_NS_24const_host_device_scalarIT1_EES2_PKS2_PKT2_SB_S8_PKT4_PKT5_S6_PT6_21rocsparse_index_base_b
	.p2align	8
	.type	_ZN9rocsparseL18bsrxmvn_4x4_kernelILj128ELj32Efll18rocsparse_bfloat16S1_fEEvT3_20rocsparse_direction_NS_24const_host_device_scalarIT1_EES2_PKS2_PKT2_SB_S8_PKT4_PKT5_S6_PT6_21rocsparse_index_base_b,@function
_ZN9rocsparseL18bsrxmvn_4x4_kernelILj128ELj32Efll18rocsparse_bfloat16S1_fEEvT3_20rocsparse_direction_NS_24const_host_device_scalarIT1_EES2_PKS2_PKT2_SB_S8_PKT4_PKT5_S6_PT6_21rocsparse_index_base_b: ; @_ZN9rocsparseL18bsrxmvn_4x4_kernelILj128ELj32Efll18rocsparse_bfloat16S1_fEEvT3_20rocsparse_direction_NS_24const_host_device_scalarIT1_EES2_PKS2_PKT2_SB_S8_PKT4_PKT5_S6_PT6_21rocsparse_index_base_b
; %bb.0:
	s_load_dwordx2 s[22:23], s[4:5], 0x60
	s_load_dwordx4 s[16:19], s[4:5], 0x10
	s_load_dwordx2 s[20:21], s[4:5], 0x50
	s_waitcnt lgkmcnt(0)
	s_bitcmp1_b32 s23, 0
	s_cselect_b64 s[2:3], -1, 0
	s_xor_b64 s[0:1], s[2:3], -1
	s_and_b64 vcc, exec, s[2:3]
	s_cbranch_vccnz .LBB118_2
; %bb.1:
	s_load_dword s16, s[16:17], 0x0
.LBB118_2:
	s_andn2_b64 vcc, exec, s[0:1]
	s_cbranch_vccnz .LBB118_4
; %bb.3:
	s_load_dword s20, s[20:21], 0x0
.LBB118_4:
	s_waitcnt lgkmcnt(0)
	v_cmp_neq_f32_e64 s[0:1], s16, 0
	v_cmp_neq_f32_e64 s[2:3], s20, 1.0
	s_or_b64 s[0:1], s[0:1], s[2:3]
	s_andn2_b64 vcc, exec, s[0:1]
	s_cbranch_vccnz .LBB118_10
; %bb.5:
	s_load_dwordx2 s[2:3], s[4:5], 0x20
	v_lshrrev_b32_e32 v1, 5, v0
	v_lshl_or_b32 v2, s6, 2, v1
	v_mov_b32_e32 v3, 0
	s_mov_b64 s[0:1], 0
	s_waitcnt lgkmcnt(0)
	s_cmp_lg_u64 s[2:3], 0
	s_cbranch_scc0 .LBB118_11
; %bb.6:
	v_cmp_gt_i64_e32 vcc, s[18:19], v[2:3]
                                        ; implicit-def: $vgpr24_vgpr25
	s_and_saveexec_b64 s[6:7], vcc
	s_xor_b64 s[6:7], exec, s[6:7]
                                        ; implicit-def: $sgpr18_sgpr19
	s_cbranch_execz .LBB118_8
; %bb.7:
	v_lshlrev_b64 v[4:5], 3, v[2:3]
	v_mov_b32_e32 v1, s3
	v_add_co_u32_e32 v4, vcc, s2, v4
	v_addc_co_u32_e32 v5, vcc, v1, v5, vcc
	global_load_dwordx2 v[4:5], v[4:5], off
	s_mov_b64 s[0:1], exec
	s_mov_b32 s19, 0
	s_waitcnt vmcnt(0)
	v_subrev_co_u32_e32 v24, vcc, s22, v4
	v_subbrev_co_u32_e32 v25, vcc, 0, v5, vcc
.LBB118_8:
	s_or_b64 exec, exec, s[6:7]
.LBB118_9:
	s_and_saveexec_b64 s[2:3], s[0:1]
	s_cbranch_execnz .LBB118_15
.LBB118_10:
	s_endpgm
.LBB118_11:
                                        ; implicit-def: $vgpr24_vgpr25
                                        ; implicit-def: $sgpr18_sgpr19
	s_cbranch_execz .LBB118_9
; %bb.12:
	s_load_dwordx2 s[2:3], s[4:5], 0x0
                                        ; implicit-def: $vgpr24_vgpr25
	s_waitcnt lgkmcnt(0)
	v_cmp_gt_i64_e32 vcc, s[2:3], v[2:3]
	s_and_saveexec_b64 s[2:3], vcc
                                        ; implicit-def: $sgpr18_sgpr19
; %bb.13:
	s_mov_b32 s19, 0
	s_or_b64 s[0:1], s[0:1], exec
	v_pk_mov_b32 v[24:25], v[2:3], v[2:3] op_sel:[0,1]
; %bb.14:
	s_or_b64 exec, exec, s[2:3]
	s_and_saveexec_b64 s[2:3], s[0:1]
	s_cbranch_execz .LBB118_10
.LBB118_15:
	s_load_dwordx8 s[8:15], s[4:5], 0x28
	v_lshlrev_b64 v[2:3], 3, v[24:25]
	v_and_b32_e32 v26, 31, v0
	v_mov_b32_e32 v0, s19
	v_mov_b32_e32 v35, 0
	s_waitcnt lgkmcnt(0)
	v_mov_b32_e32 v1, s9
	v_add_co_u32_e32 v4, vcc, s8, v2
	v_addc_co_u32_e32 v5, vcc, v1, v3, vcc
	v_add_co_u32_e32 v1, vcc, 8, v4
	global_load_dwordx2 v[38:39], v[4:5], off
	v_addc_co_u32_e32 v4, vcc, 0, v5, vcc
	v_mov_b32_e32 v5, s11
	v_add_co_u32_e32 v2, vcc, s10, v2
	s_cmp_eq_u64 s[10:11], 0
	v_addc_co_u32_e32 v3, vcc, v5, v3, vcc
	s_cselect_b64 vcc, -1, 0
	v_cndmask_b32_e32 v3, v3, v4, vcc
	v_cndmask_b32_e32 v2, v2, v1, vcc
	global_load_dwordx2 v[2:3], v[2:3], off
	s_load_dwordx2 s[6:7], s[4:5], 0x48
	s_load_dword s0, s[4:5], 0x8
	v_mov_b32_e32 v4, s15
	s_waitcnt lgkmcnt(0)
	s_cmp_eq_u32 s0, 1
	s_waitcnt vmcnt(1)
	v_subrev_co_u32_e32 v1, vcc, s22, v38
	v_subb_co_u32_e32 v5, vcc, v39, v0, vcc
	v_add_co_u32_e32 v28, vcc, v1, v26
	v_addc_co_u32_e32 v29, vcc, 0, v5, vcc
	s_waitcnt vmcnt(0)
	v_subrev_co_u32_e32 v30, vcc, s22, v2
	v_subb_co_u32_e32 v31, vcc, v3, v0, vcc
	v_lshlrev_b64 v[0:1], 5, v[28:29]
	v_add_co_u32_e32 v32, vcc, s14, v0
	v_addc_co_u32_e32 v33, vcc, v4, v1, vcc
	v_cmp_lt_i64_e64 s[0:1], v[28:29], v[30:31]
	s_cbranch_scc1 .LBB118_27
; %bb.16:
	s_mov_b32 s2, 0
	v_mov_b32_e32 v34, 0
	v_mov_b32_e32 v37, 0
	;; [unrolled: 1-line block ×3, first 2 shown]
	s_and_saveexec_b64 s[8:9], s[0:1]
	s_cbranch_execz .LBB118_26
; %bb.17:
	v_or_b32_e32 v0, 32, v26
	v_mov_b32_e32 v1, s19
	v_subrev_co_u32_e32 v0, vcc, s22, v0
	v_subb_co_u32_e32 v1, vcc, 0, v1, vcc
	v_add_co_u32_e32 v0, vcc, v0, v38
	v_addc_co_u32_e32 v1, vcc, v1, v39, vcc
	v_cmp_gt_i64_e32 vcc, v[0:1], v[30:31]
	v_cndmask_b32_e32 v1, v31, v1, vcc
	v_cndmask_b32_e32 v0, v30, v0, vcc
	v_mov_b32_e32 v4, s19
	v_sub_co_u32_e32 v5, vcc, s22, v26
	v_not_b32_e32 v3, v38
	v_subbrev_co_u32_e32 v4, vcc, 0, v4, vcc
	v_not_b32_e32 v2, v39
	v_add_co_u32_e32 v3, vcc, v5, v3
	v_addc_co_u32_e32 v2, vcc, v4, v2, vcc
	v_add_co_u32_e32 v0, vcc, v3, v0
	v_addc_co_u32_e32 v1, vcc, v2, v1, vcc
	v_lshrrev_b32_e32 v2, 5, v0
	v_add_u32_e32 v2, 1, v2
	v_and_b32_e32 v2, 3, v2
	s_mov_b32 s3, s2
	v_cmp_ne_u32_e32 vcc, 0, v2
	v_pk_mov_b32 v[36:37], s[2:3], s[2:3] op_sel:[0,1]
	v_pk_mov_b32 v[34:35], s[2:3], s[2:3] op_sel:[0,1]
	;; [unrolled: 1-line block ×4, first 2 shown]
	s_and_saveexec_b64 s[10:11], vcc
	s_cbranch_execz .LBB118_21
; %bb.18:
	v_lshlrev_b64 v[4:5], 3, v[28:29]
	v_mov_b32_e32 v3, 0
	v_mov_b32_e32 v6, s13
	v_add_co_u32_e32 v4, vcc, s12, v4
	v_addc_co_u32_e32 v5, vcc, v6, v5, vcc
	v_lshlrev_b32_e32 v2, 2, v2
	s_mov_b64 s[14:15], 0
	v_mov_b32_e32 v6, s19
	v_mov_b32_e32 v7, s7
	s_movk_i32 s17, 0x400
	v_pk_mov_b32 v[42:43], v[32:33], v[32:33] op_sel:[0,1]
	v_pk_mov_b32 v[40:41], v[28:29], v[28:29] op_sel:[0,1]
	v_mov_b32_e32 v34, v3
	v_mov_b32_e32 v35, v3
	;; [unrolled: 1-line block ×4, first 2 shown]
.LBB118_19:                             ; =>This Inner Loop Header: Depth=1
	global_load_dwordx2 v[16:17], v[4:5], off
	global_load_dwordx4 v[8:11], v[42:43], off
	global_load_dwordx4 v[12:15], v[42:43], off offset:16
	v_add_co_u32_e64 v40, s[2:3], 32, v40
	v_addc_co_u32_e64 v41, s[2:3], 0, v41, s[2:3]
	v_add_co_u32_e64 v2, s[2:3], -4, v2
	v_addc_co_u32_e64 v3, s[2:3], -1, v3, s[2:3]
	v_cmp_eq_u64_e64 s[2:3], 0, v[2:3]
	s_or_b64 s[14:15], s[2:3], s[14:15]
	s_waitcnt vmcnt(2)
	v_subrev_co_u32_e32 v16, vcc, s22, v16
	v_subb_co_u32_e32 v17, vcc, v17, v6, vcc
	v_lshlrev_b64 v[16:17], 3, v[16:17]
	v_add_co_u32_e32 v16, vcc, s6, v16
	v_addc_co_u32_e32 v17, vcc, v7, v17, vcc
	global_load_dwordx2 v[16:17], v[16:17], off
	s_waitcnt vmcnt(2)
	v_lshlrev_b32_e32 v21, 16, v10
	v_lshlrev_b32_e32 v20, 16, v8
	v_and_b32_e32 v23, 0xffff0000, v10
	v_lshlrev_b32_e32 v45, 16, v11
	v_and_b32_e32 v19, 0xffff0000, v11
	s_waitcnt vmcnt(1)
	v_lshlrev_b32_e32 v11, 16, v14
	v_lshlrev_b32_e32 v10, 16, v12
	v_and_b32_e32 v46, 0xffff0000, v12
	v_add_co_u32_e32 v42, vcc, s17, v42
	v_and_b32_e32 v22, 0xffff0000, v8
	v_and_b32_e32 v47, 0xffff0000, v14
	v_addc_co_u32_e32 v43, vcc, 0, v43, vcc
	v_lshlrev_b32_e32 v44, 16, v9
	v_and_b32_e32 v8, 0xffff0000, v13
	v_lshlrev_b32_e32 v49, 16, v15
	v_lshlrev_b32_e32 v48, 16, v13
	v_add_co_u32_e32 v4, vcc, 0x100, v4
	v_and_b32_e32 v18, 0xffff0000, v9
	v_and_b32_e32 v9, 0xffff0000, v15
	v_addc_co_u32_e32 v5, vcc, 0, v5, vcc
	s_waitcnt vmcnt(0)
	v_lshlrev_b32_e32 v12, 16, v16
	v_and_b32_e32 v14, 0xffff0000, v16
	v_pk_fma_f32 v[20:21], v[20:21], v[12:13], v[36:37] op_sel_hi:[1,0,1]
	v_pk_fma_f32 v[10:11], v[10:11], v[12:13], v[34:35] op_sel_hi:[1,0,1]
	v_lshlrev_b32_e32 v16, 16, v17
	v_pk_fma_f32 v[12:13], v[22:23], v[14:15], v[20:21] op_sel_hi:[1,0,1]
	v_pk_fma_f32 v[10:11], v[46:47], v[14:15], v[10:11] op_sel_hi:[1,0,1]
	v_and_b32_e32 v50, 0xffff0000, v17
	v_pk_fma_f32 v[12:13], v[44:45], v[16:17], v[12:13] op_sel_hi:[1,0,1]
	v_pk_fma_f32 v[10:11], v[48:49], v[16:17], v[10:11] op_sel_hi:[1,0,1]
	;; [unrolled: 1-line block ×4, first 2 shown]
	s_andn2_b64 exec, exec, s[14:15]
	s_cbranch_execnz .LBB118_19
; %bb.20:
	s_or_b64 exec, exec, s[14:15]
.LBB118_21:
	s_or_b64 exec, exec, s[10:11]
	s_mov_b64 s[2:3], 0x5f
	v_cmp_lt_u64_e32 vcc, s[2:3], v[0:1]
	s_and_saveexec_b64 s[2:3], vcc
	s_cbranch_execz .LBB118_25
; %bb.22:
	v_lshlrev_b64 v[0:1], 3, v[40:41]
	v_mov_b32_e32 v2, s13
	v_add_co_u32_e32 v0, vcc, s12, v0
	v_addc_co_u32_e32 v1, vcc, v1, v2, vcc
	v_add_co_u32_e32 v44, vcc, 0x200, v0
	v_addc_co_u32_e32 v45, vcc, 0, v1, vcc
	s_mov_b64 s[10:11], 0
	v_mov_b32_e32 v27, s19
	v_mov_b32_e32 v52, s7
	s_movk_i32 s14, 0x1000
.LBB118_23:                             ; =>This Inner Loop Header: Depth=1
	global_load_dwordx2 v[62:63], v[44:45], off offset:-512
	global_load_dwordx4 v[4:7], v[42:43], off
	global_load_dwordx4 v[20:23], v[42:43], off offset:16
	global_load_dwordx2 v[50:51], v[44:45], off offset:-256
	global_load_dwordx2 v[48:49], v[44:45], off
	global_load_dwordx2 v[46:47], v[44:45], off offset:256
	global_load_dwordx4 v[12:15], v[42:43], off offset:3072
	global_load_dwordx4 v[54:57], v[42:43], off offset:1024
	;; [unrolled: 1-line block ×6, first 2 shown]
	v_add_co_u32_e32 v42, vcc, s14, v42
	v_addc_co_u32_e32 v43, vcc, 0, v43, vcc
	v_add_co_u32_e32 v40, vcc, 0x80, v40
	v_addc_co_u32_e32 v41, vcc, 0, v41, vcc
	;; [unrolled: 2-line block ×3, first 2 shown]
	v_cmp_ge_i64_e32 vcc, v[40:41], v[30:31]
	s_or_b64 s[10:11], vcc, s[10:11]
	s_waitcnt vmcnt(11)
	v_subrev_co_u32_e32 v62, vcc, s22, v62
	v_subb_co_u32_e32 v63, vcc, v63, v27, vcc
	s_waitcnt vmcnt(10)
	v_lshlrev_b32_e32 v67, 16, v6
	v_and_b32_e32 v69, 0xffff0000, v6
	s_waitcnt vmcnt(9)
	v_lshlrev_b32_e32 v6, 16, v20
	v_and_b32_e32 v72, 0xffff0000, v20
	s_waitcnt vmcnt(8)
	v_subrev_co_u32_e32 v20, vcc, s22, v50
	v_lshlrev_b32_e32 v66, 16, v4
	v_and_b32_e32 v68, 0xffff0000, v4
	v_and_b32_e32 v4, 0xffff0000, v21
	v_lshlrev_b32_e32 v74, 16, v21
	v_subb_co_u32_e32 v21, vcc, v51, v27, vcc
	v_lshlrev_b32_e32 v71, 16, v7
	v_and_b32_e32 v65, 0xffff0000, v7
	v_lshlrev_b32_e32 v7, 16, v22
	v_and_b32_e32 v73, 0xffff0000, v22
	s_waitcnt vmcnt(7)
	v_subrev_co_u32_e32 v22, vcc, s22, v48
	v_and_b32_e32 v64, 0xffff0000, v5
	v_lshlrev_b32_e32 v70, 16, v5
	v_lshlrev_b32_e32 v75, 16, v23
	v_and_b32_e32 v5, 0xffff0000, v23
	v_subb_co_u32_e32 v23, vcc, v49, v27, vcc
	s_waitcnt vmcnt(6)
	v_subrev_co_u32_e32 v46, vcc, s22, v46
	v_subb_co_u32_e32 v47, vcc, v47, v27, vcc
	v_lshlrev_b64 v[62:63], 3, v[62:63]
	v_add_co_u32_e32 v62, vcc, s6, v62
	v_lshlrev_b64 v[20:21], 3, v[20:21]
	v_addc_co_u32_e32 v63, vcc, v52, v63, vcc
	v_add_co_u32_e32 v20, vcc, s6, v20
	v_lshlrev_b64 v[22:23], 3, v[22:23]
	v_addc_co_u32_e32 v21, vcc, v52, v21, vcc
	;; [unrolled: 3-line block ×3, first 2 shown]
	v_add_co_u32_e32 v46, vcc, s6, v46
	v_addc_co_u32_e32 v47, vcc, v52, v47, vcc
	global_load_dwordx2 v[82:83], v[62:63], off
	global_load_dwordx2 v[84:85], v[20:21], off
	;; [unrolled: 1-line block ×4, first 2 shown]
	s_waitcnt vmcnt(6)
	v_lshlrev_b32_e32 v46, 16, v8
	v_and_b32_e32 v62, 0xffff0000, v8
	s_waitcnt vmcnt(5)
	v_lshlrev_b32_e32 v8, 16, v0
	v_and_b32_e32 v92, 0xffff0000, v0
	;; [unrolled: 3-line block ×3, first 2 shown]
	v_lshlrev_b32_e32 v51, 16, v56
	v_lshlrev_b32_e32 v50, 16, v54
	;; [unrolled: 1-line block ×3, first 2 shown]
	v_and_b32_e32 v77, 0xffff0000, v56
	v_and_b32_e32 v76, 0xffff0000, v54
	v_and_b32_e32 v63, 0xffff0000, v10
	v_lshlrev_b32_e32 v79, 16, v57
	v_lshlrev_b32_e32 v78, 16, v55
	;; [unrolled: 1-line block ×4, first 2 shown]
	v_and_b32_e32 v57, 0xffff0000, v57
	v_and_b32_e32 v56, 0xffff0000, v55
	;; [unrolled: 1-line block ×4, first 2 shown]
	v_lshlrev_b32_e32 v55, 16, v18
	v_lshlrev_b32_e32 v54, 16, v16
	;; [unrolled: 1-line block ×3, first 2 shown]
	v_and_b32_e32 v81, 0xffff0000, v18
	v_and_b32_e32 v80, 0xffff0000, v16
	;; [unrolled: 1-line block ×3, first 2 shown]
	v_lshlrev_b32_e32 v21, 16, v19
	v_lshlrev_b32_e32 v20, 16, v17
	;; [unrolled: 1-line block ×4, first 2 shown]
	v_and_b32_e32 v19, 0xffff0000, v19
	v_and_b32_e32 v18, 0xffff0000, v17
	;; [unrolled: 1-line block ×4, first 2 shown]
	v_lshlrev_b32_e32 v17, 16, v14
	v_lshlrev_b32_e32 v16, 16, v12
	;; [unrolled: 1-line block ×3, first 2 shown]
	v_and_b32_e32 v23, 0xffff0000, v14
	v_and_b32_e32 v22, 0xffff0000, v12
	;; [unrolled: 1-line block ×3, first 2 shown]
	v_lshlrev_b32_e32 v48, 16, v13
	v_lshlrev_b32_e32 v49, 16, v15
	v_and_b32_e32 v14, 0xffff0000, v13
	v_lshlrev_b32_e32 v12, 16, v59
	v_lshlrev_b32_e32 v13, 16, v61
	v_and_b32_e32 v15, 0xffff0000, v15
	v_and_b32_e32 v61, 0xffff0000, v61
	;; [unrolled: 1-line block ×3, first 2 shown]
	s_waitcnt vmcnt(3)
	v_lshlrev_b32_e32 v58, 16, v82
	v_and_b32_e32 v82, 0xffff0000, v82
	v_pk_fma_f32 v[36:37], v[66:67], v[58:59], v[36:37] op_sel_hi:[1,0,1]
	v_pk_fma_f32 v[6:7], v[6:7], v[58:59], v[34:35] op_sel_hi:[1,0,1]
	v_lshlrev_b32_e32 v98, 16, v83
	v_pk_fma_f32 v[36:37], v[68:69], v[82:83], v[36:37] op_sel_hi:[1,0,1]
	v_pk_fma_f32 v[6:7], v[72:73], v[82:83], v[6:7] op_sel_hi:[1,0,1]
	v_and_b32_e32 v100, 0xffff0000, v83
	v_pk_fma_f32 v[36:37], v[70:71], v[98:99], v[36:37] op_sel_hi:[1,0,1]
	v_pk_fma_f32 v[6:7], v[74:75], v[98:99], v[6:7] op_sel_hi:[1,0,1]
	s_waitcnt vmcnt(2)
	v_lshlrev_b32_e32 v66, 16, v84
	v_pk_fma_f32 v[36:37], v[64:65], v[100:101], v[36:37] op_sel_hi:[1,0,1]
	v_pk_fma_f32 v[4:5], v[4:5], v[100:101], v[6:7] op_sel_hi:[1,0,1]
	v_and_b32_e32 v34, 0xffff0000, v84
	v_pk_fma_f32 v[6:7], v[50:51], v[66:67], v[36:37] op_sel_hi:[1,0,1]
	v_pk_fma_f32 v[4:5], v[46:47], v[66:67], v[4:5] op_sel_hi:[1,0,1]
	v_lshlrev_b32_e32 v58, 16, v85
	v_pk_fma_f32 v[6:7], v[76:77], v[34:35], v[6:7] op_sel_hi:[1,0,1]
	v_pk_fma_f32 v[4:5], v[62:63], v[34:35], v[4:5] op_sel_hi:[1,0,1]
	v_and_b32_e32 v84, 0xffff0000, v85
	v_pk_fma_f32 v[6:7], v[78:79], v[58:59], v[6:7] op_sel_hi:[1,0,1]
	v_pk_fma_f32 v[4:5], v[90:91], v[58:59], v[4:5] op_sel_hi:[1,0,1]
	s_waitcnt vmcnt(1)
	v_lshlrev_b32_e32 v68, 16, v86
	v_pk_fma_f32 v[6:7], v[56:57], v[84:85], v[6:7] op_sel_hi:[1,0,1]
	v_pk_fma_f32 v[4:5], v[10:11], v[84:85], v[4:5] op_sel_hi:[1,0,1]
	v_and_b32_e32 v72, 0xffff0000, v86
	v_pk_fma_f32 v[6:7], v[54:55], v[68:69], v[6:7] op_sel_hi:[1,0,1]
	v_pk_fma_f32 v[4:5], v[8:9], v[68:69], v[4:5] op_sel_hi:[1,0,1]
	v_lshlrev_b32_e32 v82, 16, v87
	v_pk_fma_f32 v[6:7], v[80:81], v[72:73], v[6:7] op_sel_hi:[1,0,1]
	v_pk_fma_f32 v[4:5], v[92:93], v[72:73], v[4:5] op_sel_hi:[1,0,1]
	v_and_b32_e32 v86, 0xffff0000, v87
	v_pk_fma_f32 v[6:7], v[20:21], v[82:83], v[6:7] op_sel_hi:[1,0,1]
	v_pk_fma_f32 v[4:5], v[94:95], v[82:83], v[4:5] op_sel_hi:[1,0,1]
	s_waitcnt vmcnt(0)
	v_lshlrev_b32_e32 v70, 16, v88
	v_pk_fma_f32 v[6:7], v[18:19], v[86:87], v[6:7] op_sel_hi:[1,0,1]
	v_pk_fma_f32 v[2:3], v[2:3], v[86:87], v[4:5] op_sel_hi:[1,0,1]
	v_and_b32_e32 v74, 0xffff0000, v88
	v_pk_fma_f32 v[4:5], v[16:17], v[70:71], v[6:7] op_sel_hi:[1,0,1]
	v_pk_fma_f32 v[0:1], v[0:1], v[70:71], v[2:3] op_sel_hi:[1,0,1]
	v_lshlrev_b32_e32 v88, 16, v89
	v_pk_fma_f32 v[2:3], v[22:23], v[74:75], v[4:5] op_sel_hi:[1,0,1]
	v_pk_fma_f32 v[0:1], v[96:97], v[74:75], v[0:1] op_sel_hi:[1,0,1]
	v_and_b32_e32 v98, 0xffff0000, v89
	v_pk_fma_f32 v[2:3], v[48:49], v[88:89], v[2:3] op_sel_hi:[1,0,1]
	v_pk_fma_f32 v[0:1], v[12:13], v[88:89], v[0:1] op_sel_hi:[1,0,1]
	;; [unrolled: 1-line block ×4, first 2 shown]
	s_andn2_b64 exec, exec, s[10:11]
	s_cbranch_execnz .LBB118_23
; %bb.24:
	s_or_b64 exec, exec, s[10:11]
.LBB118_25:
	s_or_b64 exec, exec, s[2:3]
.LBB118_26:
	s_or_b64 exec, exec, s[8:9]
	s_cbranch_execz .LBB118_28
	s_branch .LBB118_39
.LBB118_27:
                                        ; implicit-def: $vgpr35
                                        ; implicit-def: $vgpr37
.LBB118_28:
	s_mov_b32 s8, 0
	v_mov_b32_e32 v35, 0
	v_mov_b32_e32 v34, 0
	;; [unrolled: 1-line block ×4, first 2 shown]
	s_and_saveexec_b64 s[2:3], s[0:1]
	s_cbranch_execz .LBB118_38
; %bb.29:
	v_or_b32_e32 v0, 32, v26
	v_mov_b32_e32 v1, s19
	v_subrev_co_u32_e32 v0, vcc, s22, v0
	v_subb_co_u32_e32 v1, vcc, 0, v1, vcc
	v_add_co_u32_e32 v0, vcc, v0, v38
	v_addc_co_u32_e32 v1, vcc, v1, v39, vcc
	v_cmp_gt_i64_e32 vcc, v[0:1], v[30:31]
	v_cndmask_b32_e32 v1, v31, v1, vcc
	v_cndmask_b32_e32 v0, v30, v0, vcc
	v_mov_b32_e32 v4, s19
	v_sub_co_u32_e32 v5, vcc, s22, v26
	v_not_b32_e32 v3, v38
	v_subbrev_co_u32_e32 v4, vcc, 0, v4, vcc
	v_not_b32_e32 v2, v39
	v_add_co_u32_e32 v3, vcc, v5, v3
	v_addc_co_u32_e32 v2, vcc, v4, v2, vcc
	v_add_co_u32_e32 v0, vcc, v3, v0
	v_addc_co_u32_e32 v1, vcc, v2, v1, vcc
	v_lshrrev_b32_e32 v2, 5, v0
	v_add_u32_e32 v2, 1, v2
	v_and_b32_e32 v2, 3, v2
	s_mov_b32 s9, s8
	v_cmp_ne_u32_e32 vcc, 0, v2
	v_pk_mov_b32 v[36:37], s[8:9], s[8:9] op_sel:[0,1]
	v_pk_mov_b32 v[34:35], s[8:9], s[8:9] op_sel:[0,1]
	s_and_saveexec_b64 s[8:9], vcc
	s_cbranch_execz .LBB118_33
; %bb.30:
	v_lshlrev_b64 v[4:5], 3, v[28:29]
	v_mov_b32_e32 v3, 0
	v_mov_b32_e32 v6, s13
	v_add_co_u32_e32 v4, vcc, s12, v4
	v_addc_co_u32_e32 v5, vcc, v6, v5, vcc
	v_lshlrev_b32_e32 v2, 2, v2
	s_mov_b64 s[10:11], 0
	v_mov_b32_e32 v6, s19
	v_mov_b32_e32 v7, s7
	s_movk_i32 s14, 0x400
	v_mov_b32_e32 v34, v3
	v_mov_b32_e32 v35, v3
	;; [unrolled: 1-line block ×4, first 2 shown]
.LBB118_31:                             ; =>This Inner Loop Header: Depth=1
	global_load_dwordx2 v[12:13], v[4:5], off
	global_load_dwordx4 v[8:11], v[32:33], off
	v_add_co_u32_e64 v28, s[0:1], 32, v28
	v_addc_co_u32_e64 v29, s[0:1], 0, v29, s[0:1]
	v_add_co_u32_e64 v2, s[0:1], -4, v2
	v_addc_co_u32_e64 v3, s[0:1], -1, v3, s[0:1]
	v_cmp_eq_u64_e64 s[0:1], 0, v[2:3]
	s_or_b64 s[10:11], s[0:1], s[10:11]
	s_waitcnt vmcnt(1)
	v_subrev_co_u32_e32 v12, vcc, s22, v12
	v_subb_co_u32_e32 v13, vcc, v13, v6, vcc
	v_lshlrev_b64 v[12:13], 3, v[12:13]
	v_add_co_u32_e32 v16, vcc, s6, v12
	v_addc_co_u32_e32 v17, vcc, v7, v13, vcc
	global_load_dwordx2 v[18:19], v[16:17], off
	global_load_dwordx4 v[12:15], v[32:33], off offset:16
	s_waitcnt vmcnt(2)
	v_and_b32_e32 v17, 0xffff0000, v8
	v_lshlrev_b32_e32 v16, 16, v8
	v_and_b32_e32 v21, 0xffff0000, v10
	v_lshlrev_b32_e32 v20, 16, v10
	;; [unrolled: 2-line block ×4, first 2 shown]
	v_add_co_u32_e32 v32, vcc, s14, v32
	v_addc_co_u32_e32 v33, vcc, 0, v33, vcc
	v_add_co_u32_e32 v4, vcc, 0x100, v4
	v_addc_co_u32_e32 v5, vcc, 0, v5, vcc
	s_waitcnt vmcnt(1)
	v_lshlrev_b32_e32 v42, 16, v19
	s_waitcnt vmcnt(0)
	v_and_b32_e32 v11, 0xffff0000, v12
	v_lshlrev_b32_e32 v10, 16, v12
	v_and_b32_e32 v39, 0xffff0000, v13
	v_lshlrev_b32_e32 v38, 16, v13
	;; [unrolled: 2-line block ×3, first 2 shown]
	v_lshlrev_b32_e32 v14, 16, v18
	v_and_b32_e32 v41, 0xffff0000, v15
	v_lshlrev_b32_e32 v40, 16, v15
	v_and_b32_e32 v18, 0xffff0000, v18
	v_pk_fma_f32 v[16:17], v[16:17], v[14:15], v[36:37] op_sel_hi:[1,0,1]
	v_pk_fma_f32 v[14:15], v[22:23], v[14:15], v[34:35] op_sel_hi:[1,0,1]
	;; [unrolled: 1-line block ×4, first 2 shown]
	v_and_b32_e32 v44, 0xffff0000, v19
	v_pk_fma_f32 v[10:11], v[10:11], v[42:43], v[16:17] op_sel_hi:[1,0,1]
	v_pk_fma_f32 v[8:9], v[38:39], v[42:43], v[8:9] op_sel_hi:[1,0,1]
	;; [unrolled: 1-line block ×4, first 2 shown]
	s_andn2_b64 exec, exec, s[10:11]
	s_cbranch_execnz .LBB118_31
; %bb.32:
	s_or_b64 exec, exec, s[10:11]
.LBB118_33:
	s_or_b64 exec, exec, s[8:9]
	s_mov_b64 s[0:1], 0x5f
	v_cmp_lt_u64_e32 vcc, s[0:1], v[0:1]
	s_and_saveexec_b64 s[0:1], vcc
	s_cbranch_execz .LBB118_37
; %bb.34:
	v_lshlrev_b64 v[0:1], 3, v[28:29]
	v_mov_b32_e32 v2, s13
	v_add_co_u32_e32 v0, vcc, s12, v0
	v_addc_co_u32_e32 v1, vcc, v1, v2, vcc
	v_add_co_u32_e32 v20, vcc, 0x200, v0
	v_addc_co_u32_e32 v21, vcc, 0, v1, vcc
	s_mov_b64 s[8:9], 0
	v_mov_b32_e32 v22, s19
	v_mov_b32_e32 v23, s7
	s_movk_i32 s7, 0x1000
.LBB118_35:                             ; =>This Inner Loop Header: Depth=1
	global_load_dwordx4 v[0:3], v[32:33], off
	global_load_dwordx4 v[8:11], v[32:33], off offset:16
	global_load_dwordx4 v[4:7], v[32:33], off offset:1024
	;; [unrolled: 1-line block ×4, first 2 shown]
	global_load_dwordx2 v[50:51], v[20:21], off offset:-512
	global_load_dwordx2 v[52:53], v[20:21], off offset:-256
	global_load_dwordx2 v[54:55], v[20:21], off
	global_load_dwordx2 v[56:57], v[20:21], off offset:256
	global_load_dwordx4 v[38:41], v[32:33], off offset:2064
	global_load_dwordx4 v[42:45], v[32:33], off offset:3072
	;; [unrolled: 1-line block ×3, first 2 shown]
	v_add_co_u32_e32 v32, vcc, s7, v32
	v_addc_co_u32_e32 v33, vcc, 0, v33, vcc
	v_add_co_u32_e32 v28, vcc, 0x80, v28
	v_addc_co_u32_e32 v29, vcc, 0, v29, vcc
	v_add_co_u32_e32 v20, vcc, 0x400, v20
	v_addc_co_u32_e32 v21, vcc, 0, v21, vcc
	v_cmp_ge_i64_e32 vcc, v[28:29], v[30:31]
	s_or_b64 s[8:9], vcc, s[8:9]
	s_waitcnt vmcnt(11)
	v_and_b32_e32 v59, 0xffff0000, v0
	v_lshlrev_b32_e32 v58, 16, v0
	v_and_b32_e32 v61, 0xffff0000, v2
	v_lshlrev_b32_e32 v60, 16, v2
	v_and_b32_e32 v63, 0xffff0000, v1
	v_lshlrev_b32_e32 v62, 16, v1
	v_and_b32_e32 v1, 0xffff0000, v3
	v_lshlrev_b32_e32 v0, 16, v3
	s_waitcnt vmcnt(10)
	v_and_b32_e32 v3, 0xffff0000, v8
	v_lshlrev_b32_e32 v2, 16, v8
	v_and_b32_e32 v65, 0xffff0000, v9
	v_lshlrev_b32_e32 v64, 16, v9
	v_and_b32_e32 v9, 0xffff0000, v10
	v_lshlrev_b32_e32 v8, 16, v10
	v_and_b32_e32 v67, 0xffff0000, v11
	v_lshlrev_b32_e32 v66, 16, v11
	s_waitcnt vmcnt(9)
	v_and_b32_e32 v11, 0xffff0000, v4
	v_lshlrev_b32_e32 v10, 16, v4
	s_waitcnt vmcnt(6)
	v_subrev_co_u32_e32 v4, vcc, s22, v50
	v_and_b32_e32 v77, 0xffff0000, v5
	v_lshlrev_b32_e32 v76, 16, v5
	v_subb_co_u32_e32 v5, vcc, v51, v22, vcc
	s_waitcnt vmcnt(5)
	v_subrev_co_u32_e32 v50, vcc, s22, v52
	v_subb_co_u32_e32 v51, vcc, v53, v22, vcc
	s_waitcnt vmcnt(4)
	v_subrev_co_u32_e32 v52, vcc, s22, v54
	;; [unrolled: 3-line block ×3, first 2 shown]
	v_subb_co_u32_e32 v55, vcc, v57, v22, vcc
	v_lshlrev_b64 v[4:5], 3, v[4:5]
	v_add_co_u32_e32 v4, vcc, s6, v4
	v_lshlrev_b64 v[50:51], 3, v[50:51]
	v_addc_co_u32_e32 v5, vcc, v23, v5, vcc
	v_add_co_u32_e32 v50, vcc, s6, v50
	v_lshlrev_b64 v[52:53], 3, v[52:53]
	v_addc_co_u32_e32 v51, vcc, v23, v51, vcc
	;; [unrolled: 3-line block ×3, first 2 shown]
	v_add_co_u32_e32 v54, vcc, s6, v54
	v_addc_co_u32_e32 v55, vcc, v23, v55, vcc
	global_load_dwordx2 v[56:57], v[4:5], off
	global_load_dwordx2 v[78:79], v[50:51], off
	;; [unrolled: 1-line block ×4, first 2 shown]
	v_and_b32_e32 v69, 0xffff0000, v6
	v_lshlrev_b32_e32 v68, 16, v6
	v_and_b32_e32 v71, 0xffff0000, v12
	v_lshlrev_b32_e32 v70, 16, v12
	;; [unrolled: 2-line block ×10, first 2 shown]
	s_waitcnt vmcnt(6)
	v_and_b32_e32 v19, 0xffff0000, v38
	v_lshlrev_b32_e32 v18, 16, v38
	v_and_b32_e32 v53, 0xffff0000, v40
	v_lshlrev_b32_e32 v52, 16, v40
	v_and_b32_e32 v55, 0xffff0000, v39
	v_lshlrev_b32_e32 v54, 16, v39
	v_and_b32_e32 v39, 0xffff0000, v41
	v_lshlrev_b32_e32 v38, 16, v41
	s_waitcnt vmcnt(5)
	v_and_b32_e32 v41, 0xffff0000, v42
	v_lshlrev_b32_e32 v40, 16, v42
	v_and_b32_e32 v85, 0xffff0000, v43
	v_lshlrev_b32_e32 v84, 16, v43
	v_and_b32_e32 v43, 0xffff0000, v44
	v_lshlrev_b32_e32 v42, 16, v44
	v_and_b32_e32 v87, 0xffff0000, v45
	v_lshlrev_b32_e32 v86, 16, v45
	;; [unrolled: 9-line block ×3, first 2 shown]
	s_waitcnt vmcnt(3)
	v_lshlrev_b32_e32 v48, 16, v56
	v_and_b32_e32 v56, 0xffff0000, v56
	v_pk_fma_f32 v[36:37], v[58:59], v[48:49], v[36:37] op_sel_hi:[1,0,1]
	v_pk_fma_f32 v[34:35], v[62:63], v[48:49], v[34:35] op_sel_hi:[1,0,1]
	v_lshlrev_b32_e32 v92, 16, v57
	v_pk_fma_f32 v[36:37], v[60:61], v[56:57], v[36:37] op_sel_hi:[1,0,1]
	v_pk_fma_f32 v[0:1], v[0:1], v[56:57], v[34:35] op_sel_hi:[1,0,1]
	v_and_b32_e32 v94, 0xffff0000, v57
	v_pk_fma_f32 v[2:3], v[2:3], v[92:93], v[36:37] op_sel_hi:[1,0,1]
	v_pk_fma_f32 v[0:1], v[64:65], v[92:93], v[0:1] op_sel_hi:[1,0,1]
	s_waitcnt vmcnt(2)
	v_lshlrev_b32_e32 v58, 16, v78
	v_pk_fma_f32 v[2:3], v[8:9], v[94:95], v[2:3] op_sel_hi:[1,0,1]
	v_pk_fma_f32 v[0:1], v[66:67], v[94:95], v[0:1] op_sel_hi:[1,0,1]
	v_and_b32_e32 v48, 0xffff0000, v78
	v_pk_fma_f32 v[2:3], v[10:11], v[58:59], v[2:3] op_sel_hi:[1,0,1]
	v_pk_fma_f32 v[0:1], v[76:77], v[58:59], v[0:1] op_sel_hi:[1,0,1]
	v_lshlrev_b32_e32 v62, 16, v79
	v_pk_fma_f32 v[2:3], v[68:69], v[48:49], v[2:3] op_sel_hi:[1,0,1]
	v_pk_fma_f32 v[0:1], v[4:5], v[48:49], v[0:1] op_sel_hi:[1,0,1]
	v_and_b32_e32 v78, 0xffff0000, v79
	v_pk_fma_f32 v[2:3], v[70:71], v[62:63], v[2:3] op_sel_hi:[1,0,1]
	v_pk_fma_f32 v[0:1], v[6:7], v[62:63], v[0:1] op_sel_hi:[1,0,1]
	s_waitcnt vmcnt(1)
	v_lshlrev_b32_e32 v60, 16, v80
	v_pk_fma_f32 v[2:3], v[72:73], v[78:79], v[2:3] op_sel_hi:[1,0,1]
	v_pk_fma_f32 v[0:1], v[12:13], v[78:79], v[0:1] op_sel_hi:[1,0,1]
	;; [unrolled: 13-line block ×3, first 2 shown]
	v_and_b32_e32 v64, 0xffff0000, v82
	v_pk_fma_f32 v[2:3], v[40:41], v[36:37], v[2:3] op_sel_hi:[1,0,1]
	v_pk_fma_f32 v[0:1], v[84:85], v[36:37], v[0:1] op_sel_hi:[1,0,1]
	v_lshlrev_b32_e32 v82, 16, v83
	v_pk_fma_f32 v[2:3], v[42:43], v[64:65], v[2:3] op_sel_hi:[1,0,1]
	v_pk_fma_f32 v[0:1], v[86:87], v[64:65], v[0:1] op_sel_hi:[1,0,1]
	v_and_b32_e32 v92, 0xffff0000, v83
	v_pk_fma_f32 v[2:3], v[44:45], v[82:83], v[2:3] op_sel_hi:[1,0,1]
	v_pk_fma_f32 v[0:1], v[88:89], v[82:83], v[0:1] op_sel_hi:[1,0,1]
	;; [unrolled: 1-line block ×4, first 2 shown]
	s_andn2_b64 exec, exec, s[8:9]
	s_cbranch_execnz .LBB118_35
; %bb.36:
	s_or_b64 exec, exec, s[8:9]
.LBB118_37:
	s_or_b64 exec, exec, s[0:1]
.LBB118_38:
	s_or_b64 exec, exec, s[2:3]
.LBB118_39:
	v_mov_b32_dpp v0, v36 row_shr:1 row_mask:0xf bank_mask:0xf
	v_mov_b32_dpp v1, v37 row_shr:1 row_mask:0xf bank_mask:0xf
	;; [unrolled: 1-line block ×4, first 2 shown]
	v_pk_add_f32 v[0:1], v[36:37], v[0:1]
	v_pk_add_f32 v[4:5], v[34:35], v[4:5]
	v_cmp_eq_u32_e32 vcc, 31, v26
	v_mov_b32_dpp v2, v0 row_shr:2 row_mask:0xf bank_mask:0xf
	v_mov_b32_dpp v3, v1 row_shr:2 row_mask:0xf bank_mask:0xf
	v_mov_b32_dpp v6, v4 row_shr:2 row_mask:0xf bank_mask:0xf
	v_mov_b32_dpp v7, v5 row_shr:2 row_mask:0xf bank_mask:0xf
	v_pk_add_f32 v[0:1], v[0:1], v[2:3]
	v_pk_add_f32 v[4:5], v[4:5], v[6:7]
	s_nop 0
	v_mov_b32_dpp v2, v0 row_shr:4 row_mask:0xf bank_mask:0xe
	v_mov_b32_dpp v3, v1 row_shr:4 row_mask:0xf bank_mask:0xe
	v_mov_b32_dpp v6, v4 row_shr:4 row_mask:0xf bank_mask:0xe
	v_mov_b32_dpp v7, v5 row_shr:4 row_mask:0xf bank_mask:0xe
	v_pk_add_f32 v[0:1], v[0:1], v[2:3]
	v_pk_add_f32 v[4:5], v[4:5], v[6:7]
	s_nop 0
	;; [unrolled: 7-line block ×3, first 2 shown]
	v_mov_b32_dpp v2, v0 row_bcast:15 row_mask:0xa bank_mask:0xf
	v_mov_b32_dpp v3, v1 row_bcast:15 row_mask:0xa bank_mask:0xf
	;; [unrolled: 1-line block ×4, first 2 shown]
	s_and_b64 exec, exec, vcc
	s_cbranch_execz .LBB118_10
; %bb.40:
	s_load_dwordx2 s[0:1], s[4:5], 0x58
	v_cmp_eq_f32_e64 s[2:3], s20, 0
	v_pk_add_f32 v[2:3], v[0:1], v[2:3]
	v_pk_add_f32 v[0:1], v[4:5], v[6:7]
	s_and_b64 vcc, exec, s[2:3]
	v_lshlrev_b64 v[4:5], 4, v[24:25]
	s_cbranch_vccz .LBB118_42
; %bb.41:
	s_waitcnt lgkmcnt(0)
	v_mov_b32_e32 v6, s1
	v_add_co_u32_e32 v10, vcc, s0, v4
	v_addc_co_u32_e32 v11, vcc, v6, v5, vcc
	v_pk_mul_f32 v[6:7], s[16:17], v[2:3] op_sel_hi:[0,1]
	v_pk_mul_f32 v[8:9], s[16:17], v[0:1] op_sel_hi:[0,1]
	global_store_dwordx4 v[10:11], v[6:9], off
	s_cbranch_execnz .LBB118_10
	s_branch .LBB118_43
.LBB118_42:
.LBB118_43:
	s_waitcnt lgkmcnt(0)
	v_mov_b32_e32 v6, s1
	v_add_co_u32_e32 v8, vcc, s0, v4
	v_addc_co_u32_e32 v9, vcc, v6, v5, vcc
	global_load_dwordx4 v[4:7], v[8:9], off
	v_pk_mul_f32 v[2:3], s[16:17], v[2:3] op_sel_hi:[0,1]
	v_pk_mul_f32 v[10:11], s[16:17], v[0:1] op_sel_hi:[0,1]
	s_waitcnt vmcnt(0)
	v_pk_fma_f32 v[0:1], s[20:21], v[4:5], v[2:3] op_sel_hi:[0,1,1]
	v_pk_fma_f32 v[2:3], s[20:21], v[6:7], v[10:11] op_sel_hi:[0,1,1]
	global_store_dwordx4 v[8:9], v[0:3], off
	s_endpgm
	.section	.rodata,"a",@progbits
	.p2align	6, 0x0
	.amdhsa_kernel _ZN9rocsparseL18bsrxmvn_4x4_kernelILj128ELj32Efll18rocsparse_bfloat16S1_fEEvT3_20rocsparse_direction_NS_24const_host_device_scalarIT1_EES2_PKS2_PKT2_SB_S8_PKT4_PKT5_S6_PT6_21rocsparse_index_base_b
		.amdhsa_group_segment_fixed_size 0
		.amdhsa_private_segment_fixed_size 0
		.amdhsa_kernarg_size 104
		.amdhsa_user_sgpr_count 6
		.amdhsa_user_sgpr_private_segment_buffer 1
		.amdhsa_user_sgpr_dispatch_ptr 0
		.amdhsa_user_sgpr_queue_ptr 0
		.amdhsa_user_sgpr_kernarg_segment_ptr 1
		.amdhsa_user_sgpr_dispatch_id 0
		.amdhsa_user_sgpr_flat_scratch_init 0
		.amdhsa_user_sgpr_kernarg_preload_length 0
		.amdhsa_user_sgpr_kernarg_preload_offset 0
		.amdhsa_user_sgpr_private_segment_size 0
		.amdhsa_uses_dynamic_stack 0
		.amdhsa_system_sgpr_private_segment_wavefront_offset 0
		.amdhsa_system_sgpr_workgroup_id_x 1
		.amdhsa_system_sgpr_workgroup_id_y 0
		.amdhsa_system_sgpr_workgroup_id_z 0
		.amdhsa_system_sgpr_workgroup_info 0
		.amdhsa_system_vgpr_workitem_id 0
		.amdhsa_next_free_vgpr 102
		.amdhsa_next_free_sgpr 24
		.amdhsa_accum_offset 104
		.amdhsa_reserve_vcc 1
		.amdhsa_reserve_flat_scratch 0
		.amdhsa_float_round_mode_32 0
		.amdhsa_float_round_mode_16_64 0
		.amdhsa_float_denorm_mode_32 3
		.amdhsa_float_denorm_mode_16_64 3
		.amdhsa_dx10_clamp 1
		.amdhsa_ieee_mode 1
		.amdhsa_fp16_overflow 0
		.amdhsa_tg_split 0
		.amdhsa_exception_fp_ieee_invalid_op 0
		.amdhsa_exception_fp_denorm_src 0
		.amdhsa_exception_fp_ieee_div_zero 0
		.amdhsa_exception_fp_ieee_overflow 0
		.amdhsa_exception_fp_ieee_underflow 0
		.amdhsa_exception_fp_ieee_inexact 0
		.amdhsa_exception_int_div_zero 0
	.end_amdhsa_kernel
	.section	.text._ZN9rocsparseL18bsrxmvn_4x4_kernelILj128ELj32Efll18rocsparse_bfloat16S1_fEEvT3_20rocsparse_direction_NS_24const_host_device_scalarIT1_EES2_PKS2_PKT2_SB_S8_PKT4_PKT5_S6_PT6_21rocsparse_index_base_b,"axG",@progbits,_ZN9rocsparseL18bsrxmvn_4x4_kernelILj128ELj32Efll18rocsparse_bfloat16S1_fEEvT3_20rocsparse_direction_NS_24const_host_device_scalarIT1_EES2_PKS2_PKT2_SB_S8_PKT4_PKT5_S6_PT6_21rocsparse_index_base_b,comdat
.Lfunc_end118:
	.size	_ZN9rocsparseL18bsrxmvn_4x4_kernelILj128ELj32Efll18rocsparse_bfloat16S1_fEEvT3_20rocsparse_direction_NS_24const_host_device_scalarIT1_EES2_PKS2_PKT2_SB_S8_PKT4_PKT5_S6_PT6_21rocsparse_index_base_b, .Lfunc_end118-_ZN9rocsparseL18bsrxmvn_4x4_kernelILj128ELj32Efll18rocsparse_bfloat16S1_fEEvT3_20rocsparse_direction_NS_24const_host_device_scalarIT1_EES2_PKS2_PKT2_SB_S8_PKT4_PKT5_S6_PT6_21rocsparse_index_base_b
                                        ; -- End function
	.section	.AMDGPU.csdata,"",@progbits
; Kernel info:
; codeLenInByte = 4276
; NumSgprs: 28
; NumVgprs: 102
; NumAgprs: 0
; TotalNumVgprs: 102
; ScratchSize: 0
; MemoryBound: 0
; FloatMode: 240
; IeeeMode: 1
; LDSByteSize: 0 bytes/workgroup (compile time only)
; SGPRBlocks: 3
; VGPRBlocks: 12
; NumSGPRsForWavesPerEU: 28
; NumVGPRsForWavesPerEU: 102
; AccumOffset: 104
; Occupancy: 4
; WaveLimiterHint : 1
; COMPUTE_PGM_RSRC2:SCRATCH_EN: 0
; COMPUTE_PGM_RSRC2:USER_SGPR: 6
; COMPUTE_PGM_RSRC2:TRAP_HANDLER: 0
; COMPUTE_PGM_RSRC2:TGID_X_EN: 1
; COMPUTE_PGM_RSRC2:TGID_Y_EN: 0
; COMPUTE_PGM_RSRC2:TGID_Z_EN: 0
; COMPUTE_PGM_RSRC2:TIDIG_COMP_CNT: 0
; COMPUTE_PGM_RSRC3_GFX90A:ACCUM_OFFSET: 25
; COMPUTE_PGM_RSRC3_GFX90A:TG_SPLIT: 0
	.section	.text._ZN9rocsparseL18bsrxmvn_4x4_kernelILj128ELj64Efll18rocsparse_bfloat16S1_fEEvT3_20rocsparse_direction_NS_24const_host_device_scalarIT1_EES2_PKS2_PKT2_SB_S8_PKT4_PKT5_S6_PT6_21rocsparse_index_base_b,"axG",@progbits,_ZN9rocsparseL18bsrxmvn_4x4_kernelILj128ELj64Efll18rocsparse_bfloat16S1_fEEvT3_20rocsparse_direction_NS_24const_host_device_scalarIT1_EES2_PKS2_PKT2_SB_S8_PKT4_PKT5_S6_PT6_21rocsparse_index_base_b,comdat
	.globl	_ZN9rocsparseL18bsrxmvn_4x4_kernelILj128ELj64Efll18rocsparse_bfloat16S1_fEEvT3_20rocsparse_direction_NS_24const_host_device_scalarIT1_EES2_PKS2_PKT2_SB_S8_PKT4_PKT5_S6_PT6_21rocsparse_index_base_b ; -- Begin function _ZN9rocsparseL18bsrxmvn_4x4_kernelILj128ELj64Efll18rocsparse_bfloat16S1_fEEvT3_20rocsparse_direction_NS_24const_host_device_scalarIT1_EES2_PKS2_PKT2_SB_S8_PKT4_PKT5_S6_PT6_21rocsparse_index_base_b
	.p2align	8
	.type	_ZN9rocsparseL18bsrxmvn_4x4_kernelILj128ELj64Efll18rocsparse_bfloat16S1_fEEvT3_20rocsparse_direction_NS_24const_host_device_scalarIT1_EES2_PKS2_PKT2_SB_S8_PKT4_PKT5_S6_PT6_21rocsparse_index_base_b,@function
_ZN9rocsparseL18bsrxmvn_4x4_kernelILj128ELj64Efll18rocsparse_bfloat16S1_fEEvT3_20rocsparse_direction_NS_24const_host_device_scalarIT1_EES2_PKS2_PKT2_SB_S8_PKT4_PKT5_S6_PT6_21rocsparse_index_base_b: ; @_ZN9rocsparseL18bsrxmvn_4x4_kernelILj128ELj64Efll18rocsparse_bfloat16S1_fEEvT3_20rocsparse_direction_NS_24const_host_device_scalarIT1_EES2_PKS2_PKT2_SB_S8_PKT4_PKT5_S6_PT6_21rocsparse_index_base_b
; %bb.0:
	s_load_dwordx2 s[22:23], s[4:5], 0x60
	s_load_dwordx4 s[16:19], s[4:5], 0x10
	s_load_dwordx2 s[20:21], s[4:5], 0x50
	s_waitcnt lgkmcnt(0)
	s_bitcmp1_b32 s23, 0
	s_cselect_b64 s[2:3], -1, 0
	s_xor_b64 s[0:1], s[2:3], -1
	s_and_b64 vcc, exec, s[2:3]
	s_cbranch_vccnz .LBB119_2
; %bb.1:
	s_load_dword s16, s[16:17], 0x0
.LBB119_2:
	s_andn2_b64 vcc, exec, s[0:1]
	s_cbranch_vccnz .LBB119_4
; %bb.3:
	s_load_dword s20, s[20:21], 0x0
.LBB119_4:
	s_waitcnt lgkmcnt(0)
	v_cmp_neq_f32_e64 s[0:1], s16, 0
	v_cmp_neq_f32_e64 s[2:3], s20, 1.0
	s_or_b64 s[0:1], s[0:1], s[2:3]
	s_andn2_b64 vcc, exec, s[0:1]
	s_cbranch_vccnz .LBB119_10
; %bb.5:
	s_load_dwordx2 s[2:3], s[4:5], 0x20
	v_lshrrev_b32_e32 v1, 6, v0
	v_lshl_or_b32 v2, s6, 1, v1
	v_mov_b32_e32 v3, 0
	s_mov_b64 s[0:1], 0
	s_waitcnt lgkmcnt(0)
	s_cmp_lg_u64 s[2:3], 0
	s_cbranch_scc0 .LBB119_11
; %bb.6:
	v_cmp_gt_i64_e32 vcc, s[18:19], v[2:3]
                                        ; implicit-def: $vgpr24_vgpr25
	s_and_saveexec_b64 s[6:7], vcc
	s_xor_b64 s[6:7], exec, s[6:7]
                                        ; implicit-def: $sgpr18_sgpr19
	s_cbranch_execz .LBB119_8
; %bb.7:
	v_lshlrev_b64 v[4:5], 3, v[2:3]
	v_mov_b32_e32 v1, s3
	v_add_co_u32_e32 v4, vcc, s2, v4
	v_addc_co_u32_e32 v5, vcc, v1, v5, vcc
	global_load_dwordx2 v[4:5], v[4:5], off
	s_mov_b64 s[0:1], exec
	s_mov_b32 s19, 0
	s_waitcnt vmcnt(0)
	v_subrev_co_u32_e32 v24, vcc, s22, v4
	v_subbrev_co_u32_e32 v25, vcc, 0, v5, vcc
.LBB119_8:
	s_or_b64 exec, exec, s[6:7]
.LBB119_9:
	s_and_saveexec_b64 s[2:3], s[0:1]
	s_cbranch_execnz .LBB119_15
.LBB119_10:
	s_endpgm
.LBB119_11:
                                        ; implicit-def: $vgpr24_vgpr25
                                        ; implicit-def: $sgpr18_sgpr19
	s_cbranch_execz .LBB119_9
; %bb.12:
	s_load_dwordx2 s[2:3], s[4:5], 0x0
                                        ; implicit-def: $vgpr24_vgpr25
	s_waitcnt lgkmcnt(0)
	v_cmp_gt_i64_e32 vcc, s[2:3], v[2:3]
	s_and_saveexec_b64 s[2:3], vcc
                                        ; implicit-def: $sgpr18_sgpr19
; %bb.13:
	s_mov_b32 s19, 0
	s_or_b64 s[0:1], s[0:1], exec
	v_pk_mov_b32 v[24:25], v[2:3], v[2:3] op_sel:[0,1]
; %bb.14:
	s_or_b64 exec, exec, s[2:3]
	s_and_saveexec_b64 s[2:3], s[0:1]
	s_cbranch_execz .LBB119_10
.LBB119_15:
	s_load_dwordx8 s[8:15], s[4:5], 0x28
	v_lshlrev_b64 v[2:3], 3, v[24:25]
	v_and_b32_e32 v26, 63, v0
	v_mov_b32_e32 v0, s19
	v_mov_b32_e32 v35, 0
	s_waitcnt lgkmcnt(0)
	v_mov_b32_e32 v1, s9
	v_add_co_u32_e32 v4, vcc, s8, v2
	v_addc_co_u32_e32 v5, vcc, v1, v3, vcc
	v_add_co_u32_e32 v1, vcc, 8, v4
	global_load_dwordx2 v[38:39], v[4:5], off
	v_addc_co_u32_e32 v4, vcc, 0, v5, vcc
	v_mov_b32_e32 v5, s11
	v_add_co_u32_e32 v2, vcc, s10, v2
	s_cmp_eq_u64 s[10:11], 0
	v_addc_co_u32_e32 v3, vcc, v5, v3, vcc
	s_cselect_b64 vcc, -1, 0
	v_cndmask_b32_e32 v3, v3, v4, vcc
	v_cndmask_b32_e32 v2, v2, v1, vcc
	global_load_dwordx2 v[2:3], v[2:3], off
	s_load_dwordx2 s[6:7], s[4:5], 0x48
	s_load_dword s0, s[4:5], 0x8
	v_mov_b32_e32 v4, s15
	s_waitcnt lgkmcnt(0)
	s_cmp_eq_u32 s0, 1
	s_waitcnt vmcnt(1)
	v_subrev_co_u32_e32 v1, vcc, s22, v38
	v_subb_co_u32_e32 v5, vcc, v39, v0, vcc
	v_add_co_u32_e32 v28, vcc, v1, v26
	v_addc_co_u32_e32 v29, vcc, 0, v5, vcc
	s_waitcnt vmcnt(0)
	v_subrev_co_u32_e32 v30, vcc, s22, v2
	v_subb_co_u32_e32 v31, vcc, v3, v0, vcc
	v_lshlrev_b64 v[0:1], 5, v[28:29]
	v_add_co_u32_e32 v32, vcc, s14, v0
	v_addc_co_u32_e32 v33, vcc, v4, v1, vcc
	v_cmp_lt_i64_e64 s[0:1], v[28:29], v[30:31]
	s_cbranch_scc1 .LBB119_27
; %bb.16:
	s_mov_b32 s2, 0
	v_mov_b32_e32 v34, 0
	v_mov_b32_e32 v37, 0
	;; [unrolled: 1-line block ×3, first 2 shown]
	s_and_saveexec_b64 s[8:9], s[0:1]
	s_cbranch_execz .LBB119_26
; %bb.17:
	v_or_b32_e32 v0, 64, v26
	v_mov_b32_e32 v1, s19
	v_subrev_co_u32_e32 v0, vcc, s22, v0
	v_subb_co_u32_e32 v1, vcc, 0, v1, vcc
	v_add_co_u32_e32 v0, vcc, v0, v38
	v_addc_co_u32_e32 v1, vcc, v1, v39, vcc
	v_cmp_gt_i64_e32 vcc, v[0:1], v[30:31]
	v_cndmask_b32_e32 v1, v31, v1, vcc
	v_cndmask_b32_e32 v0, v30, v0, vcc
	v_mov_b32_e32 v4, s19
	v_sub_co_u32_e32 v5, vcc, s22, v26
	v_not_b32_e32 v3, v38
	v_subbrev_co_u32_e32 v4, vcc, 0, v4, vcc
	v_not_b32_e32 v2, v39
	v_add_co_u32_e32 v3, vcc, v5, v3
	v_addc_co_u32_e32 v2, vcc, v4, v2, vcc
	v_add_co_u32_e32 v0, vcc, v3, v0
	v_addc_co_u32_e32 v1, vcc, v2, v1, vcc
	v_lshrrev_b32_e32 v2, 6, v0
	v_add_u32_e32 v2, 1, v2
	v_and_b32_e32 v2, 3, v2
	s_mov_b32 s3, s2
	v_cmp_ne_u32_e32 vcc, 0, v2
	v_pk_mov_b32 v[36:37], s[2:3], s[2:3] op_sel:[0,1]
	v_pk_mov_b32 v[34:35], s[2:3], s[2:3] op_sel:[0,1]
	;; [unrolled: 1-line block ×4, first 2 shown]
	s_and_saveexec_b64 s[10:11], vcc
	s_cbranch_execz .LBB119_21
; %bb.18:
	v_lshlrev_b64 v[4:5], 3, v[28:29]
	v_mov_b32_e32 v3, 0
	v_mov_b32_e32 v6, s13
	v_add_co_u32_e32 v4, vcc, s12, v4
	v_addc_co_u32_e32 v5, vcc, v6, v5, vcc
	v_lshlrev_b32_e32 v2, 2, v2
	s_mov_b64 s[14:15], 0
	v_mov_b32_e32 v6, s19
	v_mov_b32_e32 v7, s7
	s_movk_i32 s17, 0x800
	v_pk_mov_b32 v[42:43], v[32:33], v[32:33] op_sel:[0,1]
	v_pk_mov_b32 v[40:41], v[28:29], v[28:29] op_sel:[0,1]
	v_mov_b32_e32 v34, v3
	v_mov_b32_e32 v35, v3
	;; [unrolled: 1-line block ×4, first 2 shown]
.LBB119_19:                             ; =>This Inner Loop Header: Depth=1
	global_load_dwordx2 v[16:17], v[4:5], off
	global_load_dwordx4 v[8:11], v[42:43], off
	global_load_dwordx4 v[12:15], v[42:43], off offset:16
	v_add_co_u32_e64 v40, s[2:3], 64, v40
	v_addc_co_u32_e64 v41, s[2:3], 0, v41, s[2:3]
	v_add_co_u32_e64 v2, s[2:3], -4, v2
	v_addc_co_u32_e64 v3, s[2:3], -1, v3, s[2:3]
	v_cmp_eq_u64_e64 s[2:3], 0, v[2:3]
	s_or_b64 s[14:15], s[2:3], s[14:15]
	s_waitcnt vmcnt(2)
	v_subrev_co_u32_e32 v16, vcc, s22, v16
	v_subb_co_u32_e32 v17, vcc, v17, v6, vcc
	v_lshlrev_b64 v[16:17], 3, v[16:17]
	v_add_co_u32_e32 v16, vcc, s6, v16
	v_addc_co_u32_e32 v17, vcc, v7, v17, vcc
	global_load_dwordx2 v[16:17], v[16:17], off
	s_waitcnt vmcnt(2)
	v_lshlrev_b32_e32 v19, 16, v10
	v_lshlrev_b32_e32 v18, 16, v8
	v_and_b32_e32 v21, 0xffff0000, v10
	v_and_b32_e32 v20, 0xffff0000, v8
	v_lshlrev_b32_e32 v22, 16, v9
	v_and_b32_e32 v10, 0xffff0000, v9
	s_waitcnt vmcnt(1)
	v_lshlrev_b32_e32 v9, 16, v14
	v_lshlrev_b32_e32 v8, 16, v12
	v_and_b32_e32 v44, 0xffff0000, v12
	v_add_co_u32_e32 v42, vcc, s17, v42
	v_and_b32_e32 v45, 0xffff0000, v14
	v_addc_co_u32_e32 v43, vcc, 0, v43, vcc
	v_lshlrev_b32_e32 v23, 16, v11
	v_lshlrev_b32_e32 v47, 16, v15
	;; [unrolled: 1-line block ×3, first 2 shown]
	v_and_b32_e32 v14, 0xffff0000, v13
	v_add_co_u32_e32 v4, vcc, 0x200, v4
	v_and_b32_e32 v11, 0xffff0000, v11
	v_and_b32_e32 v15, 0xffff0000, v15
	v_addc_co_u32_e32 v5, vcc, 0, v5, vcc
	s_waitcnt vmcnt(0)
	v_lshlrev_b32_e32 v12, 16, v16
	v_and_b32_e32 v16, 0xffff0000, v16
	v_pk_fma_f32 v[18:19], v[18:19], v[12:13], v[36:37] op_sel_hi:[1,0,1]
	v_pk_fma_f32 v[8:9], v[8:9], v[12:13], v[34:35] op_sel_hi:[1,0,1]
	v_lshlrev_b32_e32 v48, 16, v17
	v_pk_fma_f32 v[12:13], v[20:21], v[16:17], v[18:19] op_sel_hi:[1,0,1]
	v_pk_fma_f32 v[8:9], v[44:45], v[16:17], v[8:9] op_sel_hi:[1,0,1]
	v_and_b32_e32 v50, 0xffff0000, v17
	v_pk_fma_f32 v[12:13], v[22:23], v[48:49], v[12:13] op_sel_hi:[1,0,1]
	v_pk_fma_f32 v[8:9], v[46:47], v[48:49], v[8:9] op_sel_hi:[1,0,1]
	v_pk_fma_f32 v[36:37], v[10:11], v[50:51], v[12:13] op_sel_hi:[1,0,1]
	v_pk_fma_f32 v[34:35], v[14:15], v[50:51], v[8:9] op_sel_hi:[1,0,1]
	s_andn2_b64 exec, exec, s[14:15]
	s_cbranch_execnz .LBB119_19
; %bb.20:
	s_or_b64 exec, exec, s[14:15]
.LBB119_21:
	s_or_b64 exec, exec, s[10:11]
	s_mov_b64 s[2:3], 0xbf
	v_cmp_lt_u64_e32 vcc, s[2:3], v[0:1]
	s_and_saveexec_b64 s[10:11], vcc
	s_cbranch_execz .LBB119_25
; %bb.22:
	v_lshlrev_b64 v[0:1], 3, v[40:41]
	v_mov_b32_e32 v2, s13
	v_add_co_u32_e32 v0, vcc, s12, v0
	v_addc_co_u32_e32 v1, vcc, v1, v2, vcc
	v_add_co_u32_e32 v44, vcc, 0x400, v0
	v_addc_co_u32_e32 v45, vcc, 0, v1, vcc
	s_mov_b64 s[14:15], 0
	v_mov_b32_e32 v27, s19
	v_mov_b32_e32 v50, s7
	s_movk_i32 s17, 0x1000
.LBB119_23:                             ; =>This Inner Loop Header: Depth=1
	global_load_dwordx2 v[46:47], v[44:45], off offset:-1024
	global_load_dwordx4 v[0:3], v[42:43], off
	global_load_dwordx4 v[16:19], v[42:43], off offset:16
	global_load_dwordx2 v[48:49], v[44:45], off offset:-512
	global_load_dwordx4 v[20:23], v[42:43], off offset:2048
	global_load_dwordx4 v[4:7], v[42:43], off offset:2064
	global_load_dwordx2 v[60:61], v[44:45], off
	global_load_dwordx2 v[62:63], v[44:45], off offset:512
	v_add_co_u32_e32 v64, vcc, s17, v42
	v_addc_co_u32_e32 v65, vcc, 0, v43, vcc
	v_add_co_u32_e32 v40, vcc, 0x100, v40
	v_addc_co_u32_e32 v41, vcc, 0, v41, vcc
	;; [unrolled: 2-line block ×4, first 2 shown]
	global_load_dwordx4 v[12:15], v[64:65], off
	global_load_dwordx4 v[8:11], v[64:65], off offset:16
	global_load_dwordx4 v[52:55], v[64:65], off offset:2048
	;; [unrolled: 1-line block ×3, first 2 shown]
	v_cmp_ge_i64_e64 s[2:3], v[40:41], v[30:31]
	s_or_b64 s[14:15], s[2:3], s[14:15]
	s_waitcnt vmcnt(11)
	v_subrev_co_u32_e32 v46, vcc, s22, v46
	v_subb_co_u32_e32 v47, vcc, v47, v27, vcc
	s_waitcnt vmcnt(10)
	v_lshlrev_b32_e32 v64, 16, v0
	v_and_b32_e32 v66, 0xffff0000, v0
	s_waitcnt vmcnt(9)
	v_lshlrev_b32_e32 v0, 16, v16
	v_and_b32_e32 v70, 0xffff0000, v16
	s_waitcnt vmcnt(8)
	v_subrev_co_u32_e32 v16, vcc, s22, v48
	v_lshlrev_b32_e32 v65, 16, v2
	v_and_b32_e32 v67, 0xffff0000, v2
	v_lshlrev_b32_e32 v68, 16, v1
	v_and_b32_e32 v2, 0xffff0000, v1
	;; [unrolled: 2-line block ×4, first 2 shown]
	v_subb_co_u32_e32 v17, vcc, v49, v27, vcc
	s_waitcnt vmcnt(5)
	v_subrev_co_u32_e32 v60, vcc, s22, v60
	v_subb_co_u32_e32 v61, vcc, v61, v27, vcc
	s_waitcnt vmcnt(4)
	v_subrev_co_u32_e32 v62, vcc, s22, v62
	v_subb_co_u32_e32 v63, vcc, v63, v27, vcc
	v_lshlrev_b64 v[46:47], 3, v[46:47]
	v_add_co_u32_e32 v46, vcc, s6, v46
	v_lshlrev_b64 v[16:17], 3, v[16:17]
	v_addc_co_u32_e32 v47, vcc, v50, v47, vcc
	v_add_co_u32_e32 v16, vcc, s6, v16
	v_lshlrev_b64 v[60:61], 3, v[60:61]
	v_addc_co_u32_e32 v17, vcc, v50, v17, vcc
	;; [unrolled: 3-line block ×3, first 2 shown]
	v_add_co_u32_e32 v62, vcc, s6, v62
	v_addc_co_u32_e32 v63, vcc, v50, v63, vcc
	global_load_dwordx2 v[80:81], v[46:47], off
	global_load_dwordx2 v[82:83], v[16:17], off
	global_load_dwordx2 v[84:85], v[60:61], off
	global_load_dwordx2 v[86:87], v[62:63], off
	s_waitcnt vmcnt(7)
	v_lshlrev_b32_e32 v47, 16, v14
	v_and_b32_e32 v61, 0xffff0000, v14
	v_lshlrev_b32_e32 v62, 16, v13
	v_and_b32_e32 v14, 0xffff0000, v13
	s_waitcnt vmcnt(5)
	v_lshlrev_b32_e32 v13, 16, v54
	v_and_b32_e32 v89, 0xffff0000, v54
	v_lshlrev_b32_e32 v54, 16, v8
	v_and_b32_e32 v92, 0xffff0000, v8
	s_waitcnt vmcnt(4)
	v_lshlrev_b32_e32 v8, 16, v56
	v_and_b32_e32 v96, 0xffff0000, v56
	v_lshlrev_b32_e32 v49, 16, v22
	v_lshlrev_b32_e32 v75, 16, v6
	v_and_b32_e32 v77, 0xffff0000, v22
	v_lshlrev_b32_e32 v78, 16, v21
	v_and_b32_e32 v22, 0xffff0000, v21
	v_and_b32_e32 v21, 0xffff0000, v6
	v_lshlrev_b32_e32 v16, 16, v5
	v_and_b32_e32 v6, 0xffff0000, v5
	v_lshlrev_b32_e32 v91, 16, v55
	;; [unrolled: 2-line block ×6, first 2 shown]
	v_lshlrev_b32_e32 v73, 16, v19
	v_and_b32_e32 v3, 0xffff0000, v3
	v_and_b32_e32 v19, 0xffff0000, v19
	v_lshlrev_b32_e32 v48, 16, v20
	v_lshlrev_b32_e32 v74, 16, v4
	v_and_b32_e32 v76, 0xffff0000, v20
	v_and_b32_e32 v20, 0xffff0000, v4
	v_lshlrev_b32_e32 v79, 16, v23
	;; [unrolled: 4-line block ×3, first 2 shown]
	v_and_b32_e32 v60, 0xffff0000, v12
	v_lshlrev_b32_e32 v63, 16, v15
	v_lshlrev_b32_e32 v95, 16, v11
	v_and_b32_e32 v15, 0xffff0000, v15
	v_and_b32_e32 v11, 0xffff0000, v11
	v_lshlrev_b32_e32 v12, 16, v52
	v_and_b32_e32 v88, 0xffff0000, v52
	v_lshlrev_b32_e32 v90, 16, v53
	v_lshlrev_b32_e32 v99, 16, v59
	;; [unrolled: 1-line block ×3, first 2 shown]
	v_and_b32_e32 v4, 0xffff0000, v53
	v_and_b32_e32 v52, 0xffff0000, v57
	;; [unrolled: 1-line block ×3, first 2 shown]
	s_waitcnt vmcnt(3)
	v_lshlrev_b32_e32 v56, 16, v80
	v_and_b32_e32 v58, 0xffff0000, v80
	v_pk_fma_f32 v[36:37], v[64:65], v[56:57], v[36:37] op_sel_hi:[1,0,1]
	v_pk_fma_f32 v[0:1], v[0:1], v[56:57], v[34:35] op_sel_hi:[1,0,1]
	v_lshlrev_b32_e32 v80, 16, v81
	v_pk_fma_f32 v[36:37], v[66:67], v[58:59], v[36:37] op_sel_hi:[1,0,1]
	v_pk_fma_f32 v[0:1], v[70:71], v[58:59], v[0:1] op_sel_hi:[1,0,1]
	v_and_b32_e32 v100, 0xffff0000, v81
	v_pk_fma_f32 v[36:37], v[68:69], v[80:81], v[36:37] op_sel_hi:[1,0,1]
	v_pk_fma_f32 v[0:1], v[72:73], v[80:81], v[0:1] op_sel_hi:[1,0,1]
	s_waitcnt vmcnt(2)
	v_lshlrev_b32_e32 v64, 16, v82
	v_pk_fma_f32 v[2:3], v[2:3], v[100:101], v[36:37] op_sel_hi:[1,0,1]
	v_pk_fma_f32 v[0:1], v[18:19], v[100:101], v[0:1] op_sel_hi:[1,0,1]
	v_and_b32_e32 v34, 0xffff0000, v82
	v_pk_fma_f32 v[2:3], v[48:49], v[64:65], v[2:3] op_sel_hi:[1,0,1]
	v_pk_fma_f32 v[0:1], v[74:75], v[64:65], v[0:1] op_sel_hi:[1,0,1]
	v_lshlrev_b32_e32 v56, 16, v83
	v_pk_fma_f32 v[2:3], v[76:77], v[34:35], v[2:3] op_sel_hi:[1,0,1]
	v_pk_fma_f32 v[0:1], v[20:21], v[34:35], v[0:1] op_sel_hi:[1,0,1]
	v_and_b32_e32 v82, 0xffff0000, v83
	v_pk_fma_f32 v[2:3], v[78:79], v[56:57], v[2:3] op_sel_hi:[1,0,1]
	v_pk_fma_f32 v[0:1], v[16:17], v[56:57], v[0:1] op_sel_hi:[1,0,1]
	s_waitcnt vmcnt(1)
	v_lshlrev_b32_e32 v66, 16, v84
	v_pk_fma_f32 v[2:3], v[22:23], v[82:83], v[2:3] op_sel_hi:[1,0,1]
	v_pk_fma_f32 v[0:1], v[6:7], v[82:83], v[0:1] op_sel_hi:[1,0,1]
	;; [unrolled: 13-line block ×3, first 2 shown]
	v_and_b32_e32 v72, 0xffff0000, v86
	v_pk_fma_f32 v[2:3], v[12:13], v[68:69], v[2:3] op_sel_hi:[1,0,1]
	v_pk_fma_f32 v[0:1], v[8:9], v[68:69], v[0:1] op_sel_hi:[1,0,1]
	v_lshlrev_b32_e32 v80, 16, v87
	v_pk_fma_f32 v[2:3], v[88:89], v[72:73], v[2:3] op_sel_hi:[1,0,1]
	v_pk_fma_f32 v[0:1], v[96:97], v[72:73], v[0:1] op_sel_hi:[1,0,1]
	v_and_b32_e32 v86, 0xffff0000, v87
	v_pk_fma_f32 v[2:3], v[90:91], v[80:81], v[2:3] op_sel_hi:[1,0,1]
	v_pk_fma_f32 v[0:1], v[98:99], v[80:81], v[0:1] op_sel_hi:[1,0,1]
	;; [unrolled: 1-line block ×4, first 2 shown]
	s_andn2_b64 exec, exec, s[14:15]
	s_cbranch_execnz .LBB119_23
; %bb.24:
	s_or_b64 exec, exec, s[14:15]
.LBB119_25:
	s_or_b64 exec, exec, s[10:11]
.LBB119_26:
	s_or_b64 exec, exec, s[8:9]
	s_cbranch_execz .LBB119_28
	s_branch .LBB119_39
.LBB119_27:
                                        ; implicit-def: $vgpr35
                                        ; implicit-def: $vgpr37
.LBB119_28:
	s_mov_b32 s8, 0
	v_mov_b32_e32 v35, 0
	v_mov_b32_e32 v34, 0
	;; [unrolled: 1-line block ×4, first 2 shown]
	s_and_saveexec_b64 s[2:3], s[0:1]
	s_cbranch_execz .LBB119_38
; %bb.29:
	v_or_b32_e32 v0, 64, v26
	v_mov_b32_e32 v1, s19
	v_subrev_co_u32_e32 v0, vcc, s22, v0
	v_subb_co_u32_e32 v1, vcc, 0, v1, vcc
	v_add_co_u32_e32 v0, vcc, v0, v38
	v_addc_co_u32_e32 v1, vcc, v1, v39, vcc
	v_cmp_gt_i64_e32 vcc, v[0:1], v[30:31]
	v_cndmask_b32_e32 v1, v31, v1, vcc
	v_cndmask_b32_e32 v0, v30, v0, vcc
	v_mov_b32_e32 v4, s19
	v_sub_co_u32_e32 v5, vcc, s22, v26
	v_not_b32_e32 v3, v38
	v_subbrev_co_u32_e32 v4, vcc, 0, v4, vcc
	v_not_b32_e32 v2, v39
	v_add_co_u32_e32 v3, vcc, v5, v3
	v_addc_co_u32_e32 v2, vcc, v4, v2, vcc
	v_add_co_u32_e32 v0, vcc, v3, v0
	v_addc_co_u32_e32 v1, vcc, v2, v1, vcc
	v_lshrrev_b32_e32 v2, 6, v0
	v_add_u32_e32 v2, 1, v2
	v_and_b32_e32 v2, 3, v2
	s_mov_b32 s9, s8
	v_cmp_ne_u32_e32 vcc, 0, v2
	v_pk_mov_b32 v[36:37], s[8:9], s[8:9] op_sel:[0,1]
	v_pk_mov_b32 v[34:35], s[8:9], s[8:9] op_sel:[0,1]
	s_and_saveexec_b64 s[8:9], vcc
	s_cbranch_execz .LBB119_33
; %bb.30:
	v_lshlrev_b64 v[4:5], 3, v[28:29]
	v_mov_b32_e32 v3, 0
	v_mov_b32_e32 v6, s13
	v_add_co_u32_e32 v4, vcc, s12, v4
	v_addc_co_u32_e32 v5, vcc, v6, v5, vcc
	v_lshlrev_b32_e32 v2, 2, v2
	s_mov_b64 s[10:11], 0
	v_mov_b32_e32 v6, s19
	v_mov_b32_e32 v7, s7
	s_movk_i32 s14, 0x800
	v_mov_b32_e32 v34, v3
	v_mov_b32_e32 v35, v3
	;; [unrolled: 1-line block ×4, first 2 shown]
.LBB119_31:                             ; =>This Inner Loop Header: Depth=1
	global_load_dwordx2 v[12:13], v[4:5], off
	global_load_dwordx4 v[8:11], v[32:33], off
	v_add_co_u32_e64 v28, s[0:1], 64, v28
	v_addc_co_u32_e64 v29, s[0:1], 0, v29, s[0:1]
	v_add_co_u32_e64 v2, s[0:1], -4, v2
	v_addc_co_u32_e64 v3, s[0:1], -1, v3, s[0:1]
	v_cmp_eq_u64_e64 s[0:1], 0, v[2:3]
	s_or_b64 s[10:11], s[0:1], s[10:11]
	s_waitcnt vmcnt(1)
	v_subrev_co_u32_e32 v12, vcc, s22, v12
	v_subb_co_u32_e32 v13, vcc, v13, v6, vcc
	v_lshlrev_b64 v[12:13], 3, v[12:13]
	v_add_co_u32_e32 v16, vcc, s6, v12
	v_addc_co_u32_e32 v17, vcc, v7, v13, vcc
	global_load_dwordx2 v[18:19], v[16:17], off
	global_load_dwordx4 v[12:15], v[32:33], off offset:16
	s_waitcnt vmcnt(2)
	v_and_b32_e32 v17, 0xffff0000, v8
	v_lshlrev_b32_e32 v16, 16, v8
	v_and_b32_e32 v21, 0xffff0000, v10
	v_lshlrev_b32_e32 v20, 16, v10
	;; [unrolled: 2-line block ×4, first 2 shown]
	v_add_co_u32_e32 v32, vcc, s14, v32
	v_addc_co_u32_e32 v33, vcc, 0, v33, vcc
	v_add_co_u32_e32 v4, vcc, 0x200, v4
	v_addc_co_u32_e32 v5, vcc, 0, v5, vcc
	s_waitcnt vmcnt(1)
	v_lshlrev_b32_e32 v42, 16, v19
	s_waitcnt vmcnt(0)
	v_and_b32_e32 v23, 0xffff0000, v12
	v_lshlrev_b32_e32 v22, 16, v12
	v_and_b32_e32 v11, 0xffff0000, v13
	v_lshlrev_b32_e32 v10, 16, v13
	;; [unrolled: 2-line block ×3, first 2 shown]
	v_lshlrev_b32_e32 v14, 16, v18
	v_and_b32_e32 v41, 0xffff0000, v15
	v_lshlrev_b32_e32 v40, 16, v15
	v_and_b32_e32 v18, 0xffff0000, v18
	v_pk_fma_f32 v[16:17], v[16:17], v[14:15], v[36:37] op_sel_hi:[1,0,1]
	v_pk_fma_f32 v[14:15], v[38:39], v[14:15], v[34:35] op_sel_hi:[1,0,1]
	;; [unrolled: 1-line block ×4, first 2 shown]
	v_and_b32_e32 v44, 0xffff0000, v19
	v_pk_fma_f32 v[14:15], v[22:23], v[42:43], v[16:17] op_sel_hi:[1,0,1]
	v_pk_fma_f32 v[8:9], v[10:11], v[42:43], v[8:9] op_sel_hi:[1,0,1]
	;; [unrolled: 1-line block ×4, first 2 shown]
	s_andn2_b64 exec, exec, s[10:11]
	s_cbranch_execnz .LBB119_31
; %bb.32:
	s_or_b64 exec, exec, s[10:11]
.LBB119_33:
	s_or_b64 exec, exec, s[8:9]
	s_mov_b64 s[0:1], 0xbf
	v_cmp_lt_u64_e32 vcc, s[0:1], v[0:1]
	s_and_saveexec_b64 s[8:9], vcc
	s_cbranch_execz .LBB119_37
; %bb.34:
	v_lshlrev_b64 v[0:1], 3, v[28:29]
	v_mov_b32_e32 v2, s13
	v_add_co_u32_e32 v0, vcc, s12, v0
	v_addc_co_u32_e32 v1, vcc, v1, v2, vcc
	v_add_co_u32_e32 v16, vcc, 0x400, v0
	v_addc_co_u32_e32 v17, vcc, 0, v1, vcc
	s_mov_b64 s[10:11], 0
	v_mov_b32_e32 v18, s19
	v_mov_b32_e32 v19, s7
	s_movk_i32 s7, 0x1000
.LBB119_35:                             ; =>This Inner Loop Header: Depth=1
	global_load_dwordx4 v[0:3], v[32:33], off
	global_load_dwordx4 v[4:7], v[32:33], off offset:16
	global_load_dwordx4 v[12:15], v[32:33], off offset:2048
	;; [unrolled: 1-line block ×3, first 2 shown]
	global_load_dwordx2 v[50:51], v[16:17], off offset:-1024
	global_load_dwordx2 v[52:53], v[16:17], off offset:-512
	global_load_dwordx2 v[54:55], v[16:17], off
	global_load_dwordx2 v[56:57], v[16:17], off offset:512
	v_add_co_u32_e32 v58, vcc, s7, v32
	v_addc_co_u32_e32 v59, vcc, 0, v33, vcc
	v_add_co_u32_e32 v28, vcc, 0x100, v28
	v_addc_co_u32_e32 v29, vcc, 0, v29, vcc
	;; [unrolled: 2-line block ×4, first 2 shown]
	global_load_dwordx4 v[20:23], v[58:59], off
	global_load_dwordx4 v[38:41], v[58:59], off offset:16
	global_load_dwordx4 v[42:45], v[58:59], off offset:2048
	;; [unrolled: 1-line block ×3, first 2 shown]
	v_cmp_ge_i64_e64 s[0:1], v[28:29], v[30:31]
	s_or_b64 s[10:11], s[0:1], s[10:11]
	s_waitcnt vmcnt(11)
	v_and_b32_e32 v59, 0xffff0000, v0
	v_lshlrev_b32_e32 v58, 16, v0
	v_and_b32_e32 v61, 0xffff0000, v2
	v_lshlrev_b32_e32 v60, 16, v2
	s_waitcnt vmcnt(10)
	v_and_b32_e32 v63, 0xffff0000, v4
	v_lshlrev_b32_e32 v62, 16, v4
	v_and_b32_e32 v65, 0xffff0000, v1
	v_lshlrev_b32_e32 v64, 16, v1
	;; [unrolled: 2-line block ×6, first 2 shown]
	s_waitcnt vmcnt(9)
	v_and_b32_e32 v7, 0xffff0000, v12
	v_lshlrev_b32_e32 v6, 16, v12
	v_and_b32_e32 v69, 0xffff0000, v13
	v_lshlrev_b32_e32 v68, 16, v13
	;; [unrolled: 2-line block ×3, first 2 shown]
	s_waitcnt vmcnt(7)
	v_subrev_co_u32_e32 v14, vcc, s22, v50
	v_and_b32_e32 v75, 0xffff0000, v15
	v_lshlrev_b32_e32 v74, 16, v15
	v_subb_co_u32_e32 v15, vcc, v51, v18, vcc
	s_waitcnt vmcnt(6)
	v_subrev_co_u32_e32 v50, vcc, s22, v52
	v_subb_co_u32_e32 v51, vcc, v53, v18, vcc
	s_waitcnt vmcnt(5)
	v_subrev_co_u32_e32 v52, vcc, s22, v54
	v_subb_co_u32_e32 v53, vcc, v55, v18, vcc
	s_waitcnt vmcnt(4)
	v_subrev_co_u32_e32 v54, vcc, s22, v56
	v_subb_co_u32_e32 v55, vcc, v57, v18, vcc
	v_lshlrev_b64 v[14:15], 3, v[14:15]
	v_add_co_u32_e32 v14, vcc, s6, v14
	v_lshlrev_b64 v[50:51], 3, v[50:51]
	v_addc_co_u32_e32 v15, vcc, v19, v15, vcc
	v_add_co_u32_e32 v50, vcc, s6, v50
	v_lshlrev_b64 v[52:53], 3, v[52:53]
	v_addc_co_u32_e32 v51, vcc, v19, v51, vcc
	;; [unrolled: 3-line block ×3, first 2 shown]
	v_add_co_u32_e32 v54, vcc, s6, v54
	v_addc_co_u32_e32 v55, vcc, v19, v55, vcc
	global_load_dwordx2 v[56:57], v[14:15], off
	global_load_dwordx2 v[76:77], v[50:51], off
	;; [unrolled: 1-line block ×4, first 2 shown]
	v_and_b32_e32 v71, 0xffff0000, v8
	v_lshlrev_b32_e32 v70, 16, v8
	v_and_b32_e32 v73, 0xffff0000, v10
	v_lshlrev_b32_e32 v72, 16, v10
	v_and_b32_e32 v15, 0xffff0000, v9
	v_lshlrev_b32_e32 v14, 16, v9
	v_and_b32_e32 v9, 0xffff0000, v11
	v_lshlrev_b32_e32 v8, 16, v11
	s_waitcnt vmcnt(7)
	v_and_b32_e32 v11, 0xffff0000, v20
	v_lshlrev_b32_e32 v10, 16, v20
	v_and_b32_e32 v51, 0xffff0000, v22
	v_lshlrev_b32_e32 v50, 16, v22
	v_and_b32_e32 v53, 0xffff0000, v21
	v_lshlrev_b32_e32 v52, 16, v21
	v_and_b32_e32 v21, 0xffff0000, v23
	v_lshlrev_b32_e32 v20, 16, v23
	s_waitcnt vmcnt(6)
	;; [unrolled: 9-line block ×5, first 2 shown]
	v_lshlrev_b32_e32 v48, 16, v56
	v_and_b32_e32 v56, 0xffff0000, v56
	v_pk_fma_f32 v[36:37], v[58:59], v[48:49], v[36:37] op_sel_hi:[1,0,1]
	v_pk_fma_f32 v[34:35], v[64:65], v[48:49], v[34:35] op_sel_hi:[1,0,1]
	v_lshlrev_b32_e32 v92, 16, v57
	v_pk_fma_f32 v[36:37], v[60:61], v[56:57], v[36:37] op_sel_hi:[1,0,1]
	v_pk_fma_f32 v[0:1], v[0:1], v[56:57], v[34:35] op_sel_hi:[1,0,1]
	v_and_b32_e32 v94, 0xffff0000, v57
	v_pk_fma_f32 v[36:37], v[62:63], v[92:93], v[36:37] op_sel_hi:[1,0,1]
	v_pk_fma_f32 v[0:1], v[2:3], v[92:93], v[0:1] op_sel_hi:[1,0,1]
	s_waitcnt vmcnt(2)
	v_lshlrev_b32_e32 v58, 16, v76
	v_pk_fma_f32 v[4:5], v[4:5], v[94:95], v[36:37] op_sel_hi:[1,0,1]
	v_pk_fma_f32 v[0:1], v[66:67], v[94:95], v[0:1] op_sel_hi:[1,0,1]
	v_and_b32_e32 v48, 0xffff0000, v76
	v_pk_fma_f32 v[4:5], v[6:7], v[58:59], v[4:5] op_sel_hi:[1,0,1]
	v_pk_fma_f32 v[0:1], v[68:69], v[58:59], v[0:1] op_sel_hi:[1,0,1]
	v_lshlrev_b32_e32 v64, 16, v77
	v_pk_fma_f32 v[4:5], v[12:13], v[48:49], v[4:5] op_sel_hi:[1,0,1]
	v_pk_fma_f32 v[0:1], v[74:75], v[48:49], v[0:1] op_sel_hi:[1,0,1]
	v_and_b32_e32 v76, 0xffff0000, v77
	v_pk_fma_f32 v[4:5], v[70:71], v[64:65], v[4:5] op_sel_hi:[1,0,1]
	v_pk_fma_f32 v[0:1], v[14:15], v[64:65], v[0:1] op_sel_hi:[1,0,1]
	s_waitcnt vmcnt(1)
	v_lshlrev_b32_e32 v60, 16, v78
	v_pk_fma_f32 v[4:5], v[72:73], v[76:77], v[4:5] op_sel_hi:[1,0,1]
	v_pk_fma_f32 v[0:1], v[8:9], v[76:77], v[0:1] op_sel_hi:[1,0,1]
	;; [unrolled: 13-line block ×3, first 2 shown]
	v_and_b32_e32 v2, 0xffff0000, v80
	v_pk_fma_f32 v[4:5], v[40:41], v[62:63], v[4:5] op_sel_hi:[1,0,1]
	v_pk_fma_f32 v[0:1], v[86:87], v[62:63], v[0:1] op_sel_hi:[1,0,1]
	v_lshlrev_b32_e32 v80, 16, v81
	v_pk_fma_f32 v[4:5], v[84:85], v[2:3], v[4:5] op_sel_hi:[1,0,1]
	v_pk_fma_f32 v[0:1], v[42:43], v[2:3], v[0:1] op_sel_hi:[1,0,1]
	v_and_b32_e32 v92, 0xffff0000, v81
	v_pk_fma_f32 v[2:3], v[44:45], v[80:81], v[4:5] op_sel_hi:[1,0,1]
	v_pk_fma_f32 v[0:1], v[88:89], v[80:81], v[0:1] op_sel_hi:[1,0,1]
	;; [unrolled: 1-line block ×4, first 2 shown]
	s_andn2_b64 exec, exec, s[10:11]
	s_cbranch_execnz .LBB119_35
; %bb.36:
	s_or_b64 exec, exec, s[10:11]
.LBB119_37:
	s_or_b64 exec, exec, s[8:9]
.LBB119_38:
	s_or_b64 exec, exec, s[2:3]
.LBB119_39:
	v_mov_b32_dpp v0, v36 row_shr:1 row_mask:0xf bank_mask:0xf
	v_mov_b32_dpp v1, v37 row_shr:1 row_mask:0xf bank_mask:0xf
	;; [unrolled: 1-line block ×4, first 2 shown]
	v_pk_add_f32 v[0:1], v[36:37], v[0:1]
	v_pk_add_f32 v[4:5], v[34:35], v[4:5]
	v_cmp_eq_u32_e32 vcc, 63, v26
	v_mov_b32_dpp v2, v0 row_shr:2 row_mask:0xf bank_mask:0xf
	v_mov_b32_dpp v3, v1 row_shr:2 row_mask:0xf bank_mask:0xf
	v_mov_b32_dpp v6, v4 row_shr:2 row_mask:0xf bank_mask:0xf
	v_mov_b32_dpp v7, v5 row_shr:2 row_mask:0xf bank_mask:0xf
	v_pk_add_f32 v[0:1], v[0:1], v[2:3]
	v_pk_add_f32 v[4:5], v[4:5], v[6:7]
	s_nop 0
	v_mov_b32_dpp v2, v0 row_shr:4 row_mask:0xf bank_mask:0xe
	v_mov_b32_dpp v3, v1 row_shr:4 row_mask:0xf bank_mask:0xe
	v_mov_b32_dpp v6, v4 row_shr:4 row_mask:0xf bank_mask:0xe
	v_mov_b32_dpp v7, v5 row_shr:4 row_mask:0xf bank_mask:0xe
	v_pk_add_f32 v[0:1], v[0:1], v[2:3]
	v_pk_add_f32 v[4:5], v[4:5], v[6:7]
	s_nop 0
	;; [unrolled: 7-line block ×3, first 2 shown]
	v_mov_b32_dpp v2, v0 row_bcast:15 row_mask:0xa bank_mask:0xf
	v_mov_b32_dpp v3, v1 row_bcast:15 row_mask:0xa bank_mask:0xf
	;; [unrolled: 1-line block ×4, first 2 shown]
	v_pk_add_f32 v[0:1], v[0:1], v[2:3]
	v_pk_add_f32 v[4:5], v[4:5], v[6:7]
	s_nop 0
	v_mov_b32_dpp v2, v0 row_bcast:31 row_mask:0xc bank_mask:0xf
	v_mov_b32_dpp v3, v1 row_bcast:31 row_mask:0xc bank_mask:0xf
	;; [unrolled: 1-line block ×4, first 2 shown]
	s_and_b64 exec, exec, vcc
	s_cbranch_execz .LBB119_10
; %bb.40:
	s_load_dwordx2 s[0:1], s[4:5], 0x58
	v_cmp_eq_f32_e64 s[2:3], s20, 0
	v_pk_add_f32 v[2:3], v[0:1], v[2:3]
	v_pk_add_f32 v[0:1], v[4:5], v[6:7]
	s_and_b64 vcc, exec, s[2:3]
	v_lshlrev_b64 v[4:5], 4, v[24:25]
	s_cbranch_vccz .LBB119_42
; %bb.41:
	s_waitcnt lgkmcnt(0)
	v_mov_b32_e32 v6, s1
	v_add_co_u32_e32 v10, vcc, s0, v4
	v_addc_co_u32_e32 v11, vcc, v6, v5, vcc
	v_pk_mul_f32 v[6:7], s[16:17], v[2:3] op_sel_hi:[0,1]
	v_pk_mul_f32 v[8:9], s[16:17], v[0:1] op_sel_hi:[0,1]
	global_store_dwordx4 v[10:11], v[6:9], off
	s_cbranch_execnz .LBB119_10
	s_branch .LBB119_43
.LBB119_42:
.LBB119_43:
	s_waitcnt lgkmcnt(0)
	v_mov_b32_e32 v6, s1
	v_add_co_u32_e32 v8, vcc, s0, v4
	v_addc_co_u32_e32 v9, vcc, v6, v5, vcc
	global_load_dwordx4 v[4:7], v[8:9], off
	v_pk_mul_f32 v[2:3], s[16:17], v[2:3] op_sel_hi:[0,1]
	v_pk_mul_f32 v[10:11], s[16:17], v[0:1] op_sel_hi:[0,1]
	s_waitcnt vmcnt(0)
	v_pk_fma_f32 v[0:1], s[20:21], v[4:5], v[2:3] op_sel_hi:[0,1,1]
	v_pk_fma_f32 v[2:3], s[20:21], v[6:7], v[10:11] op_sel_hi:[0,1,1]
	global_store_dwordx4 v[8:9], v[0:3], off
	s_endpgm
	.section	.rodata,"a",@progbits
	.p2align	6, 0x0
	.amdhsa_kernel _ZN9rocsparseL18bsrxmvn_4x4_kernelILj128ELj64Efll18rocsparse_bfloat16S1_fEEvT3_20rocsparse_direction_NS_24const_host_device_scalarIT1_EES2_PKS2_PKT2_SB_S8_PKT4_PKT5_S6_PT6_21rocsparse_index_base_b
		.amdhsa_group_segment_fixed_size 0
		.amdhsa_private_segment_fixed_size 0
		.amdhsa_kernarg_size 104
		.amdhsa_user_sgpr_count 6
		.amdhsa_user_sgpr_private_segment_buffer 1
		.amdhsa_user_sgpr_dispatch_ptr 0
		.amdhsa_user_sgpr_queue_ptr 0
		.amdhsa_user_sgpr_kernarg_segment_ptr 1
		.amdhsa_user_sgpr_dispatch_id 0
		.amdhsa_user_sgpr_flat_scratch_init 0
		.amdhsa_user_sgpr_kernarg_preload_length 0
		.amdhsa_user_sgpr_kernarg_preload_offset 0
		.amdhsa_user_sgpr_private_segment_size 0
		.amdhsa_uses_dynamic_stack 0
		.amdhsa_system_sgpr_private_segment_wavefront_offset 0
		.amdhsa_system_sgpr_workgroup_id_x 1
		.amdhsa_system_sgpr_workgroup_id_y 0
		.amdhsa_system_sgpr_workgroup_id_z 0
		.amdhsa_system_sgpr_workgroup_info 0
		.amdhsa_system_vgpr_workitem_id 0
		.amdhsa_next_free_vgpr 102
		.amdhsa_next_free_sgpr 24
		.amdhsa_accum_offset 104
		.amdhsa_reserve_vcc 1
		.amdhsa_reserve_flat_scratch 0
		.amdhsa_float_round_mode_32 0
		.amdhsa_float_round_mode_16_64 0
		.amdhsa_float_denorm_mode_32 3
		.amdhsa_float_denorm_mode_16_64 3
		.amdhsa_dx10_clamp 1
		.amdhsa_ieee_mode 1
		.amdhsa_fp16_overflow 0
		.amdhsa_tg_split 0
		.amdhsa_exception_fp_ieee_invalid_op 0
		.amdhsa_exception_fp_denorm_src 0
		.amdhsa_exception_fp_ieee_div_zero 0
		.amdhsa_exception_fp_ieee_overflow 0
		.amdhsa_exception_fp_ieee_underflow 0
		.amdhsa_exception_fp_ieee_inexact 0
		.amdhsa_exception_int_div_zero 0
	.end_amdhsa_kernel
	.section	.text._ZN9rocsparseL18bsrxmvn_4x4_kernelILj128ELj64Efll18rocsparse_bfloat16S1_fEEvT3_20rocsparse_direction_NS_24const_host_device_scalarIT1_EES2_PKS2_PKT2_SB_S8_PKT4_PKT5_S6_PT6_21rocsparse_index_base_b,"axG",@progbits,_ZN9rocsparseL18bsrxmvn_4x4_kernelILj128ELj64Efll18rocsparse_bfloat16S1_fEEvT3_20rocsparse_direction_NS_24const_host_device_scalarIT1_EES2_PKS2_PKT2_SB_S8_PKT4_PKT5_S6_PT6_21rocsparse_index_base_b,comdat
.Lfunc_end119:
	.size	_ZN9rocsparseL18bsrxmvn_4x4_kernelILj128ELj64Efll18rocsparse_bfloat16S1_fEEvT3_20rocsparse_direction_NS_24const_host_device_scalarIT1_EES2_PKS2_PKT2_SB_S8_PKT4_PKT5_S6_PT6_21rocsparse_index_base_b, .Lfunc_end119-_ZN9rocsparseL18bsrxmvn_4x4_kernelILj128ELj64Efll18rocsparse_bfloat16S1_fEEvT3_20rocsparse_direction_NS_24const_host_device_scalarIT1_EES2_PKS2_PKT2_SB_S8_PKT4_PKT5_S6_PT6_21rocsparse_index_base_b
                                        ; -- End function
	.section	.AMDGPU.csdata,"",@progbits
; Kernel info:
; codeLenInByte = 4364
; NumSgprs: 28
; NumVgprs: 102
; NumAgprs: 0
; TotalNumVgprs: 102
; ScratchSize: 0
; MemoryBound: 0
; FloatMode: 240
; IeeeMode: 1
; LDSByteSize: 0 bytes/workgroup (compile time only)
; SGPRBlocks: 3
; VGPRBlocks: 12
; NumSGPRsForWavesPerEU: 28
; NumVGPRsForWavesPerEU: 102
; AccumOffset: 104
; Occupancy: 4
; WaveLimiterHint : 1
; COMPUTE_PGM_RSRC2:SCRATCH_EN: 0
; COMPUTE_PGM_RSRC2:USER_SGPR: 6
; COMPUTE_PGM_RSRC2:TRAP_HANDLER: 0
; COMPUTE_PGM_RSRC2:TGID_X_EN: 1
; COMPUTE_PGM_RSRC2:TGID_Y_EN: 0
; COMPUTE_PGM_RSRC2:TGID_Z_EN: 0
; COMPUTE_PGM_RSRC2:TIDIG_COMP_CNT: 0
; COMPUTE_PGM_RSRC3_GFX90A:ACCUM_OFFSET: 25
; COMPUTE_PGM_RSRC3_GFX90A:TG_SPLIT: 0
	.section	.text._ZN9rocsparseL18bsrxmvn_4x4_kernelILj128ELj4E21rocsparse_complex_numIfEiifS2_S2_EEvT3_20rocsparse_direction_NS_24const_host_device_scalarIT1_EES3_PKS3_PKT2_SC_S9_PKT4_PKT5_S7_PT6_21rocsparse_index_base_b,"axG",@progbits,_ZN9rocsparseL18bsrxmvn_4x4_kernelILj128ELj4E21rocsparse_complex_numIfEiifS2_S2_EEvT3_20rocsparse_direction_NS_24const_host_device_scalarIT1_EES3_PKS3_PKT2_SC_S9_PKT4_PKT5_S7_PT6_21rocsparse_index_base_b,comdat
	.globl	_ZN9rocsparseL18bsrxmvn_4x4_kernelILj128ELj4E21rocsparse_complex_numIfEiifS2_S2_EEvT3_20rocsparse_direction_NS_24const_host_device_scalarIT1_EES3_PKS3_PKT2_SC_S9_PKT4_PKT5_S7_PT6_21rocsparse_index_base_b ; -- Begin function _ZN9rocsparseL18bsrxmvn_4x4_kernelILj128ELj4E21rocsparse_complex_numIfEiifS2_S2_EEvT3_20rocsparse_direction_NS_24const_host_device_scalarIT1_EES3_PKS3_PKT2_SC_S9_PKT4_PKT5_S7_PT6_21rocsparse_index_base_b
	.p2align	8
	.type	_ZN9rocsparseL18bsrxmvn_4x4_kernelILj128ELj4E21rocsparse_complex_numIfEiifS2_S2_EEvT3_20rocsparse_direction_NS_24const_host_device_scalarIT1_EES3_PKS3_PKT2_SC_S9_PKT4_PKT5_S7_PT6_21rocsparse_index_base_b,@function
_ZN9rocsparseL18bsrxmvn_4x4_kernelILj128ELj4E21rocsparse_complex_numIfEiifS2_S2_EEvT3_20rocsparse_direction_NS_24const_host_device_scalarIT1_EES3_PKS3_PKT2_SC_S9_PKT4_PKT5_S7_PT6_21rocsparse_index_base_b: ; @_ZN9rocsparseL18bsrxmvn_4x4_kernelILj128ELj4E21rocsparse_complex_numIfEiifS2_S2_EEvT3_20rocsparse_direction_NS_24const_host_device_scalarIT1_EES3_PKS3_PKT2_SC_S9_PKT4_PKT5_S7_PT6_21rocsparse_index_base_b
; %bb.0:
	s_load_dwordx2 s[2:3], s[4:5], 0x58
	s_load_dwordx2 s[10:11], s[4:5], 0x8
	;; [unrolled: 1-line block ×3, first 2 shown]
	s_waitcnt lgkmcnt(0)
	s_bitcmp1_b32 s3, 0
	s_cselect_b64 s[0:1], -1, 0
	s_xor_b64 s[12:13], s[0:1], -1
	s_and_b64 vcc, exec, s[0:1]
	v_mov_b32_e32 v88, s10
	s_cbranch_vccnz .LBB120_2
; %bb.1:
	v_pk_mov_b32 v[2:3], s[10:11], s[10:11] op_sel:[0,1]
	flat_load_dword v88, v[2:3]
.LBB120_2:
	v_cndmask_b32_e64 v1, 0, 1, s[12:13]
	v_cmp_ne_u32_e64 s[0:1], 1, v1
	s_andn2_b64 vcc, exec, s[12:13]
	v_mov_b32_e32 v89, s11
	s_cbranch_vccz .LBB120_15
; %bb.3:
	s_and_b64 vcc, exec, s[0:1]
	v_mov_b32_e32 v90, s8
	s_cbranch_vccz .LBB120_16
.LBB120_4:
	s_and_b64 vcc, exec, s[0:1]
	v_mov_b32_e32 v91, s9
	s_cbranch_vccnz .LBB120_6
.LBB120_5:
	v_pk_mov_b32 v[2:3], s[8:9], s[8:9] op_sel:[0,1]
	flat_load_dword v91, v[2:3] offset:4
.LBB120_6:
	s_waitcnt vmcnt(0) lgkmcnt(0)
	v_and_b32_e32 v1, 0x7fffffff, v88
	v_cmp_eq_u32_e32 vcc, 0, v1
	v_cmp_eq_f32_e64 s[0:1], 0, v89
	s_and_b64 s[10:11], vcc, s[0:1]
	s_mov_b64 s[0:1], -1
	s_and_saveexec_b64 s[8:9], s[10:11]
; %bb.7:
	v_and_b32_e32 v1, 0x7fffffff, v91
	v_cmp_neq_f32_e32 vcc, 1.0, v90
	v_cmp_ne_u32_e64 s[0:1], 0, v1
	s_or_b64 s[0:1], vcc, s[0:1]
	s_orn2_b64 s[0:1], s[0:1], exec
; %bb.8:
	s_or_b64 exec, exec, s[8:9]
	s_and_saveexec_b64 s[8:9], s[0:1]
	s_cbranch_execz .LBB120_14
; %bb.9:
	s_load_dwordx2 s[8:9], s[4:5], 0x18
	s_load_dwordx2 s[0:1], s[4:5], 0x0
	v_lshrrev_b32_e32 v1, 2, v0
	v_lshl_or_b32 v92, s6, 5, v1
	s_mov_b64 s[6:7], 0
	s_waitcnt lgkmcnt(0)
	s_cmp_lg_u64 s[8:9], 0
	s_cbranch_scc0 .LBB120_17
; %bb.10:
	s_load_dword s3, s[4:5], 0x10
                                        ; implicit-def: $vgpr1
	s_waitcnt lgkmcnt(0)
	v_cmp_gt_i32_e32 vcc, s3, v92
	s_and_saveexec_b64 s[10:11], vcc
	s_xor_b64 s[10:11], exec, s[10:11]
	s_cbranch_execz .LBB120_12
; %bb.11:
	v_ashrrev_i32_e32 v93, 31, v92
	v_lshlrev_b64 v[2:3], 2, v[92:93]
	v_mov_b32_e32 v1, s9
	v_add_co_u32_e32 v2, vcc, s8, v2
	v_addc_co_u32_e32 v3, vcc, v1, v3, vcc
	global_load_dword v1, v[2:3], off
	s_mov_b64 s[6:7], exec
	s_waitcnt vmcnt(0)
	v_subrev_u32_e32 v1, s2, v1
.LBB120_12:
	s_or_b64 exec, exec, s[10:11]
	s_branch .LBB120_18
.LBB120_13:
	v_cmp_gt_i32_e32 vcc, s0, v92
	s_andn2_b64 s[6:7], s[6:7], exec
	s_and_b64 s[8:9], vcc, exec
	s_or_b64 s[6:7], s[6:7], s[8:9]
	s_and_b64 exec, exec, s[6:7]
	s_cbranch_execnz .LBB120_19
.LBB120_14:
	s_endpgm
.LBB120_15:
	v_pk_mov_b32 v[2:3], s[10:11], s[10:11] op_sel:[0,1]
	flat_load_dword v89, v[2:3] offset:4
	s_and_b64 vcc, exec, s[0:1]
	v_mov_b32_e32 v90, s8
	s_cbranch_vccnz .LBB120_4
.LBB120_16:
	v_pk_mov_b32 v[2:3], s[8:9], s[8:9] op_sel:[0,1]
	flat_load_dword v90, v[2:3]
	s_and_b64 vcc, exec, s[0:1]
	v_mov_b32_e32 v91, s9
	s_cbranch_vccz .LBB120_5
	s_branch .LBB120_6
.LBB120_17:
                                        ; implicit-def: $vgpr1
	s_cbranch_execnz .LBB120_13
.LBB120_18:
	v_mov_b32_e32 v92, v1
	s_and_b64 exec, exec, s[6:7]
	s_cbranch_execz .LBB120_14
.LBB120_19:
	s_load_dwordx8 s[8:15], s[4:5], 0x20
	v_ashrrev_i32_e32 v93, 31, v92
	v_lshlrev_b64 v[2:3], 2, v[92:93]
	v_and_b32_e32 v93, 3, v0
	s_load_dwordx2 s[6:7], s[4:5], 0x40
	s_waitcnt lgkmcnt(0)
	v_mov_b32_e32 v1, s9
	v_add_co_u32_e32 v4, vcc, s8, v2
	v_addc_co_u32_e32 v5, vcc, v1, v3, vcc
	v_add_co_u32_e32 v1, vcc, 4, v4
	global_load_dword v10, v[4:5], off
	v_addc_co_u32_e32 v4, vcc, 0, v5, vcc
	v_mov_b32_e32 v5, s11
	v_add_co_u32_e32 v2, vcc, s10, v2
	s_cmp_eq_u64 s[10:11], 0
	v_addc_co_u32_e32 v3, vcc, v5, v3, vcc
	s_cselect_b64 vcc, -1, 0
	v_cndmask_b32_e32 v3, v3, v4, vcc
	v_cndmask_b32_e32 v2, v2, v1, vcc
	global_load_dword v1, v[2:3], off
	v_mov_b32_e32 v2, s15
	s_cmp_eq_u32 s1, 1
	s_waitcnt vmcnt(1)
	v_subrev_u32_e32 v0, s2, v10
	v_add_u32_e32 v94, v0, v93
	v_ashrrev_i32_e32 v95, 31, v94
	s_waitcnt vmcnt(0)
	v_subrev_u32_e32 v111, s2, v1
	v_lshlrev_b64 v[0:1], 6, v[94:95]
	v_add_co_u32_e32 v96, vcc, s14, v0
	v_addc_co_u32_e32 v97, vcc, v2, v1, vcc
	v_cmp_lt_i32_e64 s[0:1], v94, v111
	s_cbranch_scc1 .LBB120_31
; %bb.20:
	s_mov_b32 s10, 0
	v_mov_b32_e32 v99, 0
	v_mov_b32_e32 v98, 0
	;; [unrolled: 1-line block ×8, first 2 shown]
	s_and_saveexec_b64 s[8:9], s[0:1]
	s_cbranch_execz .LBB120_30
; %bb.21:
	v_add_u32_e32 v0, v10, v93
	v_subrev_u32_e32 v0, s2, v0
	v_add_u32_e32 v0, 4, v0
	v_max_i32_e32 v0, v0, v111
	v_not_b32_e32 v1, v10
	v_add3_u32 v0, v0, s2, v1
	v_sub_u32_e32 v8, v0, v93
	v_lshrrev_b32_e32 v0, 2, v8
	v_add_u32_e32 v0, 1, v0
	v_and_b32_e32 v1, 3, v0
	s_mov_b32 s11, s10
	v_cmp_ne_u32_e32 vcc, 0, v1
	v_pk_mov_b32 v[98:99], s[10:11], s[10:11] op_sel:[0,1]
	v_pk_mov_b32 v[104:105], s[10:11], s[10:11] op_sel:[0,1]
	v_pk_mov_b32 v[102:103], s[10:11], s[10:11] op_sel:[0,1]
	v_pk_mov_b32 v[100:101], s[10:11], s[10:11] op_sel:[0,1]
	v_pk_mov_b32 v[2:3], v[96:97], v[96:97] op_sel:[0,1]
	v_mov_b32_e32 v0, v94
	s_and_saveexec_b64 s[10:11], vcc
	s_cbranch_execz .LBB120_25
; %bb.22:
	v_mov_b32_e32 v5, 0
	v_lshlrev_b32_e32 v9, 6, v1
	s_mov_b64 s[14:15], 0
	v_mov_b32_e32 v11, s13
	v_mov_b32_e32 v12, s7
	s_movk_i32 s3, 0x100
	v_bfrev_b32_e32 v6, 1
	v_mov_b32_e32 v0, v94
	v_pk_mov_b32 v[2:3], v[96:97], v[96:97] op_sel:[0,1]
	v_mov_b32_e32 v100, v5
	v_mov_b32_e32 v101, v5
	;; [unrolled: 1-line block ×8, first 2 shown]
.LBB120_23:                             ; =>This Inner Loop Header: Depth=1
	v_ashrrev_i32_e32 v1, 31, v0
	v_lshlrev_b64 v[14:15], 2, v[0:1]
	v_add_co_u32_e32 v22, vcc, s12, v14
	v_addc_co_u32_e32 v23, vcc, v11, v15, vcc
	global_load_dword v1, v[22:23], off
	global_load_dwordx4 v[14:17], v[2:3], off offset:16
	global_load_dwordx4 v[18:21], v[2:3], off
	v_subrev_u32_e32 v9, 64, v9
	v_add_u32_e32 v0, 4, v0
	s_waitcnt vmcnt(2)
	v_subrev_u32_e32 v1, s2, v1
	v_lshlrev_b32_e32 v22, 2, v1
	v_ashrrev_i32_e32 v23, 31, v22
	v_lshlrev_b64 v[22:23], 3, v[22:23]
	v_add_co_u32_e32 v38, vcc, s6, v22
	v_addc_co_u32_e32 v39, vcc, v12, v23, vcc
	global_load_dwordx4 v[22:25], v[38:39], off
	global_load_dwordx4 v[26:29], v[38:39], off offset:16
	global_load_dwordx4 v[30:33], v[2:3], off offset:32
	;; [unrolled: 1-line block ×3, first 2 shown]
	s_waitcnt vmcnt(4)
	v_mov_b32_e32 v4, v18
	v_mov_b32_e32 v7, v18
	v_add_co_u32_e32 v2, vcc, s3, v2
	v_addc_co_u32_e32 v3, vcc, 0, v3, vcc
	v_cmp_eq_u32_e32 vcc, 0, v9
	s_or_b64 s[14:15], vcc, s[14:15]
	s_waitcnt vmcnt(3)
	v_pk_fma_f32 v[38:39], v[22:23], v[4:5], v[98:99] op_sel_hi:[0,1,1]
	v_mov_b32_e32 v4, v19
	v_pk_fma_f32 v[38:39], v[22:23], v[6:7], v[38:39] op_sel:[1,0,0]
	v_mov_b32_e32 v18, v25
	v_mov_b32_e32 v7, v19
	v_pk_fma_f32 v[38:39], v[24:25], v[4:5], v[38:39] op_sel_hi:[0,1,1]
	v_mov_b32_e32 v4, v20
	v_pk_fma_f32 v[38:39], v[18:19], v[6:7], v[38:39] op_sel_hi:[0,1,1]
	v_mov_b32_e32 v7, v20
	s_waitcnt vmcnt(2)
	v_pk_fma_f32 v[38:39], v[26:27], v[4:5], v[38:39] op_sel_hi:[0,1,1]
	v_mov_b32_e32 v4, v21
	v_pk_fma_f32 v[38:39], v[26:27], v[6:7], v[38:39] op_sel:[1,0,0]
	v_mov_b32_e32 v40, v29
	v_mov_b32_e32 v7, v21
	v_pk_fma_f32 v[20:21], v[28:29], v[4:5], v[38:39] op_sel_hi:[0,1,1]
	v_mov_b32_e32 v4, v14
	v_pk_fma_f32 v[98:99], v[40:41], v[6:7], v[20:21] op_sel_hi:[0,1,1]
	v_pk_fma_f32 v[20:21], v[22:23], v[4:5], v[104:105] op_sel_hi:[0,1,1]
	v_mov_b32_e32 v7, v14
	v_mov_b32_e32 v4, v15
	v_pk_fma_f32 v[20:21], v[22:23], v[6:7], v[20:21] op_sel:[1,0,0]
	v_mov_b32_e32 v7, v15
	v_pk_fma_f32 v[14:15], v[24:25], v[4:5], v[20:21] op_sel_hi:[0,1,1]
	v_mov_b32_e32 v4, v16
	v_pk_fma_f32 v[14:15], v[18:19], v[6:7], v[14:15] op_sel_hi:[0,1,1]
	;; [unrolled: 2-line block ×3, first 2 shown]
	v_mov_b32_e32 v4, v17
	v_pk_fma_f32 v[14:15], v[26:27], v[6:7], v[14:15] op_sel:[1,0,0]
	v_mov_b32_e32 v7, v17
	v_pk_fma_f32 v[14:15], v[28:29], v[4:5], v[14:15] op_sel_hi:[0,1,1]
	s_waitcnt vmcnt(1)
	v_mov_b32_e32 v4, v30
	v_pk_fma_f32 v[104:105], v[40:41], v[6:7], v[14:15] op_sel_hi:[0,1,1]
	v_pk_fma_f32 v[14:15], v[22:23], v[4:5], v[102:103] op_sel_hi:[0,1,1]
	v_mov_b32_e32 v7, v30
	v_mov_b32_e32 v4, v31
	v_pk_fma_f32 v[14:15], v[22:23], v[6:7], v[14:15] op_sel:[1,0,0]
	v_mov_b32_e32 v7, v31
	v_pk_fma_f32 v[14:15], v[24:25], v[4:5], v[14:15] op_sel_hi:[0,1,1]
	v_mov_b32_e32 v4, v32
	v_pk_fma_f32 v[14:15], v[18:19], v[6:7], v[14:15] op_sel_hi:[0,1,1]
	;; [unrolled: 2-line block ×3, first 2 shown]
	v_mov_b32_e32 v4, v33
	v_pk_fma_f32 v[14:15], v[26:27], v[6:7], v[14:15] op_sel:[1,0,0]
	v_mov_b32_e32 v7, v33
	v_pk_fma_f32 v[14:15], v[28:29], v[4:5], v[14:15] op_sel_hi:[0,1,1]
	s_waitcnt vmcnt(0)
	v_mov_b32_e32 v4, v34
	v_pk_fma_f32 v[102:103], v[40:41], v[6:7], v[14:15] op_sel_hi:[0,1,1]
	v_pk_fma_f32 v[14:15], v[22:23], v[4:5], v[100:101] op_sel_hi:[0,1,1]
	v_mov_b32_e32 v7, v34
	v_mov_b32_e32 v4, v35
	v_pk_fma_f32 v[14:15], v[22:23], v[6:7], v[14:15] op_sel:[1,0,0]
	v_mov_b32_e32 v7, v35
	v_pk_fma_f32 v[14:15], v[24:25], v[4:5], v[14:15] op_sel_hi:[0,1,1]
	v_mov_b32_e32 v4, v36
	v_pk_fma_f32 v[14:15], v[18:19], v[6:7], v[14:15] op_sel_hi:[0,1,1]
	;; [unrolled: 2-line block ×3, first 2 shown]
	v_mov_b32_e32 v4, v37
	v_pk_fma_f32 v[14:15], v[26:27], v[6:7], v[14:15] op_sel:[1,0,0]
	v_mov_b32_e32 v7, v37
	v_pk_fma_f32 v[14:15], v[28:29], v[4:5], v[14:15] op_sel_hi:[0,1,1]
	v_pk_fma_f32 v[100:101], v[40:41], v[6:7], v[14:15] op_sel_hi:[0,1,1]
	s_andn2_b64 exec, exec, s[14:15]
	s_cbranch_execnz .LBB120_23
; %bb.24:
	s_or_b64 exec, exec, s[14:15]
.LBB120_25:
	s_or_b64 exec, exec, s[10:11]
	v_cmp_lt_u32_e32 vcc, 11, v8
	s_and_saveexec_b64 s[10:11], vcc
	s_cbranch_execz .LBB120_29
; %bb.26:
	s_mov_b64 s[14:15], 0
	v_mov_b32_e32 v11, s13
	v_mov_b32_e32 v12, s7
	;; [unrolled: 1-line block ×3, first 2 shown]
	v_bfrev_b32_e32 v6, 1
.LBB120_27:                             ; =>This Inner Loop Header: Depth=1
	v_ashrrev_i32_e32 v1, 31, v0
	v_lshlrev_b64 v[8:9], 2, v[0:1]
	v_add_co_u32_e32 v8, vcc, s12, v8
	v_addc_co_u32_e32 v9, vcc, v11, v9, vcc
	global_load_dword v1, v[8:9], off
	global_load_dwordx4 v[14:17], v[2:3], off offset:48
	global_load_dwordx4 v[18:21], v[2:3], off offset:32
	global_load_dwordx4 v[22:25], v[2:3], off offset:16
	global_load_dwordx4 v[26:29], v[2:3], off
	v_add_u32_e32 v0, 16, v0
	s_waitcnt vmcnt(4)
	v_subrev_u32_e32 v1, s2, v1
	v_lshlrev_b32_e32 v30, 2, v1
	v_ashrrev_i32_e32 v31, 31, v30
	v_lshlrev_b64 v[30:31], 3, v[30:31]
	v_add_co_u32_e32 v38, vcc, s6, v30
	v_addc_co_u32_e32 v39, vcc, v12, v31, vcc
	global_load_dwordx4 v[30:33], v[38:39], off offset:16
	global_load_dwordx4 v[34:37], v[38:39], off
	global_load_dword v1, v[8:9], off offset:16
	s_waitcnt vmcnt(3)
	v_mov_b32_e32 v4, v26
	v_mov_b32_e32 v7, v26
	s_waitcnt vmcnt(1)
	v_pk_fma_f32 v[38:39], v[34:35], v[4:5], v[98:99] op_sel_hi:[0,1,1]
	v_pk_fma_f32 v[38:39], v[34:35], v[6:7], v[38:39] op_sel:[1,0,0]
	v_mov_b32_e32 v4, v27
	v_pk_fma_f32 v[38:39], v[36:37], v[4:5], v[38:39] op_sel_hi:[0,1,1]
	v_mov_b32_e32 v26, v37
	v_mov_b32_e32 v7, v27
	v_pk_fma_f32 v[38:39], v[26:27], v[6:7], v[38:39] op_sel_hi:[0,1,1]
	v_mov_b32_e32 v4, v28
	v_pk_fma_f32 v[38:39], v[30:31], v[4:5], v[38:39] op_sel_hi:[0,1,1]
	v_mov_b32_e32 v7, v28
	v_pk_fma_f32 v[38:39], v[30:31], v[6:7], v[38:39] op_sel:[1,0,0]
	v_mov_b32_e32 v4, v29
	v_pk_fma_f32 v[38:39], v[32:33], v[4:5], v[38:39] op_sel_hi:[0,1,1]
	v_mov_b32_e32 v28, v33
	v_mov_b32_e32 v7, v29
	;; [unrolled: 1-line block ×3, first 2 shown]
	v_pk_fma_f32 v[38:39], v[28:29], v[6:7], v[38:39] op_sel_hi:[0,1,1]
	v_pk_fma_f32 v[40:41], v[34:35], v[4:5], v[104:105] op_sel_hi:[0,1,1]
	v_mov_b32_e32 v7, v22
	v_pk_fma_f32 v[40:41], v[34:35], v[6:7], v[40:41] op_sel:[1,0,0]
	v_mov_b32_e32 v4, v23
	v_pk_fma_f32 v[40:41], v[36:37], v[4:5], v[40:41] op_sel_hi:[0,1,1]
	v_mov_b32_e32 v7, v23
	v_pk_fma_f32 v[22:23], v[26:27], v[6:7], v[40:41] op_sel_hi:[0,1,1]
	v_mov_b32_e32 v4, v24
	v_pk_fma_f32 v[22:23], v[30:31], v[4:5], v[22:23] op_sel_hi:[0,1,1]
	v_mov_b32_e32 v7, v24
	v_pk_fma_f32 v[22:23], v[30:31], v[6:7], v[22:23] op_sel:[1,0,0]
	v_mov_b32_e32 v4, v25
	v_pk_fma_f32 v[22:23], v[32:33], v[4:5], v[22:23] op_sel_hi:[0,1,1]
	v_mov_b32_e32 v7, v25
	v_mov_b32_e32 v4, v18
	v_pk_fma_f32 v[40:41], v[28:29], v[6:7], v[22:23] op_sel_hi:[0,1,1]
	v_pk_fma_f32 v[22:23], v[34:35], v[4:5], v[102:103] op_sel_hi:[0,1,1]
	v_mov_b32_e32 v7, v18
	v_pk_fma_f32 v[22:23], v[34:35], v[6:7], v[22:23] op_sel:[1,0,0]
	v_mov_b32_e32 v4, v19
	v_pk_fma_f32 v[22:23], v[36:37], v[4:5], v[22:23] op_sel_hi:[0,1,1]
	v_mov_b32_e32 v7, v19
	v_pk_fma_f32 v[18:19], v[26:27], v[6:7], v[22:23] op_sel_hi:[0,1,1]
	;; [unrolled: 2-line block ×3, first 2 shown]
	v_mov_b32_e32 v7, v20
	v_pk_fma_f32 v[18:19], v[30:31], v[6:7], v[18:19] op_sel:[1,0,0]
	v_mov_b32_e32 v4, v21
	v_pk_fma_f32 v[18:19], v[32:33], v[4:5], v[18:19] op_sel_hi:[0,1,1]
	v_mov_b32_e32 v7, v21
	v_mov_b32_e32 v4, v14
	v_pk_fma_f32 v[42:43], v[28:29], v[6:7], v[18:19] op_sel_hi:[0,1,1]
	v_pk_fma_f32 v[18:19], v[34:35], v[4:5], v[100:101] op_sel_hi:[0,1,1]
	v_mov_b32_e32 v7, v14
	v_pk_fma_f32 v[18:19], v[34:35], v[6:7], v[18:19] op_sel:[1,0,0]
	v_mov_b32_e32 v4, v15
	v_pk_fma_f32 v[18:19], v[36:37], v[4:5], v[18:19] op_sel_hi:[0,1,1]
	v_mov_b32_e32 v7, v15
	v_pk_fma_f32 v[14:15], v[26:27], v[6:7], v[18:19] op_sel_hi:[0,1,1]
	;; [unrolled: 2-line block ×3, first 2 shown]
	v_mov_b32_e32 v7, v16
	s_waitcnt vmcnt(0)
	v_subrev_u32_e32 v1, s2, v1
	v_pk_fma_f32 v[14:15], v[30:31], v[6:7], v[14:15] op_sel:[1,0,0]
	v_lshlrev_b32_e32 v30, 2, v1
	v_ashrrev_i32_e32 v31, 31, v30
	v_mov_b32_e32 v4, v17
	v_lshlrev_b64 v[30:31], 3, v[30:31]
	v_pk_fma_f32 v[14:15], v[32:33], v[4:5], v[14:15] op_sel_hi:[0,1,1]
	v_mov_b32_e32 v7, v17
	v_add_co_u32_e32 v46, vcc, s6, v30
	v_pk_fma_f32 v[44:45], v[28:29], v[6:7], v[14:15] op_sel_hi:[0,1,1]
	global_load_dwordx4 v[14:17], v[2:3], off offset:304
	global_load_dwordx4 v[18:21], v[2:3], off offset:288
	global_load_dwordx4 v[22:25], v[2:3], off offset:272
	global_load_dwordx4 v[26:29], v[2:3], off offset:256
	v_addc_co_u32_e32 v47, vcc, v12, v31, vcc
	global_load_dwordx4 v[30:33], v[46:47], off offset:16
	global_load_dwordx4 v[34:37], v[46:47], off
	global_load_dword v1, v[8:9], off offset:32
	s_waitcnt vmcnt(3)
	v_mov_b32_e32 v4, v26
	v_mov_b32_e32 v7, v26
	s_waitcnt vmcnt(1)
	v_pk_fma_f32 v[38:39], v[34:35], v[4:5], v[38:39] op_sel_hi:[0,1,1]
	v_pk_fma_f32 v[38:39], v[34:35], v[6:7], v[38:39] op_sel:[1,0,0]
	v_mov_b32_e32 v4, v27
	v_pk_fma_f32 v[38:39], v[36:37], v[4:5], v[38:39] op_sel_hi:[0,1,1]
	v_mov_b32_e32 v26, v37
	v_mov_b32_e32 v7, v27
	v_pk_fma_f32 v[38:39], v[26:27], v[6:7], v[38:39] op_sel_hi:[0,1,1]
	v_mov_b32_e32 v4, v28
	v_pk_fma_f32 v[38:39], v[30:31], v[4:5], v[38:39] op_sel_hi:[0,1,1]
	v_mov_b32_e32 v7, v28
	v_pk_fma_f32 v[38:39], v[30:31], v[6:7], v[38:39] op_sel:[1,0,0]
	v_mov_b32_e32 v4, v29
	v_pk_fma_f32 v[38:39], v[32:33], v[4:5], v[38:39] op_sel_hi:[0,1,1]
	v_mov_b32_e32 v28, v33
	v_mov_b32_e32 v7, v29
	;; [unrolled: 1-line block ×3, first 2 shown]
	v_pk_fma_f32 v[38:39], v[28:29], v[6:7], v[38:39] op_sel_hi:[0,1,1]
	v_pk_fma_f32 v[40:41], v[34:35], v[4:5], v[40:41] op_sel_hi:[0,1,1]
	v_mov_b32_e32 v7, v22
	v_pk_fma_f32 v[40:41], v[34:35], v[6:7], v[40:41] op_sel:[1,0,0]
	v_mov_b32_e32 v4, v23
	v_pk_fma_f32 v[40:41], v[36:37], v[4:5], v[40:41] op_sel_hi:[0,1,1]
	v_mov_b32_e32 v7, v23
	v_pk_fma_f32 v[22:23], v[26:27], v[6:7], v[40:41] op_sel_hi:[0,1,1]
	;; [unrolled: 2-line block ×3, first 2 shown]
	v_mov_b32_e32 v7, v24
	v_pk_fma_f32 v[22:23], v[30:31], v[6:7], v[22:23] op_sel:[1,0,0]
	v_mov_b32_e32 v4, v25
	v_pk_fma_f32 v[22:23], v[32:33], v[4:5], v[22:23] op_sel_hi:[0,1,1]
	v_mov_b32_e32 v7, v25
	v_mov_b32_e32 v4, v18
	v_pk_fma_f32 v[40:41], v[28:29], v[6:7], v[22:23] op_sel_hi:[0,1,1]
	v_pk_fma_f32 v[22:23], v[34:35], v[4:5], v[42:43] op_sel_hi:[0,1,1]
	v_mov_b32_e32 v7, v18
	v_pk_fma_f32 v[22:23], v[34:35], v[6:7], v[22:23] op_sel:[1,0,0]
	v_mov_b32_e32 v4, v19
	v_pk_fma_f32 v[22:23], v[36:37], v[4:5], v[22:23] op_sel_hi:[0,1,1]
	v_mov_b32_e32 v7, v19
	v_pk_fma_f32 v[18:19], v[26:27], v[6:7], v[22:23] op_sel_hi:[0,1,1]
	;; [unrolled: 2-line block ×3, first 2 shown]
	v_mov_b32_e32 v7, v20
	v_pk_fma_f32 v[18:19], v[30:31], v[6:7], v[18:19] op_sel:[1,0,0]
	v_mov_b32_e32 v4, v21
	v_pk_fma_f32 v[18:19], v[32:33], v[4:5], v[18:19] op_sel_hi:[0,1,1]
	v_mov_b32_e32 v7, v21
	v_mov_b32_e32 v4, v14
	v_pk_fma_f32 v[42:43], v[28:29], v[6:7], v[18:19] op_sel_hi:[0,1,1]
	v_pk_fma_f32 v[18:19], v[34:35], v[4:5], v[44:45] op_sel_hi:[0,1,1]
	v_mov_b32_e32 v7, v14
	v_pk_fma_f32 v[18:19], v[34:35], v[6:7], v[18:19] op_sel:[1,0,0]
	v_mov_b32_e32 v4, v15
	v_pk_fma_f32 v[18:19], v[36:37], v[4:5], v[18:19] op_sel_hi:[0,1,1]
	v_mov_b32_e32 v7, v15
	v_pk_fma_f32 v[14:15], v[26:27], v[6:7], v[18:19] op_sel_hi:[0,1,1]
	;; [unrolled: 2-line block ×3, first 2 shown]
	v_mov_b32_e32 v7, v16
	s_waitcnt vmcnt(0)
	v_subrev_u32_e32 v1, s2, v1
	v_pk_fma_f32 v[14:15], v[30:31], v[6:7], v[14:15] op_sel:[1,0,0]
	v_lshlrev_b32_e32 v30, 2, v1
	v_ashrrev_i32_e32 v31, 31, v30
	v_mov_b32_e32 v4, v17
	v_lshlrev_b64 v[30:31], 3, v[30:31]
	v_pk_fma_f32 v[14:15], v[32:33], v[4:5], v[14:15] op_sel_hi:[0,1,1]
	v_mov_b32_e32 v7, v17
	v_add_co_u32_e32 v46, vcc, s6, v30
	v_pk_fma_f32 v[44:45], v[28:29], v[6:7], v[14:15] op_sel_hi:[0,1,1]
	global_load_dwordx4 v[14:17], v[2:3], off offset:560
	global_load_dwordx4 v[18:21], v[2:3], off offset:544
	;; [unrolled: 1-line block ×4, first 2 shown]
	v_addc_co_u32_e32 v47, vcc, v12, v31, vcc
	global_load_dwordx4 v[30:33], v[46:47], off offset:16
	global_load_dwordx4 v[34:37], v[46:47], off
	global_load_dword v1, v[8:9], off offset:48
	s_waitcnt vmcnt(3)
	v_mov_b32_e32 v4, v26
	v_mov_b32_e32 v7, v26
	s_waitcnt vmcnt(1)
	v_pk_fma_f32 v[38:39], v[34:35], v[4:5], v[38:39] op_sel_hi:[0,1,1]
	v_pk_fma_f32 v[38:39], v[34:35], v[6:7], v[38:39] op_sel:[1,0,0]
	v_mov_b32_e32 v4, v27
	v_pk_fma_f32 v[38:39], v[36:37], v[4:5], v[38:39] op_sel_hi:[0,1,1]
	v_mov_b32_e32 v26, v37
	v_mov_b32_e32 v7, v27
	v_pk_fma_f32 v[38:39], v[26:27], v[6:7], v[38:39] op_sel_hi:[0,1,1]
	v_mov_b32_e32 v4, v28
	v_pk_fma_f32 v[38:39], v[30:31], v[4:5], v[38:39] op_sel_hi:[0,1,1]
	v_mov_b32_e32 v7, v28
	v_pk_fma_f32 v[38:39], v[30:31], v[6:7], v[38:39] op_sel:[1,0,0]
	v_mov_b32_e32 v4, v29
	v_pk_fma_f32 v[38:39], v[32:33], v[4:5], v[38:39] op_sel_hi:[0,1,1]
	v_mov_b32_e32 v28, v33
	v_mov_b32_e32 v7, v29
	;; [unrolled: 1-line block ×3, first 2 shown]
	v_pk_fma_f32 v[38:39], v[28:29], v[6:7], v[38:39] op_sel_hi:[0,1,1]
	v_pk_fma_f32 v[40:41], v[34:35], v[4:5], v[40:41] op_sel_hi:[0,1,1]
	v_mov_b32_e32 v7, v22
	v_pk_fma_f32 v[40:41], v[34:35], v[6:7], v[40:41] op_sel:[1,0,0]
	v_mov_b32_e32 v4, v23
	v_pk_fma_f32 v[40:41], v[36:37], v[4:5], v[40:41] op_sel_hi:[0,1,1]
	v_mov_b32_e32 v7, v23
	v_pk_fma_f32 v[22:23], v[26:27], v[6:7], v[40:41] op_sel_hi:[0,1,1]
	;; [unrolled: 2-line block ×3, first 2 shown]
	v_mov_b32_e32 v7, v24
	v_pk_fma_f32 v[22:23], v[30:31], v[6:7], v[22:23] op_sel:[1,0,0]
	v_mov_b32_e32 v4, v25
	v_pk_fma_f32 v[22:23], v[32:33], v[4:5], v[22:23] op_sel_hi:[0,1,1]
	v_mov_b32_e32 v7, v25
	v_mov_b32_e32 v4, v18
	v_pk_fma_f32 v[40:41], v[28:29], v[6:7], v[22:23] op_sel_hi:[0,1,1]
	v_pk_fma_f32 v[22:23], v[34:35], v[4:5], v[42:43] op_sel_hi:[0,1,1]
	v_mov_b32_e32 v7, v18
	v_pk_fma_f32 v[22:23], v[34:35], v[6:7], v[22:23] op_sel:[1,0,0]
	v_mov_b32_e32 v4, v19
	v_pk_fma_f32 v[22:23], v[36:37], v[4:5], v[22:23] op_sel_hi:[0,1,1]
	v_mov_b32_e32 v7, v19
	v_pk_fma_f32 v[18:19], v[26:27], v[6:7], v[22:23] op_sel_hi:[0,1,1]
	;; [unrolled: 2-line block ×3, first 2 shown]
	v_mov_b32_e32 v7, v20
	v_pk_fma_f32 v[18:19], v[30:31], v[6:7], v[18:19] op_sel:[1,0,0]
	v_mov_b32_e32 v4, v21
	v_pk_fma_f32 v[18:19], v[32:33], v[4:5], v[18:19] op_sel_hi:[0,1,1]
	v_mov_b32_e32 v7, v21
	v_mov_b32_e32 v4, v14
	v_pk_fma_f32 v[42:43], v[28:29], v[6:7], v[18:19] op_sel_hi:[0,1,1]
	v_pk_fma_f32 v[18:19], v[34:35], v[4:5], v[44:45] op_sel_hi:[0,1,1]
	v_mov_b32_e32 v7, v14
	v_pk_fma_f32 v[18:19], v[34:35], v[6:7], v[18:19] op_sel:[1,0,0]
	v_mov_b32_e32 v4, v15
	v_pk_fma_f32 v[18:19], v[36:37], v[4:5], v[18:19] op_sel_hi:[0,1,1]
	v_mov_b32_e32 v7, v15
	s_waitcnt vmcnt(0)
	v_subrev_u32_e32 v1, s2, v1
	v_pk_fma_f32 v[14:15], v[26:27], v[6:7], v[18:19] op_sel_hi:[0,1,1]
	v_mov_b32_e32 v4, v16
	v_lshlrev_b32_e32 v8, 2, v1
	v_pk_fma_f32 v[14:15], v[30:31], v[4:5], v[14:15] op_sel_hi:[0,1,1]
	v_mov_b32_e32 v7, v16
	v_ashrrev_i32_e32 v9, 31, v8
	v_pk_fma_f32 v[14:15], v[30:31], v[6:7], v[14:15] op_sel:[1,0,0]
	v_mov_b32_e32 v4, v17
	v_lshlrev_b64 v[8:9], 3, v[8:9]
	v_pk_fma_f32 v[14:15], v[32:33], v[4:5], v[14:15] op_sel_hi:[0,1,1]
	v_mov_b32_e32 v7, v17
	v_add_co_u32_e32 v8, vcc, s6, v8
	v_pk_fma_f32 v[44:45], v[28:29], v[6:7], v[14:15] op_sel_hi:[0,1,1]
	global_load_dwordx4 v[14:17], v[2:3], off offset:816
	global_load_dwordx4 v[18:21], v[2:3], off offset:800
	;; [unrolled: 1-line block ×4, first 2 shown]
	v_addc_co_u32_e32 v9, vcc, v12, v9, vcc
	global_load_dwordx4 v[30:33], v[8:9], off offset:16
	global_load_dwordx4 v[34:37], v[8:9], off
	v_add_co_u32_e32 v2, vcc, 0x400, v2
	v_addc_co_u32_e32 v3, vcc, 0, v3, vcc
	v_cmp_ge_i32_e32 vcc, v0, v111
	s_or_b64 s[14:15], vcc, s[14:15]
	s_waitcnt vmcnt(2)
	v_mov_b32_e32 v4, v26
	v_mov_b32_e32 v7, v26
	s_waitcnt vmcnt(0)
	v_pk_fma_f32 v[8:9], v[34:35], v[4:5], v[38:39] op_sel_hi:[0,1,1]
	v_pk_fma_f32 v[8:9], v[34:35], v[6:7], v[8:9] op_sel:[1,0,0]
	v_mov_b32_e32 v4, v27
	v_pk_fma_f32 v[8:9], v[36:37], v[4:5], v[8:9] op_sel_hi:[0,1,1]
	v_mov_b32_e32 v26, v37
	v_mov_b32_e32 v7, v27
	v_pk_fma_f32 v[8:9], v[26:27], v[6:7], v[8:9] op_sel_hi:[0,1,1]
	v_mov_b32_e32 v4, v28
	v_pk_fma_f32 v[8:9], v[30:31], v[4:5], v[8:9] op_sel_hi:[0,1,1]
	v_mov_b32_e32 v7, v28
	v_pk_fma_f32 v[8:9], v[30:31], v[6:7], v[8:9] op_sel:[1,0,0]
	v_mov_b32_e32 v4, v29
	v_pk_fma_f32 v[8:9], v[32:33], v[4:5], v[8:9] op_sel_hi:[0,1,1]
	v_mov_b32_e32 v28, v33
	v_mov_b32_e32 v7, v29
	;; [unrolled: 1-line block ×3, first 2 shown]
	v_pk_fma_f32 v[98:99], v[28:29], v[6:7], v[8:9] op_sel_hi:[0,1,1]
	v_pk_fma_f32 v[8:9], v[34:35], v[4:5], v[40:41] op_sel_hi:[0,1,1]
	v_mov_b32_e32 v7, v22
	v_pk_fma_f32 v[8:9], v[34:35], v[6:7], v[8:9] op_sel:[1,0,0]
	v_mov_b32_e32 v4, v23
	v_pk_fma_f32 v[8:9], v[36:37], v[4:5], v[8:9] op_sel_hi:[0,1,1]
	v_mov_b32_e32 v7, v23
	v_pk_fma_f32 v[8:9], v[26:27], v[6:7], v[8:9] op_sel_hi:[0,1,1]
	;; [unrolled: 2-line block ×3, first 2 shown]
	v_mov_b32_e32 v7, v24
	v_pk_fma_f32 v[8:9], v[30:31], v[6:7], v[8:9] op_sel:[1,0,0]
	v_mov_b32_e32 v4, v25
	v_pk_fma_f32 v[8:9], v[32:33], v[4:5], v[8:9] op_sel_hi:[0,1,1]
	v_mov_b32_e32 v7, v25
	v_mov_b32_e32 v4, v18
	v_pk_fma_f32 v[104:105], v[28:29], v[6:7], v[8:9] op_sel_hi:[0,1,1]
	v_pk_fma_f32 v[8:9], v[34:35], v[4:5], v[42:43] op_sel_hi:[0,1,1]
	v_mov_b32_e32 v7, v18
	v_pk_fma_f32 v[8:9], v[34:35], v[6:7], v[8:9] op_sel:[1,0,0]
	v_mov_b32_e32 v4, v19
	v_pk_fma_f32 v[8:9], v[36:37], v[4:5], v[8:9] op_sel_hi:[0,1,1]
	v_mov_b32_e32 v7, v19
	v_pk_fma_f32 v[8:9], v[26:27], v[6:7], v[8:9] op_sel_hi:[0,1,1]
	;; [unrolled: 2-line block ×3, first 2 shown]
	v_mov_b32_e32 v7, v20
	v_pk_fma_f32 v[8:9], v[30:31], v[6:7], v[8:9] op_sel:[1,0,0]
	v_mov_b32_e32 v4, v21
	v_pk_fma_f32 v[8:9], v[32:33], v[4:5], v[8:9] op_sel_hi:[0,1,1]
	v_mov_b32_e32 v7, v21
	v_mov_b32_e32 v4, v14
	v_pk_fma_f32 v[102:103], v[28:29], v[6:7], v[8:9] op_sel_hi:[0,1,1]
	v_pk_fma_f32 v[8:9], v[34:35], v[4:5], v[44:45] op_sel_hi:[0,1,1]
	v_mov_b32_e32 v7, v14
	v_pk_fma_f32 v[8:9], v[34:35], v[6:7], v[8:9] op_sel:[1,0,0]
	v_mov_b32_e32 v4, v15
	v_pk_fma_f32 v[8:9], v[36:37], v[4:5], v[8:9] op_sel_hi:[0,1,1]
	v_mov_b32_e32 v7, v15
	v_pk_fma_f32 v[8:9], v[26:27], v[6:7], v[8:9] op_sel_hi:[0,1,1]
	;; [unrolled: 2-line block ×3, first 2 shown]
	v_mov_b32_e32 v7, v16
	v_pk_fma_f32 v[8:9], v[30:31], v[6:7], v[8:9] op_sel:[1,0,0]
	v_mov_b32_e32 v4, v17
	v_pk_fma_f32 v[8:9], v[32:33], v[4:5], v[8:9] op_sel_hi:[0,1,1]
	v_mov_b32_e32 v7, v17
	v_pk_fma_f32 v[100:101], v[28:29], v[6:7], v[8:9] op_sel_hi:[0,1,1]
	s_andn2_b64 exec, exec, s[14:15]
	s_cbranch_execnz .LBB120_27
; %bb.28:
	s_or_b64 exec, exec, s[14:15]
.LBB120_29:
	s_or_b64 exec, exec, s[10:11]
.LBB120_30:
	s_or_b64 exec, exec, s[8:9]
	s_cbranch_execz .LBB120_32
	s_branch .LBB120_43
.LBB120_31:
                                        ; implicit-def: $vgpr99
                                        ; implicit-def: $vgpr105
                                        ; implicit-def: $vgpr103
                                        ; implicit-def: $vgpr101
.LBB120_32:
	s_mov_b32 s10, 0
	v_mov_b32_e32 v99, 0
	v_mov_b32_e32 v98, 0
	;; [unrolled: 1-line block ×8, first 2 shown]
	s_and_saveexec_b64 s[8:9], s[0:1]
	s_cbranch_execz .LBB120_42
; %bb.33:
	v_add_u32_e32 v0, v10, v93
	v_subrev_u32_e32 v0, s2, v0
	v_add_u32_e32 v0, 4, v0
	v_max_i32_e32 v0, v0, v111
	v_not_b32_e32 v1, v10
	v_add3_u32 v0, v0, s2, v1
	v_sub_u32_e32 v4, v0, v93
	v_lshrrev_b32_e32 v0, 2, v4
	v_add_u32_e32 v0, 1, v0
	v_and_b32_e32 v0, 3, v0
	s_mov_b32 s11, s10
	v_cmp_ne_u32_e32 vcc, 0, v0
	v_pk_mov_b32 v[98:99], s[10:11], s[10:11] op_sel:[0,1]
	v_pk_mov_b32 v[104:105], s[10:11], s[10:11] op_sel:[0,1]
	;; [unrolled: 1-line block ×4, first 2 shown]
	s_and_saveexec_b64 s[0:1], vcc
	s_cbranch_execz .LBB120_37
; %bb.34:
	v_mov_b32_e32 v1, 0
	v_lshlrev_b32_e32 v5, 6, v0
	s_mov_b64 s[10:11], 0
	v_mov_b32_e32 v6, s13
	v_mov_b32_e32 v7, s7
	s_movk_i32 s3, 0x100
	v_bfrev_b32_e32 v2, 1
	v_mov_b32_e32 v100, v1
	v_mov_b32_e32 v101, v1
	;; [unrolled: 1-line block ×8, first 2 shown]
.LBB120_35:                             ; =>This Inner Loop Header: Depth=1
	v_ashrrev_i32_e32 v95, 31, v94
	v_lshlrev_b64 v[8:9], 2, v[94:95]
	v_add_co_u32_e32 v20, vcc, s12, v8
	v_addc_co_u32_e32 v21, vcc, v6, v9, vcc
	global_load_dword v0, v[20:21], off
	global_load_dwordx4 v[8:11], v[96:97], off offset:32
	global_load_dwordx4 v[12:15], v[96:97], off offset:16
	global_load_dwordx4 v[16:19], v[96:97], off
	v_subrev_u32_e32 v5, 64, v5
	v_add_u32_e32 v94, 4, v94
	s_waitcnt vmcnt(3)
	v_subrev_u32_e32 v0, s2, v0
	v_lshlrev_b32_e32 v20, 2, v0
	v_ashrrev_i32_e32 v21, 31, v20
	v_lshlrev_b64 v[20:21], 3, v[20:21]
	v_add_co_u32_e32 v32, vcc, s6, v20
	v_addc_co_u32_e32 v33, vcc, v7, v21, vcc
	global_load_dwordx4 v[20:23], v[32:33], off
	global_load_dwordx4 v[24:27], v[32:33], off offset:16
	global_load_dwordx4 v[28:31], v[96:97], off offset:48
	s_waitcnt vmcnt(3)
	v_mov_b32_e32 v0, v16
	v_mov_b32_e32 v3, v16
	v_add_co_u32_e32 v96, vcc, s3, v96
	v_addc_co_u32_e32 v97, vcc, 0, v97, vcc
	v_cmp_eq_u32_e32 vcc, 0, v5
	s_or_b64 s[10:11], vcc, s[10:11]
	s_waitcnt vmcnt(2)
	v_pk_fma_f32 v[32:33], v[20:21], v[0:1], v[98:99] op_sel_hi:[0,1,1]
	v_mov_b32_e32 v0, v12
	v_pk_fma_f32 v[32:33], v[20:21], v[2:3], v[32:33] op_sel:[1,0,0]
	v_mov_b32_e32 v16, v23
	v_mov_b32_e32 v3, v12
	v_pk_fma_f32 v[32:33], v[22:23], v[0:1], v[32:33] op_sel_hi:[0,1,1]
	v_mov_b32_e32 v0, v8
	v_pk_fma_f32 v[32:33], v[16:17], v[2:3], v[32:33] op_sel_hi:[0,1,1]
	v_mov_b32_e32 v3, v8
	s_waitcnt vmcnt(1)
	v_pk_fma_f32 v[32:33], v[24:25], v[0:1], v[32:33] op_sel_hi:[0,1,1]
	s_waitcnt vmcnt(0)
	v_mov_b32_e32 v0, v28
	v_pk_fma_f32 v[32:33], v[24:25], v[2:3], v[32:33] op_sel:[1,0,0]
	v_mov_b32_e32 v34, v27
	v_mov_b32_e32 v3, v28
	v_pk_fma_f32 v[32:33], v[26:27], v[0:1], v[32:33] op_sel_hi:[0,1,1]
	v_mov_b32_e32 v0, v17
	v_pk_fma_f32 v[98:99], v[34:35], v[2:3], v[32:33] op_sel_hi:[0,1,1]
	v_pk_fma_f32 v[32:33], v[20:21], v[0:1], v[104:105] op_sel_hi:[0,1,1]
	v_mov_b32_e32 v3, v17
	v_mov_b32_e32 v0, v13
	v_pk_fma_f32 v[32:33], v[20:21], v[2:3], v[32:33] op_sel:[1,0,0]
	v_mov_b32_e32 v3, v13
	v_pk_fma_f32 v[12:13], v[22:23], v[0:1], v[32:33] op_sel_hi:[0,1,1]
	v_mov_b32_e32 v0, v9
	v_pk_fma_f32 v[12:13], v[16:17], v[2:3], v[12:13] op_sel_hi:[0,1,1]
	v_mov_b32_e32 v3, v9
	v_pk_fma_f32 v[8:9], v[24:25], v[0:1], v[12:13] op_sel_hi:[0,1,1]
	v_mov_b32_e32 v0, v29
	v_pk_fma_f32 v[8:9], v[24:25], v[2:3], v[8:9] op_sel:[1,0,0]
	v_mov_b32_e32 v3, v29
	v_pk_fma_f32 v[8:9], v[26:27], v[0:1], v[8:9] op_sel_hi:[0,1,1]
	v_mov_b32_e32 v0, v18
	v_pk_fma_f32 v[104:105], v[34:35], v[2:3], v[8:9] op_sel_hi:[0,1,1]
	v_pk_fma_f32 v[8:9], v[20:21], v[0:1], v[102:103] op_sel_hi:[0,1,1]
	v_mov_b32_e32 v3, v18
	v_mov_b32_e32 v0, v14
	v_pk_fma_f32 v[8:9], v[20:21], v[2:3], v[8:9] op_sel:[1,0,0]
	v_mov_b32_e32 v3, v14
	v_pk_fma_f32 v[8:9], v[22:23], v[0:1], v[8:9] op_sel_hi:[0,1,1]
	v_mov_b32_e32 v0, v10
	v_pk_fma_f32 v[8:9], v[16:17], v[2:3], v[8:9] op_sel_hi:[0,1,1]
	v_mov_b32_e32 v3, v10
	v_pk_fma_f32 v[8:9], v[24:25], v[0:1], v[8:9] op_sel_hi:[0,1,1]
	v_mov_b32_e32 v0, v30
	v_pk_fma_f32 v[8:9], v[24:25], v[2:3], v[8:9] op_sel:[1,0,0]
	;; [unrolled: 16-line block ×3, first 2 shown]
	v_mov_b32_e32 v3, v31
	v_pk_fma_f32 v[8:9], v[26:27], v[0:1], v[8:9] op_sel_hi:[0,1,1]
	v_pk_fma_f32 v[100:101], v[34:35], v[2:3], v[8:9] op_sel_hi:[0,1,1]
	s_andn2_b64 exec, exec, s[10:11]
	s_cbranch_execnz .LBB120_35
; %bb.36:
	s_or_b64 exec, exec, s[10:11]
.LBB120_37:
	s_or_b64 exec, exec, s[0:1]
	v_cmp_lt_u32_e32 vcc, 11, v4
	s_and_saveexec_b64 s[0:1], vcc
	s_cbranch_execz .LBB120_41
; %bb.38:
	s_mov_b64 s[10:11], 0
	v_mov_b32_e32 v114, s13
	v_mov_b32_e32 v115, s7
	;; [unrolled: 1-line block ×3, first 2 shown]
	v_bfrev_b32_e32 v108, 1
.LBB120_39:                             ; =>This Inner Loop Header: Depth=1
	v_ashrrev_i32_e32 v95, 31, v94
	global_load_dwordx4 v[0:3], v[96:97], off offset:48
	global_load_dwordx4 v[20:23], v[96:97], off offset:32
	;; [unrolled: 1-line block ×3, first 2 shown]
	global_load_dwordx4 v[60:63], v[96:97], off
	global_load_dwordx4 v[4:7], v[96:97], off offset:304
	global_load_dwordx4 v[8:11], v[96:97], off offset:288
	;; [unrolled: 1-line block ×12, first 2 shown]
	v_add_co_u32_e32 v96, vcc, 0x400, v96
	v_lshlrev_b64 v[64:65], 2, v[94:95]
	v_addc_co_u32_e32 v97, vcc, 0, v97, vcc
	v_add_co_u32_e32 v64, vcc, s12, v64
	v_addc_co_u32_e32 v65, vcc, v114, v65, vcc
	global_load_dword v66, v[64:65], off
	global_load_dword v67, v[64:65], off offset:16
	global_load_dword v68, v[64:65], off offset:32
	;; [unrolled: 1-line block ×3, first 2 shown]
	v_add_u32_e32 v94, 16, v94
	v_cmp_ge_i32_e32 vcc, v94, v111
	s_or_b64 s[10:11], vcc, s[10:11]
	s_waitcnt vmcnt(16)
	v_mov_b32_e32 v106, v60
	v_mov_b32_e32 v109, v60
	s_waitcnt vmcnt(3)
	v_subrev_u32_e32 v60, s2, v66
	s_waitcnt vmcnt(2)
	v_subrev_u32_e32 v65, s2, v67
	v_lshlrev_b32_e32 v64, 2, v60
	v_lshlrev_b32_e32 v66, 2, v65
	v_ashrrev_i32_e32 v65, 31, v64
	s_waitcnt vmcnt(1)
	v_subrev_u32_e32 v67, s2, v68
	v_lshlrev_b64 v[64:65], 3, v[64:65]
	v_lshlrev_b32_e32 v68, 2, v67
	v_ashrrev_i32_e32 v67, 31, v66
	v_add_co_u32_e32 v112, vcc, s6, v64
	s_waitcnt vmcnt(0)
	v_subrev_u32_e32 v69, s2, v69
	v_lshlrev_b64 v[66:67], 3, v[66:67]
	v_addc_co_u32_e32 v113, vcc, v115, v65, vcc
	v_lshlrev_b32_e32 v70, 2, v69
	v_ashrrev_i32_e32 v69, 31, v68
	v_add_co_u32_e32 v124, vcc, s6, v66
	v_lshlrev_b64 v[68:69], 3, v[68:69]
	v_addc_co_u32_e32 v125, vcc, v115, v67, vcc
	v_ashrrev_i32_e32 v71, 31, v70
	v_add_co_u32_e32 v126, vcc, s6, v68
	v_lshlrev_b64 v[70:71], 3, v[70:71]
	v_addc_co_u32_e32 v127, vcc, v115, v69, vcc
	v_add_co_u32_e32 v128, vcc, s6, v70
	v_addc_co_u32_e32 v129, vcc, v115, v71, vcc
	global_load_dwordx4 v[116:119], v[112:113], off
	global_load_dwordx4 v[120:123], v[112:113], off offset:16
	global_load_dwordx4 v[84:87], v[124:125], off
	global_load_dwordx4 v[80:83], v[124:125], off offset:16
	global_load_dwordx4 v[76:79], v[126:127], off
	global_load_dwordx4 v[72:75], v[126:127], off offset:16
	global_load_dwordx4 v[68:71], v[128:129], off
	global_load_dwordx4 v[64:67], v[128:129], off offset:16
	s_waitcnt vmcnt(7)
	v_pk_fma_f32 v[112:113], v[116:117], v[106:107], v[98:99] op_sel_hi:[0,1,1]
	v_mov_b32_e32 v106, v24
	v_pk_fma_f32 v[112:113], v[116:117], v[108:109], v[112:113] op_sel:[1,0,0]
	v_mov_b32_e32 v124, v119
	v_mov_b32_e32 v109, v24
	v_pk_fma_f32 v[112:113], v[118:119], v[106:107], v[112:113] op_sel_hi:[0,1,1]
	v_mov_b32_e32 v106, v20
	v_pk_fma_f32 v[112:113], v[124:125], v[108:109], v[112:113] op_sel_hi:[0,1,1]
	v_mov_b32_e32 v109, v20
	s_waitcnt vmcnt(6)
	v_pk_fma_f32 v[112:113], v[120:121], v[106:107], v[112:113] op_sel_hi:[0,1,1]
	v_mov_b32_e32 v106, v0
	v_pk_fma_f32 v[112:113], v[120:121], v[108:109], v[112:113] op_sel:[1,0,0]
	v_mov_b32_e32 v110, v123
	v_mov_b32_e32 v109, v0
	v_pk_fma_f32 v[112:113], v[122:123], v[106:107], v[112:113] op_sel_hi:[0,1,1]
	v_mov_b32_e32 v106, v61
	v_pk_fma_f32 v[112:113], v[110:111], v[108:109], v[112:113] op_sel_hi:[0,1,1]
	v_pk_fma_f32 v[104:105], v[116:117], v[106:107], v[104:105] op_sel_hi:[0,1,1]
	v_mov_b32_e32 v109, v61
	v_mov_b32_e32 v106, v25
	v_pk_fma_f32 v[104:105], v[116:117], v[108:109], v[104:105] op_sel:[1,0,0]
	v_mov_b32_e32 v109, v25
	v_pk_fma_f32 v[24:25], v[118:119], v[106:107], v[104:105] op_sel_hi:[0,1,1]
	v_mov_b32_e32 v106, v21
	v_pk_fma_f32 v[24:25], v[124:125], v[108:109], v[24:25] op_sel_hi:[0,1,1]
	;; [unrolled: 2-line block ×3, first 2 shown]
	v_mov_b32_e32 v106, v1
	v_pk_fma_f32 v[20:21], v[120:121], v[108:109], v[20:21] op_sel:[1,0,0]
	v_mov_b32_e32 v109, v1
	v_pk_fma_f32 v[0:1], v[122:123], v[106:107], v[20:21] op_sel_hi:[0,1,1]
	v_mov_b32_e32 v106, v62
	v_pk_fma_f32 v[20:21], v[110:111], v[108:109], v[0:1] op_sel_hi:[0,1,1]
	v_pk_fma_f32 v[0:1], v[116:117], v[106:107], v[102:103] op_sel_hi:[0,1,1]
	v_mov_b32_e32 v109, v62
	v_mov_b32_e32 v106, v26
	v_pk_fma_f32 v[0:1], v[116:117], v[108:109], v[0:1] op_sel:[1,0,0]
	v_mov_b32_e32 v109, v26
	v_pk_fma_f32 v[0:1], v[118:119], v[106:107], v[0:1] op_sel_hi:[0,1,1]
	v_mov_b32_e32 v106, v22
	v_pk_fma_f32 v[0:1], v[124:125], v[108:109], v[0:1] op_sel_hi:[0,1,1]
	;; [unrolled: 2-line block ×3, first 2 shown]
	v_mov_b32_e32 v106, v2
	v_pk_fma_f32 v[0:1], v[120:121], v[108:109], v[0:1] op_sel:[1,0,0]
	v_mov_b32_e32 v109, v2
	v_pk_fma_f32 v[0:1], v[122:123], v[106:107], v[0:1] op_sel_hi:[0,1,1]
	v_mov_b32_e32 v106, v63
	v_pk_fma_f32 v[24:25], v[110:111], v[108:109], v[0:1] op_sel_hi:[0,1,1]
	v_pk_fma_f32 v[0:1], v[116:117], v[106:107], v[100:101] op_sel_hi:[0,1,1]
	v_mov_b32_e32 v109, v63
	v_mov_b32_e32 v106, v27
	v_pk_fma_f32 v[0:1], v[116:117], v[108:109], v[0:1] op_sel:[1,0,0]
	v_pk_fma_f32 v[0:1], v[118:119], v[106:107], v[0:1] op_sel_hi:[0,1,1]
	v_mov_b32_e32 v109, v27
	v_pk_fma_f32 v[62:63], v[124:125], v[108:109], v[0:1] op_sel_hi:[0,1,1]
	v_mov_b32_e32 v106, v23
	v_mov_b32_e32 v109, v23
	v_pk_fma_f32 v[62:63], v[120:121], v[106:107], v[62:63] op_sel_hi:[0,1,1]
	v_mov_b32_e32 v106, v3
	v_pk_fma_f32 v[62:63], v[120:121], v[108:109], v[62:63] op_sel:[1,0,0]
	v_pk_fma_f32 v[62:63], v[122:123], v[106:107], v[62:63] op_sel_hi:[0,1,1]
	v_mov_b32_e32 v109, v3
	v_mov_b32_e32 v106, v16
	v_pk_fma_f32 v[62:63], v[110:111], v[108:109], v[62:63] op_sel_hi:[0,1,1]
	s_waitcnt vmcnt(5)
	v_pk_fma_f32 v[100:101], v[84:85], v[106:107], v[112:113] op_sel_hi:[0,1,1]
	v_mov_b32_e32 v109, v16
	v_mov_b32_e32 v106, v12
	v_pk_fma_f32 v[100:101], v[84:85], v[108:109], v[100:101] op_sel:[1,0,0]
	v_mov_b32_e32 v98, v87
	v_mov_b32_e32 v109, v12
	v_pk_fma_f32 v[100:101], v[86:87], v[106:107], v[100:101] op_sel_hi:[0,1,1]
	v_mov_b32_e32 v106, v8
	v_pk_fma_f32 v[100:101], v[98:99], v[108:109], v[100:101] op_sel_hi:[0,1,1]
	v_mov_b32_e32 v109, v8
	s_waitcnt vmcnt(4)
	v_pk_fma_f32 v[100:101], v[80:81], v[106:107], v[100:101] op_sel_hi:[0,1,1]
	v_mov_b32_e32 v106, v4
	v_pk_fma_f32 v[100:101], v[80:81], v[108:109], v[100:101] op_sel:[1,0,0]
	v_mov_b32_e32 v60, v83
	v_mov_b32_e32 v109, v4
	v_pk_fma_f32 v[100:101], v[82:83], v[106:107], v[100:101] op_sel_hi:[0,1,1]
	v_mov_b32_e32 v106, v17
	v_pk_fma_f32 v[100:101], v[60:61], v[108:109], v[100:101] op_sel_hi:[0,1,1]
	v_pk_fma_f32 v[20:21], v[84:85], v[106:107], v[20:21] op_sel_hi:[0,1,1]
	v_mov_b32_e32 v109, v17
	v_mov_b32_e32 v106, v13
	v_pk_fma_f32 v[16:17], v[84:85], v[108:109], v[20:21] op_sel:[1,0,0]
	v_mov_b32_e32 v109, v13
	v_pk_fma_f32 v[12:13], v[86:87], v[106:107], v[16:17] op_sel_hi:[0,1,1]
	v_mov_b32_e32 v106, v9
	v_pk_fma_f32 v[12:13], v[98:99], v[108:109], v[12:13] op_sel_hi:[0,1,1]
	v_mov_b32_e32 v109, v9
	v_pk_fma_f32 v[8:9], v[80:81], v[106:107], v[12:13] op_sel_hi:[0,1,1]
	v_mov_b32_e32 v106, v5
	v_pk_fma_f32 v[8:9], v[80:81], v[108:109], v[8:9] op_sel:[1,0,0]
	v_mov_b32_e32 v109, v5
	v_pk_fma_f32 v[4:5], v[82:83], v[106:107], v[8:9] op_sel_hi:[0,1,1]
	v_mov_b32_e32 v106, v18
	v_pk_fma_f32 v[4:5], v[60:61], v[108:109], v[4:5] op_sel_hi:[0,1,1]
	v_pk_fma_f32 v[8:9], v[84:85], v[106:107], v[24:25] op_sel_hi:[0,1,1]
	v_mov_b32_e32 v109, v18
	v_mov_b32_e32 v106, v14
	v_pk_fma_f32 v[8:9], v[84:85], v[108:109], v[8:9] op_sel:[1,0,0]
	v_mov_b32_e32 v109, v14
	v_pk_fma_f32 v[8:9], v[86:87], v[106:107], v[8:9] op_sel_hi:[0,1,1]
	v_mov_b32_e32 v106, v10
	v_pk_fma_f32 v[8:9], v[98:99], v[108:109], v[8:9] op_sel_hi:[0,1,1]
	v_mov_b32_e32 v109, v10
	v_pk_fma_f32 v[8:9], v[80:81], v[106:107], v[8:9] op_sel_hi:[0,1,1]
	v_mov_b32_e32 v106, v6
	v_pk_fma_f32 v[8:9], v[80:81], v[108:109], v[8:9] op_sel:[1,0,0]
	;; [unrolled: 16-line block ×3, first 2 shown]
	v_mov_b32_e32 v109, v7
	v_pk_fma_f32 v[6:7], v[82:83], v[106:107], v[10:11] op_sel_hi:[0,1,1]
	v_mov_b32_e32 v106, v40
	v_pk_fma_f32 v[6:7], v[60:61], v[108:109], v[6:7] op_sel_hi:[0,1,1]
	s_waitcnt vmcnt(3)
	v_pk_fma_f32 v[10:11], v[76:77], v[106:107], v[100:101] op_sel_hi:[0,1,1]
	v_mov_b32_e32 v109, v40
	v_mov_b32_e32 v106, v36
	v_pk_fma_f32 v[10:11], v[76:77], v[108:109], v[10:11] op_sel:[1,0,0]
	v_mov_b32_e32 v26, v79
	v_mov_b32_e32 v109, v36
	v_pk_fma_f32 v[10:11], v[78:79], v[106:107], v[10:11] op_sel_hi:[0,1,1]
	v_mov_b32_e32 v106, v32
	v_pk_fma_f32 v[10:11], v[26:27], v[108:109], v[10:11] op_sel_hi:[0,1,1]
	v_mov_b32_e32 v109, v32
	s_waitcnt vmcnt(2)
	v_pk_fma_f32 v[10:11], v[72:73], v[106:107], v[10:11] op_sel_hi:[0,1,1]
	v_mov_b32_e32 v106, v28
	v_pk_fma_f32 v[10:11], v[72:73], v[108:109], v[10:11] op_sel:[1,0,0]
	v_mov_b32_e32 v22, v75
	v_mov_b32_e32 v109, v28
	v_pk_fma_f32 v[10:11], v[74:75], v[106:107], v[10:11] op_sel_hi:[0,1,1]
	v_mov_b32_e32 v106, v41
	v_pk_fma_f32 v[10:11], v[22:23], v[108:109], v[10:11] op_sel_hi:[0,1,1]
	v_pk_fma_f32 v[4:5], v[76:77], v[106:107], v[4:5] op_sel_hi:[0,1,1]
	v_mov_b32_e32 v109, v41
	v_mov_b32_e32 v106, v37
	v_pk_fma_f32 v[4:5], v[76:77], v[108:109], v[4:5] op_sel:[1,0,0]
	v_mov_b32_e32 v109, v37
	v_pk_fma_f32 v[4:5], v[78:79], v[106:107], v[4:5] op_sel_hi:[0,1,1]
	v_mov_b32_e32 v106, v33
	v_pk_fma_f32 v[4:5], v[26:27], v[108:109], v[4:5] op_sel_hi:[0,1,1]
	v_mov_b32_e32 v109, v33
	v_pk_fma_f32 v[4:5], v[72:73], v[106:107], v[4:5] op_sel_hi:[0,1,1]
	v_mov_b32_e32 v106, v29
	v_pk_fma_f32 v[4:5], v[72:73], v[108:109], v[4:5] op_sel:[1,0,0]
	v_mov_b32_e32 v109, v29
	v_pk_fma_f32 v[4:5], v[74:75], v[106:107], v[4:5] op_sel_hi:[0,1,1]
	v_mov_b32_e32 v106, v42
	v_pk_fma_f32 v[4:5], v[22:23], v[108:109], v[4:5] op_sel_hi:[0,1,1]
	v_pk_fma_f32 v[8:9], v[76:77], v[106:107], v[8:9] op_sel_hi:[0,1,1]
	v_mov_b32_e32 v109, v42
	v_mov_b32_e32 v106, v38
	v_pk_fma_f32 v[8:9], v[76:77], v[108:109], v[8:9] op_sel:[1,0,0]
	v_mov_b32_e32 v109, v38
	v_pk_fma_f32 v[8:9], v[78:79], v[106:107], v[8:9] op_sel_hi:[0,1,1]
	v_mov_b32_e32 v106, v34
	v_pk_fma_f32 v[8:9], v[26:27], v[108:109], v[8:9] op_sel_hi:[0,1,1]
	v_mov_b32_e32 v109, v34
	v_pk_fma_f32 v[8:9], v[72:73], v[106:107], v[8:9] op_sel_hi:[0,1,1]
	v_mov_b32_e32 v106, v30
	v_pk_fma_f32 v[8:9], v[72:73], v[108:109], v[8:9] op_sel:[1,0,0]
	;; [unrolled: 16-line block ×3, first 2 shown]
	v_mov_b32_e32 v109, v31
	v_pk_fma_f32 v[6:7], v[74:75], v[106:107], v[6:7] op_sel_hi:[0,1,1]
	v_mov_b32_e32 v106, v56
	v_pk_fma_f32 v[6:7], v[22:23], v[108:109], v[6:7] op_sel_hi:[0,1,1]
	s_waitcnt vmcnt(1)
	v_pk_fma_f32 v[10:11], v[68:69], v[106:107], v[10:11] op_sel_hi:[0,1,1]
	v_mov_b32_e32 v109, v56
	v_mov_b32_e32 v106, v52
	v_pk_fma_f32 v[10:11], v[68:69], v[108:109], v[10:11] op_sel:[1,0,0]
	v_mov_b32_e32 v0, v71
	v_mov_b32_e32 v109, v52
	v_pk_fma_f32 v[10:11], v[70:71], v[106:107], v[10:11] op_sel_hi:[0,1,1]
	v_mov_b32_e32 v106, v48
	v_pk_fma_f32 v[10:11], v[0:1], v[108:109], v[10:11] op_sel_hi:[0,1,1]
	v_mov_b32_e32 v109, v48
	s_waitcnt vmcnt(0)
	v_pk_fma_f32 v[10:11], v[64:65], v[106:107], v[10:11] op_sel_hi:[0,1,1]
	v_mov_b32_e32 v106, v44
	v_pk_fma_f32 v[10:11], v[64:65], v[108:109], v[10:11] op_sel:[1,0,0]
	v_mov_b32_e32 v2, v67
	v_mov_b32_e32 v109, v44
	v_pk_fma_f32 v[10:11], v[66:67], v[106:107], v[10:11] op_sel_hi:[0,1,1]
	v_mov_b32_e32 v106, v57
	v_pk_fma_f32 v[98:99], v[2:3], v[108:109], v[10:11] op_sel_hi:[0,1,1]
	v_pk_fma_f32 v[4:5], v[68:69], v[106:107], v[4:5] op_sel_hi:[0,1,1]
	v_mov_b32_e32 v109, v57
	v_mov_b32_e32 v106, v53
	v_pk_fma_f32 v[4:5], v[68:69], v[108:109], v[4:5] op_sel:[1,0,0]
	v_mov_b32_e32 v109, v53
	v_pk_fma_f32 v[4:5], v[70:71], v[106:107], v[4:5] op_sel_hi:[0,1,1]
	v_mov_b32_e32 v106, v49
	v_pk_fma_f32 v[4:5], v[0:1], v[108:109], v[4:5] op_sel_hi:[0,1,1]
	v_mov_b32_e32 v109, v49
	v_pk_fma_f32 v[4:5], v[64:65], v[106:107], v[4:5] op_sel_hi:[0,1,1]
	v_mov_b32_e32 v106, v45
	v_pk_fma_f32 v[4:5], v[64:65], v[108:109], v[4:5] op_sel:[1,0,0]
	v_mov_b32_e32 v109, v45
	v_pk_fma_f32 v[4:5], v[66:67], v[106:107], v[4:5] op_sel_hi:[0,1,1]
	v_mov_b32_e32 v106, v58
	v_pk_fma_f32 v[104:105], v[2:3], v[108:109], v[4:5] op_sel_hi:[0,1,1]
	v_pk_fma_f32 v[4:5], v[68:69], v[106:107], v[8:9] op_sel_hi:[0,1,1]
	v_mov_b32_e32 v109, v58
	v_mov_b32_e32 v106, v54
	v_pk_fma_f32 v[4:5], v[68:69], v[108:109], v[4:5] op_sel:[1,0,0]
	v_mov_b32_e32 v109, v54
	v_pk_fma_f32 v[4:5], v[70:71], v[106:107], v[4:5] op_sel_hi:[0,1,1]
	v_mov_b32_e32 v106, v50
	v_pk_fma_f32 v[4:5], v[0:1], v[108:109], v[4:5] op_sel_hi:[0,1,1]
	v_mov_b32_e32 v109, v50
	v_pk_fma_f32 v[4:5], v[64:65], v[106:107], v[4:5] op_sel_hi:[0,1,1]
	v_mov_b32_e32 v106, v46
	v_pk_fma_f32 v[4:5], v[64:65], v[108:109], v[4:5] op_sel:[1,0,0]
	v_mov_b32_e32 v109, v46
	v_pk_fma_f32 v[4:5], v[66:67], v[106:107], v[4:5] op_sel_hi:[0,1,1]
	v_mov_b32_e32 v106, v59
	v_pk_fma_f32 v[102:103], v[2:3], v[108:109], v[4:5] op_sel_hi:[0,1,1]
	v_pk_fma_f32 v[4:5], v[68:69], v[106:107], v[6:7] op_sel_hi:[0,1,1]
	v_mov_b32_e32 v109, v59
	v_mov_b32_e32 v106, v55
	v_pk_fma_f32 v[4:5], v[68:69], v[108:109], v[4:5] op_sel:[1,0,0]
	v_mov_b32_e32 v109, v55
	v_pk_fma_f32 v[4:5], v[70:71], v[106:107], v[4:5] op_sel_hi:[0,1,1]
	v_mov_b32_e32 v106, v51
	v_pk_fma_f32 v[0:1], v[0:1], v[108:109], v[4:5] op_sel_hi:[0,1,1]
	v_mov_b32_e32 v109, v51
	v_pk_fma_f32 v[0:1], v[64:65], v[106:107], v[0:1] op_sel_hi:[0,1,1]
	v_mov_b32_e32 v106, v47
	v_pk_fma_f32 v[0:1], v[64:65], v[108:109], v[0:1] op_sel:[1,0,0]
	v_mov_b32_e32 v109, v47
	v_pk_fma_f32 v[0:1], v[66:67], v[106:107], v[0:1] op_sel_hi:[0,1,1]
	v_pk_fma_f32 v[100:101], v[2:3], v[108:109], v[0:1] op_sel_hi:[0,1,1]
	s_andn2_b64 exec, exec, s[10:11]
	s_cbranch_execnz .LBB120_39
; %bb.40:
	s_or_b64 exec, exec, s[10:11]
.LBB120_41:
	s_or_b64 exec, exec, s[0:1]
.LBB120_42:
	s_or_b64 exec, exec, s[8:9]
.LBB120_43:
	v_mov_b32_dpp v6, v105 row_shr:1 row_mask:0xf bank_mask:0xf
	v_add_f32_e32 v7, v105, v6
	v_mov_b32_dpp v0, v98 row_shr:1 row_mask:0xf bank_mask:0xf
	v_mov_b32_dpp v6, v102 row_shr:1 row_mask:0xf bank_mask:0xf
	v_add_f32_e32 v10, v102, v6
	v_mov_b32_dpp v2, v99 row_shr:1 row_mask:0xf bank_mask:0xf
	;; [unrolled: 3-line block ×3, first 2 shown]
	v_mov_b32_dpp v6, v100 row_shr:1 row_mask:0xf bank_mask:0xf
	v_add_f32_e32 v16, v100, v6
	v_add_f32_e32 v0, v98, v0
	v_mov_b32_dpp v6, v101 row_shr:1 row_mask:0xf bank_mask:0xf
	v_add_f32_e32 v2, v99, v2
	v_add_f32_e32 v4, v104, v4
	;; [unrolled: 1-line block ×3, first 2 shown]
	v_mov_b32_dpp v1, v0 row_shr:2 row_mask:0xf bank_mask:0xf
	v_mov_b32_dpp v3, v2 row_shr:2 row_mask:0xf bank_mask:0xf
	;; [unrolled: 1-line block ×8, first 2 shown]
	v_cmp_eq_u32_e32 vcc, 3, v93
	s_and_b64 exec, exec, vcc
	s_cbranch_execz .LBB120_14
; %bb.44:
	s_load_dwordx2 s[2:3], s[4:5], 0x50
	v_add_f32_e32 v8, v0, v1
	v_and_b32_e32 v1, 0x7fffffff, v90
	v_cmp_eq_u32_e32 vcc, 0, v1
	v_cmp_eq_f32_e64 s[0:1], 0, v91
	v_add_f32_e32 v14, v2, v3
	v_add_f32_e32 v6, v4, v5
	;; [unrolled: 1-line block ×7, first 2 shown]
	s_and_b64 s[0:1], vcc, s[0:1]
	v_lshlrev_b32_e32 v16, 2, v92
	s_and_saveexec_b64 s[4:5], s[0:1]
	s_xor_b64 s[0:1], exec, s[4:5]
	s_cbranch_execz .LBB120_46
; %bb.45:
	v_xor_b32_e32 v18, 0x80000000, v89
	v_ashrrev_i32_e32 v17, 31, v16
	v_mov_b32_e32 v19, v88
	v_lshlrev_b64 v[16:17], 3, v[16:17]
	v_pk_mul_f32 v[14:15], v[14:15], v[18:19] op_sel_hi:[0,1]
	s_waitcnt lgkmcnt(0)
	v_mov_b32_e32 v1, s3
	v_add_co_u32_e32 v20, vcc, s2, v16
	v_pk_fma_f32 v[14:15], v[88:89], v[8:9], v[14:15] op_sel_hi:[1,0,1]
	v_pk_mul_f32 v[8:9], v[12:13], v[18:19] op_sel_hi:[0,1]
	v_addc_co_u32_e32 v21, vcc, v1, v17, vcc
	v_pk_fma_f32 v[16:17], v[88:89], v[6:7], v[8:9] op_sel_hi:[1,0,1]
	v_pk_mul_f32 v[6:7], v[10:11], v[18:19] op_sel_hi:[0,1]
	v_pk_mul_f32 v[4:5], v[4:5], v[18:19] op_sel_hi:[0,1]
	v_pk_fma_f32 v[2:3], v[88:89], v[2:3], v[6:7] op_sel_hi:[1,0,1]
	v_pk_fma_f32 v[4:5], v[88:89], v[0:1], v[4:5] op_sel_hi:[1,0,1]
	global_store_dwordx4 v[20:21], v[14:17], off
	global_store_dwordx4 v[20:21], v[2:5], off offset:16
                                        ; implicit-def: $vgpr89
                                        ; implicit-def: $vgpr90
                                        ; implicit-def: $vgpr8
                                        ; implicit-def: $vgpr14
                                        ; implicit-def: $vgpr6
                                        ; implicit-def: $vgpr12
                                        ; implicit-def: $vgpr2
                                        ; implicit-def: $vgpr10
                                        ; implicit-def: $vgpr0
                                        ; implicit-def: $vgpr4
                                        ; implicit-def: $vgpr16
.LBB120_46:
	s_andn2_saveexec_b64 s[0:1], s[0:1]
	s_cbranch_execz .LBB120_14
; %bb.47:
	v_ashrrev_i32_e32 v17, 31, v16
	v_lshlrev_b64 v[16:17], 3, v[16:17]
	s_waitcnt lgkmcnt(0)
	v_mov_b32_e32 v1, s3
	v_add_co_u32_e32 v24, vcc, s2, v16
	v_addc_co_u32_e32 v25, vcc, v1, v17, vcc
	global_load_dwordx4 v[16:19], v[24:25], off
	global_load_dwordx4 v[20:23], v[24:25], off offset:16
	v_xor_b32_e32 v26, 0x80000000, v89
	v_mov_b32_e32 v27, v88
	v_pk_mul_f32 v[14:15], v[14:15], v[26:27] op_sel_hi:[0,1]
	v_pk_mul_f32 v[12:13], v[12:13], v[26:27] op_sel_hi:[0,1]
	;; [unrolled: 1-line block ×4, first 2 shown]
	v_pk_fma_f32 v[8:9], v[88:89], v[8:9], v[14:15] op_sel_hi:[1,0,1]
	v_pk_fma_f32 v[6:7], v[88:89], v[6:7], v[12:13] op_sel_hi:[1,0,1]
	v_xor_b32_e32 v28, 0x80000000, v91
	v_mov_b32_e32 v29, v90
	v_pk_fma_f32 v[2:3], v[88:89], v[2:3], v[10:11] op_sel_hi:[1,0,1]
	v_pk_fma_f32 v[0:1], v[88:89], v[0:1], v[4:5] op_sel_hi:[1,0,1]
	s_waitcnt vmcnt(1)
	v_pk_fma_f32 v[4:5], v[90:91], v[16:17], v[8:9] op_sel_hi:[1,0,1]
	v_pk_fma_f32 v[6:7], v[90:91], v[18:19], v[6:7] op_sel_hi:[1,0,1]
	v_mov_b32_e32 v8, v19
	s_waitcnt vmcnt(0)
	v_pk_fma_f32 v[10:11], v[90:91], v[20:21], v[2:3] op_sel_hi:[1,0,1]
	v_pk_fma_f32 v[12:13], v[90:91], v[22:23], v[0:1] op_sel_hi:[1,0,1]
	v_mov_b32_e32 v14, v23
	v_pk_fma_f32 v[0:1], v[28:29], v[16:17], v[4:5] op_sel:[0,1,0]
	v_pk_fma_f32 v[2:3], v[28:29], v[8:9], v[6:7] op_sel_hi:[1,0,1]
	v_pk_fma_f32 v[4:5], v[28:29], v[20:21], v[10:11] op_sel:[0,1,0]
	v_pk_fma_f32 v[6:7], v[28:29], v[14:15], v[12:13] op_sel_hi:[1,0,1]
	global_store_dwordx4 v[24:25], v[0:3], off
	global_store_dwordx4 v[24:25], v[4:7], off offset:16
	s_endpgm
	.section	.rodata,"a",@progbits
	.p2align	6, 0x0
	.amdhsa_kernel _ZN9rocsparseL18bsrxmvn_4x4_kernelILj128ELj4E21rocsparse_complex_numIfEiifS2_S2_EEvT3_20rocsparse_direction_NS_24const_host_device_scalarIT1_EES3_PKS3_PKT2_SC_S9_PKT4_PKT5_S7_PT6_21rocsparse_index_base_b
		.amdhsa_group_segment_fixed_size 0
		.amdhsa_private_segment_fixed_size 0
		.amdhsa_kernarg_size 96
		.amdhsa_user_sgpr_count 6
		.amdhsa_user_sgpr_private_segment_buffer 1
		.amdhsa_user_sgpr_dispatch_ptr 0
		.amdhsa_user_sgpr_queue_ptr 0
		.amdhsa_user_sgpr_kernarg_segment_ptr 1
		.amdhsa_user_sgpr_dispatch_id 0
		.amdhsa_user_sgpr_flat_scratch_init 0
		.amdhsa_user_sgpr_kernarg_preload_length 0
		.amdhsa_user_sgpr_kernarg_preload_offset 0
		.amdhsa_user_sgpr_private_segment_size 0
		.amdhsa_uses_dynamic_stack 0
		.amdhsa_system_sgpr_private_segment_wavefront_offset 0
		.amdhsa_system_sgpr_workgroup_id_x 1
		.amdhsa_system_sgpr_workgroup_id_y 0
		.amdhsa_system_sgpr_workgroup_id_z 0
		.amdhsa_system_sgpr_workgroup_info 0
		.amdhsa_system_vgpr_workitem_id 0
		.amdhsa_next_free_vgpr 130
		.amdhsa_next_free_sgpr 16
		.amdhsa_accum_offset 132
		.amdhsa_reserve_vcc 1
		.amdhsa_reserve_flat_scratch 0
		.amdhsa_float_round_mode_32 0
		.amdhsa_float_round_mode_16_64 0
		.amdhsa_float_denorm_mode_32 3
		.amdhsa_float_denorm_mode_16_64 3
		.amdhsa_dx10_clamp 1
		.amdhsa_ieee_mode 1
		.amdhsa_fp16_overflow 0
		.amdhsa_tg_split 0
		.amdhsa_exception_fp_ieee_invalid_op 0
		.amdhsa_exception_fp_denorm_src 0
		.amdhsa_exception_fp_ieee_div_zero 0
		.amdhsa_exception_fp_ieee_overflow 0
		.amdhsa_exception_fp_ieee_underflow 0
		.amdhsa_exception_fp_ieee_inexact 0
		.amdhsa_exception_int_div_zero 0
	.end_amdhsa_kernel
	.section	.text._ZN9rocsparseL18bsrxmvn_4x4_kernelILj128ELj4E21rocsparse_complex_numIfEiifS2_S2_EEvT3_20rocsparse_direction_NS_24const_host_device_scalarIT1_EES3_PKS3_PKT2_SC_S9_PKT4_PKT5_S7_PT6_21rocsparse_index_base_b,"axG",@progbits,_ZN9rocsparseL18bsrxmvn_4x4_kernelILj128ELj4E21rocsparse_complex_numIfEiifS2_S2_EEvT3_20rocsparse_direction_NS_24const_host_device_scalarIT1_EES3_PKS3_PKT2_SC_S9_PKT4_PKT5_S7_PT6_21rocsparse_index_base_b,comdat
.Lfunc_end120:
	.size	_ZN9rocsparseL18bsrxmvn_4x4_kernelILj128ELj4E21rocsparse_complex_numIfEiifS2_S2_EEvT3_20rocsparse_direction_NS_24const_host_device_scalarIT1_EES3_PKS3_PKT2_SC_S9_PKT4_PKT5_S7_PT6_21rocsparse_index_base_b, .Lfunc_end120-_ZN9rocsparseL18bsrxmvn_4x4_kernelILj128ELj4E21rocsparse_complex_numIfEiifS2_S2_EEvT3_20rocsparse_direction_NS_24const_host_device_scalarIT1_EES3_PKS3_PKT2_SC_S9_PKT4_PKT5_S7_PT6_21rocsparse_index_base_b
                                        ; -- End function
	.section	.AMDGPU.csdata,"",@progbits
; Kernel info:
; codeLenInByte = 6852
; NumSgprs: 20
; NumVgprs: 130
; NumAgprs: 0
; TotalNumVgprs: 130
; ScratchSize: 0
; MemoryBound: 0
; FloatMode: 240
; IeeeMode: 1
; LDSByteSize: 0 bytes/workgroup (compile time only)
; SGPRBlocks: 2
; VGPRBlocks: 16
; NumSGPRsForWavesPerEU: 20
; NumVGPRsForWavesPerEU: 130
; AccumOffset: 132
; Occupancy: 3
; WaveLimiterHint : 1
; COMPUTE_PGM_RSRC2:SCRATCH_EN: 0
; COMPUTE_PGM_RSRC2:USER_SGPR: 6
; COMPUTE_PGM_RSRC2:TRAP_HANDLER: 0
; COMPUTE_PGM_RSRC2:TGID_X_EN: 1
; COMPUTE_PGM_RSRC2:TGID_Y_EN: 0
; COMPUTE_PGM_RSRC2:TGID_Z_EN: 0
; COMPUTE_PGM_RSRC2:TIDIG_COMP_CNT: 0
; COMPUTE_PGM_RSRC3_GFX90A:ACCUM_OFFSET: 32
; COMPUTE_PGM_RSRC3_GFX90A:TG_SPLIT: 0
	.section	.text._ZN9rocsparseL18bsrxmvn_4x4_kernelILj128ELj8E21rocsparse_complex_numIfEiifS2_S2_EEvT3_20rocsparse_direction_NS_24const_host_device_scalarIT1_EES3_PKS3_PKT2_SC_S9_PKT4_PKT5_S7_PT6_21rocsparse_index_base_b,"axG",@progbits,_ZN9rocsparseL18bsrxmvn_4x4_kernelILj128ELj8E21rocsparse_complex_numIfEiifS2_S2_EEvT3_20rocsparse_direction_NS_24const_host_device_scalarIT1_EES3_PKS3_PKT2_SC_S9_PKT4_PKT5_S7_PT6_21rocsparse_index_base_b,comdat
	.globl	_ZN9rocsparseL18bsrxmvn_4x4_kernelILj128ELj8E21rocsparse_complex_numIfEiifS2_S2_EEvT3_20rocsparse_direction_NS_24const_host_device_scalarIT1_EES3_PKS3_PKT2_SC_S9_PKT4_PKT5_S7_PT6_21rocsparse_index_base_b ; -- Begin function _ZN9rocsparseL18bsrxmvn_4x4_kernelILj128ELj8E21rocsparse_complex_numIfEiifS2_S2_EEvT3_20rocsparse_direction_NS_24const_host_device_scalarIT1_EES3_PKS3_PKT2_SC_S9_PKT4_PKT5_S7_PT6_21rocsparse_index_base_b
	.p2align	8
	.type	_ZN9rocsparseL18bsrxmvn_4x4_kernelILj128ELj8E21rocsparse_complex_numIfEiifS2_S2_EEvT3_20rocsparse_direction_NS_24const_host_device_scalarIT1_EES3_PKS3_PKT2_SC_S9_PKT4_PKT5_S7_PT6_21rocsparse_index_base_b,@function
_ZN9rocsparseL18bsrxmvn_4x4_kernelILj128ELj8E21rocsparse_complex_numIfEiifS2_S2_EEvT3_20rocsparse_direction_NS_24const_host_device_scalarIT1_EES3_PKS3_PKT2_SC_S9_PKT4_PKT5_S7_PT6_21rocsparse_index_base_b: ; @_ZN9rocsparseL18bsrxmvn_4x4_kernelILj128ELj8E21rocsparse_complex_numIfEiifS2_S2_EEvT3_20rocsparse_direction_NS_24const_host_device_scalarIT1_EES3_PKS3_PKT2_SC_S9_PKT4_PKT5_S7_PT6_21rocsparse_index_base_b
; %bb.0:
	s_load_dwordx2 s[2:3], s[4:5], 0x58
	s_load_dwordx2 s[10:11], s[4:5], 0x8
	;; [unrolled: 1-line block ×3, first 2 shown]
	s_waitcnt lgkmcnt(0)
	s_bitcmp1_b32 s3, 0
	s_cselect_b64 s[0:1], -1, 0
	s_xor_b64 s[12:13], s[0:1], -1
	s_and_b64 vcc, exec, s[0:1]
	v_mov_b32_e32 v88, s10
	s_cbranch_vccnz .LBB121_2
; %bb.1:
	v_pk_mov_b32 v[2:3], s[10:11], s[10:11] op_sel:[0,1]
	flat_load_dword v88, v[2:3]
.LBB121_2:
	v_cndmask_b32_e64 v1, 0, 1, s[12:13]
	v_cmp_ne_u32_e64 s[0:1], 1, v1
	s_andn2_b64 vcc, exec, s[12:13]
	v_mov_b32_e32 v89, s11
	s_cbranch_vccz .LBB121_15
; %bb.3:
	s_and_b64 vcc, exec, s[0:1]
	v_mov_b32_e32 v90, s8
	s_cbranch_vccz .LBB121_16
.LBB121_4:
	s_and_b64 vcc, exec, s[0:1]
	v_mov_b32_e32 v91, s9
	s_cbranch_vccnz .LBB121_6
.LBB121_5:
	v_pk_mov_b32 v[2:3], s[8:9], s[8:9] op_sel:[0,1]
	flat_load_dword v91, v[2:3] offset:4
.LBB121_6:
	s_waitcnt vmcnt(0) lgkmcnt(0)
	v_and_b32_e32 v1, 0x7fffffff, v88
	v_cmp_eq_u32_e32 vcc, 0, v1
	v_cmp_eq_f32_e64 s[0:1], 0, v89
	s_and_b64 s[10:11], vcc, s[0:1]
	s_mov_b64 s[0:1], -1
	s_and_saveexec_b64 s[8:9], s[10:11]
; %bb.7:
	v_and_b32_e32 v1, 0x7fffffff, v91
	v_cmp_neq_f32_e32 vcc, 1.0, v90
	v_cmp_ne_u32_e64 s[0:1], 0, v1
	s_or_b64 s[0:1], vcc, s[0:1]
	s_orn2_b64 s[0:1], s[0:1], exec
; %bb.8:
	s_or_b64 exec, exec, s[8:9]
	s_and_saveexec_b64 s[8:9], s[0:1]
	s_cbranch_execz .LBB121_14
; %bb.9:
	s_load_dwordx2 s[8:9], s[4:5], 0x18
	s_load_dwordx2 s[0:1], s[4:5], 0x0
	v_lshrrev_b32_e32 v1, 3, v0
	v_lshl_or_b32 v92, s6, 4, v1
	s_mov_b64 s[6:7], 0
	s_waitcnt lgkmcnt(0)
	s_cmp_lg_u64 s[8:9], 0
	s_cbranch_scc0 .LBB121_17
; %bb.10:
	s_load_dword s3, s[4:5], 0x10
                                        ; implicit-def: $vgpr1
	s_waitcnt lgkmcnt(0)
	v_cmp_gt_i32_e32 vcc, s3, v92
	s_and_saveexec_b64 s[10:11], vcc
	s_xor_b64 s[10:11], exec, s[10:11]
	s_cbranch_execz .LBB121_12
; %bb.11:
	v_ashrrev_i32_e32 v93, 31, v92
	v_lshlrev_b64 v[2:3], 2, v[92:93]
	v_mov_b32_e32 v1, s9
	v_add_co_u32_e32 v2, vcc, s8, v2
	v_addc_co_u32_e32 v3, vcc, v1, v3, vcc
	global_load_dword v1, v[2:3], off
	s_mov_b64 s[6:7], exec
	s_waitcnt vmcnt(0)
	v_subrev_u32_e32 v1, s2, v1
.LBB121_12:
	s_or_b64 exec, exec, s[10:11]
	s_branch .LBB121_18
.LBB121_13:
	v_cmp_gt_i32_e32 vcc, s0, v92
	s_andn2_b64 s[6:7], s[6:7], exec
	s_and_b64 s[8:9], vcc, exec
	s_or_b64 s[6:7], s[6:7], s[8:9]
	s_and_b64 exec, exec, s[6:7]
	s_cbranch_execnz .LBB121_19
.LBB121_14:
	s_endpgm
.LBB121_15:
	v_pk_mov_b32 v[2:3], s[10:11], s[10:11] op_sel:[0,1]
	flat_load_dword v89, v[2:3] offset:4
	s_and_b64 vcc, exec, s[0:1]
	v_mov_b32_e32 v90, s8
	s_cbranch_vccnz .LBB121_4
.LBB121_16:
	v_pk_mov_b32 v[2:3], s[8:9], s[8:9] op_sel:[0,1]
	flat_load_dword v90, v[2:3]
	s_and_b64 vcc, exec, s[0:1]
	v_mov_b32_e32 v91, s9
	s_cbranch_vccz .LBB121_5
	s_branch .LBB121_6
.LBB121_17:
                                        ; implicit-def: $vgpr1
	s_cbranch_execnz .LBB121_13
.LBB121_18:
	v_mov_b32_e32 v92, v1
	s_and_b64 exec, exec, s[6:7]
	s_cbranch_execz .LBB121_14
.LBB121_19:
	s_load_dwordx8 s[8:15], s[4:5], 0x20
	v_ashrrev_i32_e32 v93, 31, v92
	v_lshlrev_b64 v[2:3], 2, v[92:93]
	v_and_b32_e32 v93, 7, v0
	s_load_dwordx2 s[6:7], s[4:5], 0x40
	s_waitcnt lgkmcnt(0)
	v_mov_b32_e32 v1, s9
	v_add_co_u32_e32 v4, vcc, s8, v2
	v_addc_co_u32_e32 v5, vcc, v1, v3, vcc
	v_add_co_u32_e32 v1, vcc, 4, v4
	global_load_dword v10, v[4:5], off
	v_addc_co_u32_e32 v4, vcc, 0, v5, vcc
	v_mov_b32_e32 v5, s11
	v_add_co_u32_e32 v2, vcc, s10, v2
	s_cmp_eq_u64 s[10:11], 0
	v_addc_co_u32_e32 v3, vcc, v5, v3, vcc
	s_cselect_b64 vcc, -1, 0
	v_cndmask_b32_e32 v3, v3, v4, vcc
	v_cndmask_b32_e32 v2, v2, v1, vcc
	global_load_dword v1, v[2:3], off
	v_mov_b32_e32 v2, s15
	s_cmp_eq_u32 s1, 1
	s_waitcnt vmcnt(1)
	v_subrev_u32_e32 v0, s2, v10
	v_add_u32_e32 v94, v0, v93
	v_ashrrev_i32_e32 v95, 31, v94
	s_waitcnt vmcnt(0)
	v_subrev_u32_e32 v111, s2, v1
	v_lshlrev_b64 v[0:1], 6, v[94:95]
	v_add_co_u32_e32 v96, vcc, s14, v0
	v_addc_co_u32_e32 v97, vcc, v2, v1, vcc
	v_cmp_lt_i32_e64 s[0:1], v94, v111
	s_cbranch_scc1 .LBB121_31
; %bb.20:
	s_mov_b32 s10, 0
	v_mov_b32_e32 v101, 0
	v_mov_b32_e32 v100, 0
	;; [unrolled: 1-line block ×8, first 2 shown]
	s_and_saveexec_b64 s[8:9], s[0:1]
	s_cbranch_execz .LBB121_30
; %bb.21:
	v_add_u32_e32 v0, v10, v93
	v_subrev_u32_e32 v0, s2, v0
	v_add_u32_e32 v0, 8, v0
	v_max_i32_e32 v0, v0, v111
	v_not_b32_e32 v1, v10
	v_add3_u32 v0, v0, s2, v1
	v_sub_u32_e32 v8, v0, v93
	v_lshrrev_b32_e32 v0, 3, v8
	v_add_u32_e32 v0, 1, v0
	v_and_b32_e32 v1, 3, v0
	s_mov_b32 s11, s10
	v_cmp_ne_u32_e32 vcc, 0, v1
	v_pk_mov_b32 v[100:101], s[10:11], s[10:11] op_sel:[0,1]
	v_pk_mov_b32 v[104:105], s[10:11], s[10:11] op_sel:[0,1]
	;; [unrolled: 1-line block ×5, first 2 shown]
	v_mov_b32_e32 v0, v94
	s_and_saveexec_b64 s[10:11], vcc
	s_cbranch_execz .LBB121_25
; %bb.22:
	v_mov_b32_e32 v5, 0
	v_lshlrev_b32_e32 v9, 6, v1
	s_mov_b64 s[14:15], 0
	v_mov_b32_e32 v11, s13
	v_mov_b32_e32 v12, s7
	s_movk_i32 s3, 0x200
	v_bfrev_b32_e32 v6, 1
	v_mov_b32_e32 v0, v94
	v_pk_mov_b32 v[2:3], v[96:97], v[96:97] op_sel:[0,1]
	v_mov_b32_e32 v98, v5
	v_mov_b32_e32 v99, v5
	;; [unrolled: 1-line block ×8, first 2 shown]
.LBB121_23:                             ; =>This Inner Loop Header: Depth=1
	v_ashrrev_i32_e32 v1, 31, v0
	v_lshlrev_b64 v[14:15], 2, v[0:1]
	v_add_co_u32_e32 v22, vcc, s12, v14
	v_addc_co_u32_e32 v23, vcc, v11, v15, vcc
	global_load_dword v1, v[22:23], off
	global_load_dwordx4 v[14:17], v[2:3], off offset:16
	global_load_dwordx4 v[18:21], v[2:3], off
	v_subrev_u32_e32 v9, 64, v9
	v_add_u32_e32 v0, 8, v0
	s_waitcnt vmcnt(2)
	v_subrev_u32_e32 v1, s2, v1
	v_lshlrev_b32_e32 v22, 2, v1
	v_ashrrev_i32_e32 v23, 31, v22
	v_lshlrev_b64 v[22:23], 3, v[22:23]
	v_add_co_u32_e32 v38, vcc, s6, v22
	v_addc_co_u32_e32 v39, vcc, v12, v23, vcc
	global_load_dwordx4 v[22:25], v[38:39], off
	global_load_dwordx4 v[26:29], v[38:39], off offset:16
	global_load_dwordx4 v[30:33], v[2:3], off offset:32
	;; [unrolled: 1-line block ×3, first 2 shown]
	s_waitcnt vmcnt(4)
	v_mov_b32_e32 v4, v18
	v_mov_b32_e32 v7, v18
	v_add_co_u32_e32 v2, vcc, s3, v2
	v_addc_co_u32_e32 v3, vcc, 0, v3, vcc
	v_cmp_eq_u32_e32 vcc, 0, v9
	s_or_b64 s[14:15], vcc, s[14:15]
	s_waitcnt vmcnt(3)
	v_pk_fma_f32 v[38:39], v[22:23], v[4:5], v[100:101] op_sel_hi:[0,1,1]
	v_mov_b32_e32 v4, v19
	v_pk_fma_f32 v[38:39], v[22:23], v[6:7], v[38:39] op_sel:[1,0,0]
	v_mov_b32_e32 v18, v25
	v_mov_b32_e32 v7, v19
	v_pk_fma_f32 v[38:39], v[24:25], v[4:5], v[38:39] op_sel_hi:[0,1,1]
	v_mov_b32_e32 v4, v20
	v_pk_fma_f32 v[38:39], v[18:19], v[6:7], v[38:39] op_sel_hi:[0,1,1]
	v_mov_b32_e32 v7, v20
	s_waitcnt vmcnt(2)
	v_pk_fma_f32 v[38:39], v[26:27], v[4:5], v[38:39] op_sel_hi:[0,1,1]
	v_mov_b32_e32 v4, v21
	v_pk_fma_f32 v[38:39], v[26:27], v[6:7], v[38:39] op_sel:[1,0,0]
	v_mov_b32_e32 v40, v29
	v_mov_b32_e32 v7, v21
	v_pk_fma_f32 v[20:21], v[28:29], v[4:5], v[38:39] op_sel_hi:[0,1,1]
	v_mov_b32_e32 v4, v14
	v_pk_fma_f32 v[100:101], v[40:41], v[6:7], v[20:21] op_sel_hi:[0,1,1]
	v_pk_fma_f32 v[20:21], v[22:23], v[4:5], v[104:105] op_sel_hi:[0,1,1]
	v_mov_b32_e32 v7, v14
	v_mov_b32_e32 v4, v15
	v_pk_fma_f32 v[20:21], v[22:23], v[6:7], v[20:21] op_sel:[1,0,0]
	v_mov_b32_e32 v7, v15
	v_pk_fma_f32 v[14:15], v[24:25], v[4:5], v[20:21] op_sel_hi:[0,1,1]
	v_mov_b32_e32 v4, v16
	v_pk_fma_f32 v[14:15], v[18:19], v[6:7], v[14:15] op_sel_hi:[0,1,1]
	;; [unrolled: 2-line block ×3, first 2 shown]
	v_mov_b32_e32 v4, v17
	v_pk_fma_f32 v[14:15], v[26:27], v[6:7], v[14:15] op_sel:[1,0,0]
	v_mov_b32_e32 v7, v17
	v_pk_fma_f32 v[14:15], v[28:29], v[4:5], v[14:15] op_sel_hi:[0,1,1]
	s_waitcnt vmcnt(1)
	v_mov_b32_e32 v4, v30
	v_pk_fma_f32 v[104:105], v[40:41], v[6:7], v[14:15] op_sel_hi:[0,1,1]
	v_pk_fma_f32 v[14:15], v[22:23], v[4:5], v[102:103] op_sel_hi:[0,1,1]
	v_mov_b32_e32 v7, v30
	v_mov_b32_e32 v4, v31
	v_pk_fma_f32 v[14:15], v[22:23], v[6:7], v[14:15] op_sel:[1,0,0]
	v_mov_b32_e32 v7, v31
	v_pk_fma_f32 v[14:15], v[24:25], v[4:5], v[14:15] op_sel_hi:[0,1,1]
	v_mov_b32_e32 v4, v32
	v_pk_fma_f32 v[14:15], v[18:19], v[6:7], v[14:15] op_sel_hi:[0,1,1]
	;; [unrolled: 2-line block ×3, first 2 shown]
	v_mov_b32_e32 v4, v33
	v_pk_fma_f32 v[14:15], v[26:27], v[6:7], v[14:15] op_sel:[1,0,0]
	v_mov_b32_e32 v7, v33
	v_pk_fma_f32 v[14:15], v[28:29], v[4:5], v[14:15] op_sel_hi:[0,1,1]
	s_waitcnt vmcnt(0)
	v_mov_b32_e32 v4, v34
	v_pk_fma_f32 v[102:103], v[40:41], v[6:7], v[14:15] op_sel_hi:[0,1,1]
	v_pk_fma_f32 v[14:15], v[22:23], v[4:5], v[98:99] op_sel_hi:[0,1,1]
	v_mov_b32_e32 v7, v34
	v_mov_b32_e32 v4, v35
	v_pk_fma_f32 v[14:15], v[22:23], v[6:7], v[14:15] op_sel:[1,0,0]
	v_mov_b32_e32 v7, v35
	v_pk_fma_f32 v[14:15], v[24:25], v[4:5], v[14:15] op_sel_hi:[0,1,1]
	v_mov_b32_e32 v4, v36
	v_pk_fma_f32 v[14:15], v[18:19], v[6:7], v[14:15] op_sel_hi:[0,1,1]
	;; [unrolled: 2-line block ×3, first 2 shown]
	v_mov_b32_e32 v4, v37
	v_pk_fma_f32 v[14:15], v[26:27], v[6:7], v[14:15] op_sel:[1,0,0]
	v_mov_b32_e32 v7, v37
	v_pk_fma_f32 v[14:15], v[28:29], v[4:5], v[14:15] op_sel_hi:[0,1,1]
	v_pk_fma_f32 v[98:99], v[40:41], v[6:7], v[14:15] op_sel_hi:[0,1,1]
	s_andn2_b64 exec, exec, s[14:15]
	s_cbranch_execnz .LBB121_23
; %bb.24:
	s_or_b64 exec, exec, s[14:15]
.LBB121_25:
	s_or_b64 exec, exec, s[10:11]
	v_cmp_lt_u32_e32 vcc, 23, v8
	s_and_saveexec_b64 s[10:11], vcc
	s_cbranch_execz .LBB121_29
; %bb.26:
	s_mov_b64 s[14:15], 0
	v_mov_b32_e32 v11, s13
	v_mov_b32_e32 v12, s7
	;; [unrolled: 1-line block ×3, first 2 shown]
	v_bfrev_b32_e32 v6, 1
.LBB121_27:                             ; =>This Inner Loop Header: Depth=1
	v_ashrrev_i32_e32 v1, 31, v0
	v_lshlrev_b64 v[8:9], 2, v[0:1]
	v_add_co_u32_e32 v8, vcc, s12, v8
	v_addc_co_u32_e32 v9, vcc, v11, v9, vcc
	global_load_dword v1, v[8:9], off
	global_load_dwordx4 v[14:17], v[2:3], off offset:48
	global_load_dwordx4 v[18:21], v[2:3], off offset:32
	;; [unrolled: 1-line block ×3, first 2 shown]
	global_load_dwordx4 v[26:29], v[2:3], off
	v_add_u32_e32 v0, 32, v0
	s_waitcnt vmcnt(4)
	v_subrev_u32_e32 v1, s2, v1
	v_lshlrev_b32_e32 v30, 2, v1
	v_ashrrev_i32_e32 v31, 31, v30
	v_lshlrev_b64 v[30:31], 3, v[30:31]
	v_add_co_u32_e32 v38, vcc, s6, v30
	v_addc_co_u32_e32 v39, vcc, v12, v31, vcc
	global_load_dwordx4 v[30:33], v[38:39], off offset:16
	global_load_dwordx4 v[34:37], v[38:39], off
	global_load_dword v1, v[8:9], off offset:32
	s_waitcnt vmcnt(3)
	v_mov_b32_e32 v4, v26
	v_mov_b32_e32 v7, v26
	s_waitcnt vmcnt(1)
	v_pk_fma_f32 v[38:39], v[34:35], v[4:5], v[100:101] op_sel_hi:[0,1,1]
	v_pk_fma_f32 v[38:39], v[34:35], v[6:7], v[38:39] op_sel:[1,0,0]
	v_mov_b32_e32 v4, v27
	v_pk_fma_f32 v[38:39], v[36:37], v[4:5], v[38:39] op_sel_hi:[0,1,1]
	v_mov_b32_e32 v26, v37
	v_mov_b32_e32 v7, v27
	v_pk_fma_f32 v[38:39], v[26:27], v[6:7], v[38:39] op_sel_hi:[0,1,1]
	v_mov_b32_e32 v4, v28
	v_pk_fma_f32 v[38:39], v[30:31], v[4:5], v[38:39] op_sel_hi:[0,1,1]
	v_mov_b32_e32 v7, v28
	v_pk_fma_f32 v[38:39], v[30:31], v[6:7], v[38:39] op_sel:[1,0,0]
	v_mov_b32_e32 v4, v29
	v_pk_fma_f32 v[38:39], v[32:33], v[4:5], v[38:39] op_sel_hi:[0,1,1]
	v_mov_b32_e32 v28, v33
	v_mov_b32_e32 v7, v29
	;; [unrolled: 1-line block ×3, first 2 shown]
	v_pk_fma_f32 v[38:39], v[28:29], v[6:7], v[38:39] op_sel_hi:[0,1,1]
	v_pk_fma_f32 v[40:41], v[34:35], v[4:5], v[104:105] op_sel_hi:[0,1,1]
	v_mov_b32_e32 v7, v22
	v_pk_fma_f32 v[40:41], v[34:35], v[6:7], v[40:41] op_sel:[1,0,0]
	v_mov_b32_e32 v4, v23
	v_pk_fma_f32 v[40:41], v[36:37], v[4:5], v[40:41] op_sel_hi:[0,1,1]
	v_mov_b32_e32 v7, v23
	v_pk_fma_f32 v[22:23], v[26:27], v[6:7], v[40:41] op_sel_hi:[0,1,1]
	;; [unrolled: 2-line block ×3, first 2 shown]
	v_mov_b32_e32 v7, v24
	v_pk_fma_f32 v[22:23], v[30:31], v[6:7], v[22:23] op_sel:[1,0,0]
	v_mov_b32_e32 v4, v25
	v_pk_fma_f32 v[22:23], v[32:33], v[4:5], v[22:23] op_sel_hi:[0,1,1]
	v_mov_b32_e32 v7, v25
	v_mov_b32_e32 v4, v18
	v_pk_fma_f32 v[40:41], v[28:29], v[6:7], v[22:23] op_sel_hi:[0,1,1]
	v_pk_fma_f32 v[22:23], v[34:35], v[4:5], v[102:103] op_sel_hi:[0,1,1]
	v_mov_b32_e32 v7, v18
	v_pk_fma_f32 v[22:23], v[34:35], v[6:7], v[22:23] op_sel:[1,0,0]
	v_mov_b32_e32 v4, v19
	v_pk_fma_f32 v[22:23], v[36:37], v[4:5], v[22:23] op_sel_hi:[0,1,1]
	v_mov_b32_e32 v7, v19
	v_pk_fma_f32 v[18:19], v[26:27], v[6:7], v[22:23] op_sel_hi:[0,1,1]
	;; [unrolled: 2-line block ×3, first 2 shown]
	v_mov_b32_e32 v7, v20
	v_pk_fma_f32 v[18:19], v[30:31], v[6:7], v[18:19] op_sel:[1,0,0]
	v_mov_b32_e32 v4, v21
	v_pk_fma_f32 v[18:19], v[32:33], v[4:5], v[18:19] op_sel_hi:[0,1,1]
	v_mov_b32_e32 v7, v21
	v_mov_b32_e32 v4, v14
	v_pk_fma_f32 v[42:43], v[28:29], v[6:7], v[18:19] op_sel_hi:[0,1,1]
	v_pk_fma_f32 v[18:19], v[34:35], v[4:5], v[98:99] op_sel_hi:[0,1,1]
	v_mov_b32_e32 v7, v14
	v_pk_fma_f32 v[18:19], v[34:35], v[6:7], v[18:19] op_sel:[1,0,0]
	v_mov_b32_e32 v4, v15
	v_pk_fma_f32 v[18:19], v[36:37], v[4:5], v[18:19] op_sel_hi:[0,1,1]
	v_mov_b32_e32 v7, v15
	v_pk_fma_f32 v[14:15], v[26:27], v[6:7], v[18:19] op_sel_hi:[0,1,1]
	;; [unrolled: 2-line block ×3, first 2 shown]
	v_mov_b32_e32 v7, v16
	s_waitcnt vmcnt(0)
	v_subrev_u32_e32 v1, s2, v1
	v_pk_fma_f32 v[14:15], v[30:31], v[6:7], v[14:15] op_sel:[1,0,0]
	v_lshlrev_b32_e32 v30, 2, v1
	v_ashrrev_i32_e32 v31, 31, v30
	v_mov_b32_e32 v4, v17
	v_lshlrev_b64 v[30:31], 3, v[30:31]
	v_pk_fma_f32 v[14:15], v[32:33], v[4:5], v[14:15] op_sel_hi:[0,1,1]
	v_mov_b32_e32 v7, v17
	v_add_co_u32_e32 v46, vcc, s6, v30
	v_pk_fma_f32 v[44:45], v[28:29], v[6:7], v[14:15] op_sel_hi:[0,1,1]
	global_load_dwordx4 v[14:17], v[2:3], off offset:560
	global_load_dwordx4 v[18:21], v[2:3], off offset:544
	;; [unrolled: 1-line block ×4, first 2 shown]
	v_addc_co_u32_e32 v47, vcc, v12, v31, vcc
	global_load_dwordx4 v[30:33], v[46:47], off offset:16
	global_load_dwordx4 v[34:37], v[46:47], off
	global_load_dword v1, v[8:9], off offset:64
	s_waitcnt vmcnt(3)
	v_mov_b32_e32 v4, v26
	v_mov_b32_e32 v7, v26
	s_waitcnt vmcnt(1)
	v_pk_fma_f32 v[38:39], v[34:35], v[4:5], v[38:39] op_sel_hi:[0,1,1]
	v_pk_fma_f32 v[38:39], v[34:35], v[6:7], v[38:39] op_sel:[1,0,0]
	v_mov_b32_e32 v4, v27
	v_pk_fma_f32 v[38:39], v[36:37], v[4:5], v[38:39] op_sel_hi:[0,1,1]
	v_mov_b32_e32 v26, v37
	v_mov_b32_e32 v7, v27
	v_pk_fma_f32 v[38:39], v[26:27], v[6:7], v[38:39] op_sel_hi:[0,1,1]
	v_mov_b32_e32 v4, v28
	v_pk_fma_f32 v[38:39], v[30:31], v[4:5], v[38:39] op_sel_hi:[0,1,1]
	v_mov_b32_e32 v7, v28
	v_pk_fma_f32 v[38:39], v[30:31], v[6:7], v[38:39] op_sel:[1,0,0]
	v_mov_b32_e32 v4, v29
	v_pk_fma_f32 v[38:39], v[32:33], v[4:5], v[38:39] op_sel_hi:[0,1,1]
	v_mov_b32_e32 v28, v33
	v_mov_b32_e32 v7, v29
	;; [unrolled: 1-line block ×3, first 2 shown]
	v_pk_fma_f32 v[38:39], v[28:29], v[6:7], v[38:39] op_sel_hi:[0,1,1]
	v_pk_fma_f32 v[40:41], v[34:35], v[4:5], v[40:41] op_sel_hi:[0,1,1]
	v_mov_b32_e32 v7, v22
	v_pk_fma_f32 v[40:41], v[34:35], v[6:7], v[40:41] op_sel:[1,0,0]
	v_mov_b32_e32 v4, v23
	v_pk_fma_f32 v[40:41], v[36:37], v[4:5], v[40:41] op_sel_hi:[0,1,1]
	v_mov_b32_e32 v7, v23
	v_pk_fma_f32 v[22:23], v[26:27], v[6:7], v[40:41] op_sel_hi:[0,1,1]
	;; [unrolled: 2-line block ×3, first 2 shown]
	v_mov_b32_e32 v7, v24
	v_pk_fma_f32 v[22:23], v[30:31], v[6:7], v[22:23] op_sel:[1,0,0]
	v_mov_b32_e32 v4, v25
	v_pk_fma_f32 v[22:23], v[32:33], v[4:5], v[22:23] op_sel_hi:[0,1,1]
	v_mov_b32_e32 v7, v25
	v_mov_b32_e32 v4, v18
	v_pk_fma_f32 v[40:41], v[28:29], v[6:7], v[22:23] op_sel_hi:[0,1,1]
	v_pk_fma_f32 v[22:23], v[34:35], v[4:5], v[42:43] op_sel_hi:[0,1,1]
	v_mov_b32_e32 v7, v18
	v_pk_fma_f32 v[22:23], v[34:35], v[6:7], v[22:23] op_sel:[1,0,0]
	v_mov_b32_e32 v4, v19
	v_pk_fma_f32 v[22:23], v[36:37], v[4:5], v[22:23] op_sel_hi:[0,1,1]
	v_mov_b32_e32 v7, v19
	v_pk_fma_f32 v[18:19], v[26:27], v[6:7], v[22:23] op_sel_hi:[0,1,1]
	;; [unrolled: 2-line block ×3, first 2 shown]
	v_mov_b32_e32 v7, v20
	v_pk_fma_f32 v[18:19], v[30:31], v[6:7], v[18:19] op_sel:[1,0,0]
	v_mov_b32_e32 v4, v21
	v_pk_fma_f32 v[18:19], v[32:33], v[4:5], v[18:19] op_sel_hi:[0,1,1]
	v_mov_b32_e32 v7, v21
	v_mov_b32_e32 v4, v14
	v_pk_fma_f32 v[42:43], v[28:29], v[6:7], v[18:19] op_sel_hi:[0,1,1]
	v_pk_fma_f32 v[18:19], v[34:35], v[4:5], v[44:45] op_sel_hi:[0,1,1]
	v_mov_b32_e32 v7, v14
	v_pk_fma_f32 v[18:19], v[34:35], v[6:7], v[18:19] op_sel:[1,0,0]
	v_mov_b32_e32 v4, v15
	v_pk_fma_f32 v[18:19], v[36:37], v[4:5], v[18:19] op_sel_hi:[0,1,1]
	v_mov_b32_e32 v7, v15
	v_pk_fma_f32 v[14:15], v[26:27], v[6:7], v[18:19] op_sel_hi:[0,1,1]
	;; [unrolled: 2-line block ×3, first 2 shown]
	v_mov_b32_e32 v7, v16
	s_waitcnt vmcnt(0)
	v_subrev_u32_e32 v1, s2, v1
	v_pk_fma_f32 v[14:15], v[30:31], v[6:7], v[14:15] op_sel:[1,0,0]
	v_lshlrev_b32_e32 v30, 2, v1
	v_ashrrev_i32_e32 v31, 31, v30
	v_mov_b32_e32 v4, v17
	v_lshlrev_b64 v[30:31], 3, v[30:31]
	v_pk_fma_f32 v[14:15], v[32:33], v[4:5], v[14:15] op_sel_hi:[0,1,1]
	v_mov_b32_e32 v7, v17
	v_add_co_u32_e32 v46, vcc, s6, v30
	v_pk_fma_f32 v[44:45], v[28:29], v[6:7], v[14:15] op_sel_hi:[0,1,1]
	global_load_dwordx4 v[14:17], v[2:3], off offset:1072
	global_load_dwordx4 v[18:21], v[2:3], off offset:1056
	;; [unrolled: 1-line block ×4, first 2 shown]
	v_addc_co_u32_e32 v47, vcc, v12, v31, vcc
	global_load_dwordx4 v[30:33], v[46:47], off offset:16
	global_load_dwordx4 v[34:37], v[46:47], off
	global_load_dword v1, v[8:9], off offset:96
	s_waitcnt vmcnt(3)
	v_mov_b32_e32 v4, v26
	v_mov_b32_e32 v7, v26
	s_waitcnt vmcnt(1)
	v_pk_fma_f32 v[38:39], v[34:35], v[4:5], v[38:39] op_sel_hi:[0,1,1]
	v_pk_fma_f32 v[38:39], v[34:35], v[6:7], v[38:39] op_sel:[1,0,0]
	v_mov_b32_e32 v4, v27
	v_pk_fma_f32 v[38:39], v[36:37], v[4:5], v[38:39] op_sel_hi:[0,1,1]
	v_mov_b32_e32 v26, v37
	v_mov_b32_e32 v7, v27
	v_pk_fma_f32 v[38:39], v[26:27], v[6:7], v[38:39] op_sel_hi:[0,1,1]
	v_mov_b32_e32 v4, v28
	v_pk_fma_f32 v[38:39], v[30:31], v[4:5], v[38:39] op_sel_hi:[0,1,1]
	v_mov_b32_e32 v7, v28
	v_pk_fma_f32 v[38:39], v[30:31], v[6:7], v[38:39] op_sel:[1,0,0]
	v_mov_b32_e32 v4, v29
	v_pk_fma_f32 v[38:39], v[32:33], v[4:5], v[38:39] op_sel_hi:[0,1,1]
	v_mov_b32_e32 v28, v33
	v_mov_b32_e32 v7, v29
	;; [unrolled: 1-line block ×3, first 2 shown]
	v_pk_fma_f32 v[38:39], v[28:29], v[6:7], v[38:39] op_sel_hi:[0,1,1]
	v_pk_fma_f32 v[40:41], v[34:35], v[4:5], v[40:41] op_sel_hi:[0,1,1]
	v_mov_b32_e32 v7, v22
	v_pk_fma_f32 v[40:41], v[34:35], v[6:7], v[40:41] op_sel:[1,0,0]
	v_mov_b32_e32 v4, v23
	v_pk_fma_f32 v[40:41], v[36:37], v[4:5], v[40:41] op_sel_hi:[0,1,1]
	v_mov_b32_e32 v7, v23
	v_pk_fma_f32 v[22:23], v[26:27], v[6:7], v[40:41] op_sel_hi:[0,1,1]
	;; [unrolled: 2-line block ×3, first 2 shown]
	v_mov_b32_e32 v7, v24
	v_pk_fma_f32 v[22:23], v[30:31], v[6:7], v[22:23] op_sel:[1,0,0]
	v_mov_b32_e32 v4, v25
	v_pk_fma_f32 v[22:23], v[32:33], v[4:5], v[22:23] op_sel_hi:[0,1,1]
	v_mov_b32_e32 v7, v25
	v_mov_b32_e32 v4, v18
	v_pk_fma_f32 v[40:41], v[28:29], v[6:7], v[22:23] op_sel_hi:[0,1,1]
	v_pk_fma_f32 v[22:23], v[34:35], v[4:5], v[42:43] op_sel_hi:[0,1,1]
	v_mov_b32_e32 v7, v18
	v_pk_fma_f32 v[22:23], v[34:35], v[6:7], v[22:23] op_sel:[1,0,0]
	v_mov_b32_e32 v4, v19
	v_pk_fma_f32 v[22:23], v[36:37], v[4:5], v[22:23] op_sel_hi:[0,1,1]
	v_mov_b32_e32 v7, v19
	v_pk_fma_f32 v[18:19], v[26:27], v[6:7], v[22:23] op_sel_hi:[0,1,1]
	;; [unrolled: 2-line block ×3, first 2 shown]
	v_mov_b32_e32 v7, v20
	v_pk_fma_f32 v[18:19], v[30:31], v[6:7], v[18:19] op_sel:[1,0,0]
	v_mov_b32_e32 v4, v21
	v_pk_fma_f32 v[18:19], v[32:33], v[4:5], v[18:19] op_sel_hi:[0,1,1]
	v_mov_b32_e32 v7, v21
	v_mov_b32_e32 v4, v14
	v_pk_fma_f32 v[42:43], v[28:29], v[6:7], v[18:19] op_sel_hi:[0,1,1]
	v_pk_fma_f32 v[18:19], v[34:35], v[4:5], v[44:45] op_sel_hi:[0,1,1]
	v_mov_b32_e32 v7, v14
	v_pk_fma_f32 v[18:19], v[34:35], v[6:7], v[18:19] op_sel:[1,0,0]
	v_mov_b32_e32 v4, v15
	v_pk_fma_f32 v[18:19], v[36:37], v[4:5], v[18:19] op_sel_hi:[0,1,1]
	v_mov_b32_e32 v7, v15
	s_waitcnt vmcnt(0)
	v_subrev_u32_e32 v1, s2, v1
	v_pk_fma_f32 v[14:15], v[26:27], v[6:7], v[18:19] op_sel_hi:[0,1,1]
	v_mov_b32_e32 v4, v16
	v_lshlrev_b32_e32 v8, 2, v1
	v_pk_fma_f32 v[14:15], v[30:31], v[4:5], v[14:15] op_sel_hi:[0,1,1]
	v_mov_b32_e32 v7, v16
	v_ashrrev_i32_e32 v9, 31, v8
	v_pk_fma_f32 v[14:15], v[30:31], v[6:7], v[14:15] op_sel:[1,0,0]
	v_mov_b32_e32 v4, v17
	v_lshlrev_b64 v[8:9], 3, v[8:9]
	v_pk_fma_f32 v[14:15], v[32:33], v[4:5], v[14:15] op_sel_hi:[0,1,1]
	v_mov_b32_e32 v7, v17
	v_add_co_u32_e32 v8, vcc, s6, v8
	v_pk_fma_f32 v[44:45], v[28:29], v[6:7], v[14:15] op_sel_hi:[0,1,1]
	global_load_dwordx4 v[14:17], v[2:3], off offset:1584
	global_load_dwordx4 v[18:21], v[2:3], off offset:1568
	;; [unrolled: 1-line block ×4, first 2 shown]
	v_addc_co_u32_e32 v9, vcc, v12, v9, vcc
	global_load_dwordx4 v[30:33], v[8:9], off offset:16
	global_load_dwordx4 v[34:37], v[8:9], off
	v_add_co_u32_e32 v2, vcc, 0x800, v2
	v_addc_co_u32_e32 v3, vcc, 0, v3, vcc
	v_cmp_ge_i32_e32 vcc, v0, v111
	s_or_b64 s[14:15], vcc, s[14:15]
	s_waitcnt vmcnt(2)
	v_mov_b32_e32 v4, v26
	v_mov_b32_e32 v7, v26
	s_waitcnt vmcnt(0)
	v_pk_fma_f32 v[8:9], v[34:35], v[4:5], v[38:39] op_sel_hi:[0,1,1]
	v_pk_fma_f32 v[8:9], v[34:35], v[6:7], v[8:9] op_sel:[1,0,0]
	v_mov_b32_e32 v4, v27
	v_pk_fma_f32 v[8:9], v[36:37], v[4:5], v[8:9] op_sel_hi:[0,1,1]
	v_mov_b32_e32 v26, v37
	v_mov_b32_e32 v7, v27
	v_pk_fma_f32 v[8:9], v[26:27], v[6:7], v[8:9] op_sel_hi:[0,1,1]
	v_mov_b32_e32 v4, v28
	v_pk_fma_f32 v[8:9], v[30:31], v[4:5], v[8:9] op_sel_hi:[0,1,1]
	v_mov_b32_e32 v7, v28
	v_pk_fma_f32 v[8:9], v[30:31], v[6:7], v[8:9] op_sel:[1,0,0]
	v_mov_b32_e32 v4, v29
	v_pk_fma_f32 v[8:9], v[32:33], v[4:5], v[8:9] op_sel_hi:[0,1,1]
	v_mov_b32_e32 v28, v33
	v_mov_b32_e32 v7, v29
	;; [unrolled: 1-line block ×3, first 2 shown]
	v_pk_fma_f32 v[100:101], v[28:29], v[6:7], v[8:9] op_sel_hi:[0,1,1]
	v_pk_fma_f32 v[8:9], v[34:35], v[4:5], v[40:41] op_sel_hi:[0,1,1]
	v_mov_b32_e32 v7, v22
	v_pk_fma_f32 v[8:9], v[34:35], v[6:7], v[8:9] op_sel:[1,0,0]
	v_mov_b32_e32 v4, v23
	v_pk_fma_f32 v[8:9], v[36:37], v[4:5], v[8:9] op_sel_hi:[0,1,1]
	v_mov_b32_e32 v7, v23
	v_pk_fma_f32 v[8:9], v[26:27], v[6:7], v[8:9] op_sel_hi:[0,1,1]
	;; [unrolled: 2-line block ×3, first 2 shown]
	v_mov_b32_e32 v7, v24
	v_pk_fma_f32 v[8:9], v[30:31], v[6:7], v[8:9] op_sel:[1,0,0]
	v_mov_b32_e32 v4, v25
	v_pk_fma_f32 v[8:9], v[32:33], v[4:5], v[8:9] op_sel_hi:[0,1,1]
	v_mov_b32_e32 v7, v25
	v_mov_b32_e32 v4, v18
	v_pk_fma_f32 v[104:105], v[28:29], v[6:7], v[8:9] op_sel_hi:[0,1,1]
	v_pk_fma_f32 v[8:9], v[34:35], v[4:5], v[42:43] op_sel_hi:[0,1,1]
	v_mov_b32_e32 v7, v18
	v_pk_fma_f32 v[8:9], v[34:35], v[6:7], v[8:9] op_sel:[1,0,0]
	v_mov_b32_e32 v4, v19
	v_pk_fma_f32 v[8:9], v[36:37], v[4:5], v[8:9] op_sel_hi:[0,1,1]
	v_mov_b32_e32 v7, v19
	v_pk_fma_f32 v[8:9], v[26:27], v[6:7], v[8:9] op_sel_hi:[0,1,1]
	v_mov_b32_e32 v4, v20
	v_pk_fma_f32 v[8:9], v[30:31], v[4:5], v[8:9] op_sel_hi:[0,1,1]
	v_mov_b32_e32 v7, v20
	v_pk_fma_f32 v[8:9], v[30:31], v[6:7], v[8:9] op_sel:[1,0,0]
	v_mov_b32_e32 v4, v21
	v_pk_fma_f32 v[8:9], v[32:33], v[4:5], v[8:9] op_sel_hi:[0,1,1]
	v_mov_b32_e32 v7, v21
	v_mov_b32_e32 v4, v14
	v_pk_fma_f32 v[102:103], v[28:29], v[6:7], v[8:9] op_sel_hi:[0,1,1]
	v_pk_fma_f32 v[8:9], v[34:35], v[4:5], v[44:45] op_sel_hi:[0,1,1]
	v_mov_b32_e32 v7, v14
	v_pk_fma_f32 v[8:9], v[34:35], v[6:7], v[8:9] op_sel:[1,0,0]
	v_mov_b32_e32 v4, v15
	v_pk_fma_f32 v[8:9], v[36:37], v[4:5], v[8:9] op_sel_hi:[0,1,1]
	v_mov_b32_e32 v7, v15
	v_pk_fma_f32 v[8:9], v[26:27], v[6:7], v[8:9] op_sel_hi:[0,1,1]
	;; [unrolled: 2-line block ×3, first 2 shown]
	v_mov_b32_e32 v7, v16
	v_pk_fma_f32 v[8:9], v[30:31], v[6:7], v[8:9] op_sel:[1,0,0]
	v_mov_b32_e32 v4, v17
	v_pk_fma_f32 v[8:9], v[32:33], v[4:5], v[8:9] op_sel_hi:[0,1,1]
	v_mov_b32_e32 v7, v17
	v_pk_fma_f32 v[98:99], v[28:29], v[6:7], v[8:9] op_sel_hi:[0,1,1]
	s_andn2_b64 exec, exec, s[14:15]
	s_cbranch_execnz .LBB121_27
; %bb.28:
	s_or_b64 exec, exec, s[14:15]
.LBB121_29:
	s_or_b64 exec, exec, s[10:11]
.LBB121_30:
	s_or_b64 exec, exec, s[8:9]
	s_cbranch_execz .LBB121_32
	s_branch .LBB121_43
.LBB121_31:
                                        ; implicit-def: $vgpr101
                                        ; implicit-def: $vgpr105
                                        ; implicit-def: $vgpr103
                                        ; implicit-def: $vgpr99
.LBB121_32:
	s_mov_b32 s10, 0
	v_mov_b32_e32 v101, 0
	v_mov_b32_e32 v100, 0
	;; [unrolled: 1-line block ×8, first 2 shown]
	s_and_saveexec_b64 s[8:9], s[0:1]
	s_cbranch_execz .LBB121_42
; %bb.33:
	v_add_u32_e32 v0, v10, v93
	v_subrev_u32_e32 v0, s2, v0
	v_add_u32_e32 v0, 8, v0
	v_max_i32_e32 v0, v0, v111
	v_not_b32_e32 v1, v10
	v_add3_u32 v0, v0, s2, v1
	v_sub_u32_e32 v4, v0, v93
	v_lshrrev_b32_e32 v0, 3, v4
	v_add_u32_e32 v0, 1, v0
	v_and_b32_e32 v0, 3, v0
	s_mov_b32 s11, s10
	v_cmp_ne_u32_e32 vcc, 0, v0
	v_pk_mov_b32 v[100:101], s[10:11], s[10:11] op_sel:[0,1]
	v_pk_mov_b32 v[104:105], s[10:11], s[10:11] op_sel:[0,1]
	;; [unrolled: 1-line block ×4, first 2 shown]
	s_and_saveexec_b64 s[0:1], vcc
	s_cbranch_execz .LBB121_37
; %bb.34:
	v_mov_b32_e32 v1, 0
	v_lshlrev_b32_e32 v5, 6, v0
	s_mov_b64 s[10:11], 0
	v_mov_b32_e32 v6, s13
	v_mov_b32_e32 v7, s7
	s_movk_i32 s3, 0x200
	v_bfrev_b32_e32 v2, 1
	v_mov_b32_e32 v98, v1
	v_mov_b32_e32 v99, v1
	;; [unrolled: 1-line block ×8, first 2 shown]
.LBB121_35:                             ; =>This Inner Loop Header: Depth=1
	v_ashrrev_i32_e32 v95, 31, v94
	v_lshlrev_b64 v[8:9], 2, v[94:95]
	v_add_co_u32_e32 v20, vcc, s12, v8
	v_addc_co_u32_e32 v21, vcc, v6, v9, vcc
	global_load_dword v0, v[20:21], off
	global_load_dwordx4 v[8:11], v[96:97], off offset:32
	global_load_dwordx4 v[12:15], v[96:97], off offset:16
	global_load_dwordx4 v[16:19], v[96:97], off
	v_subrev_u32_e32 v5, 64, v5
	v_add_u32_e32 v94, 8, v94
	s_waitcnt vmcnt(3)
	v_subrev_u32_e32 v0, s2, v0
	v_lshlrev_b32_e32 v20, 2, v0
	v_ashrrev_i32_e32 v21, 31, v20
	v_lshlrev_b64 v[20:21], 3, v[20:21]
	v_add_co_u32_e32 v32, vcc, s6, v20
	v_addc_co_u32_e32 v33, vcc, v7, v21, vcc
	global_load_dwordx4 v[20:23], v[32:33], off
	global_load_dwordx4 v[24:27], v[32:33], off offset:16
	global_load_dwordx4 v[28:31], v[96:97], off offset:48
	s_waitcnt vmcnt(3)
	v_mov_b32_e32 v0, v16
	v_mov_b32_e32 v3, v16
	v_add_co_u32_e32 v96, vcc, s3, v96
	v_addc_co_u32_e32 v97, vcc, 0, v97, vcc
	v_cmp_eq_u32_e32 vcc, 0, v5
	s_or_b64 s[10:11], vcc, s[10:11]
	s_waitcnt vmcnt(2)
	v_pk_fma_f32 v[32:33], v[20:21], v[0:1], v[100:101] op_sel_hi:[0,1,1]
	v_mov_b32_e32 v0, v12
	v_pk_fma_f32 v[32:33], v[20:21], v[2:3], v[32:33] op_sel:[1,0,0]
	v_mov_b32_e32 v16, v23
	v_mov_b32_e32 v3, v12
	v_pk_fma_f32 v[32:33], v[22:23], v[0:1], v[32:33] op_sel_hi:[0,1,1]
	v_mov_b32_e32 v0, v8
	v_pk_fma_f32 v[32:33], v[16:17], v[2:3], v[32:33] op_sel_hi:[0,1,1]
	v_mov_b32_e32 v3, v8
	s_waitcnt vmcnt(1)
	v_pk_fma_f32 v[32:33], v[24:25], v[0:1], v[32:33] op_sel_hi:[0,1,1]
	s_waitcnt vmcnt(0)
	v_mov_b32_e32 v0, v28
	v_pk_fma_f32 v[32:33], v[24:25], v[2:3], v[32:33] op_sel:[1,0,0]
	v_mov_b32_e32 v34, v27
	v_mov_b32_e32 v3, v28
	v_pk_fma_f32 v[32:33], v[26:27], v[0:1], v[32:33] op_sel_hi:[0,1,1]
	v_mov_b32_e32 v0, v17
	v_pk_fma_f32 v[100:101], v[34:35], v[2:3], v[32:33] op_sel_hi:[0,1,1]
	v_pk_fma_f32 v[32:33], v[20:21], v[0:1], v[104:105] op_sel_hi:[0,1,1]
	v_mov_b32_e32 v3, v17
	v_mov_b32_e32 v0, v13
	v_pk_fma_f32 v[32:33], v[20:21], v[2:3], v[32:33] op_sel:[1,0,0]
	v_mov_b32_e32 v3, v13
	v_pk_fma_f32 v[12:13], v[22:23], v[0:1], v[32:33] op_sel_hi:[0,1,1]
	v_mov_b32_e32 v0, v9
	v_pk_fma_f32 v[12:13], v[16:17], v[2:3], v[12:13] op_sel_hi:[0,1,1]
	v_mov_b32_e32 v3, v9
	v_pk_fma_f32 v[8:9], v[24:25], v[0:1], v[12:13] op_sel_hi:[0,1,1]
	v_mov_b32_e32 v0, v29
	v_pk_fma_f32 v[8:9], v[24:25], v[2:3], v[8:9] op_sel:[1,0,0]
	v_mov_b32_e32 v3, v29
	v_pk_fma_f32 v[8:9], v[26:27], v[0:1], v[8:9] op_sel_hi:[0,1,1]
	v_mov_b32_e32 v0, v18
	v_pk_fma_f32 v[104:105], v[34:35], v[2:3], v[8:9] op_sel_hi:[0,1,1]
	v_pk_fma_f32 v[8:9], v[20:21], v[0:1], v[102:103] op_sel_hi:[0,1,1]
	v_mov_b32_e32 v3, v18
	v_mov_b32_e32 v0, v14
	v_pk_fma_f32 v[8:9], v[20:21], v[2:3], v[8:9] op_sel:[1,0,0]
	v_mov_b32_e32 v3, v14
	v_pk_fma_f32 v[8:9], v[22:23], v[0:1], v[8:9] op_sel_hi:[0,1,1]
	v_mov_b32_e32 v0, v10
	v_pk_fma_f32 v[8:9], v[16:17], v[2:3], v[8:9] op_sel_hi:[0,1,1]
	v_mov_b32_e32 v3, v10
	v_pk_fma_f32 v[8:9], v[24:25], v[0:1], v[8:9] op_sel_hi:[0,1,1]
	v_mov_b32_e32 v0, v30
	v_pk_fma_f32 v[8:9], v[24:25], v[2:3], v[8:9] op_sel:[1,0,0]
	v_mov_b32_e32 v3, v30
	v_pk_fma_f32 v[8:9], v[26:27], v[0:1], v[8:9] op_sel_hi:[0,1,1]
	v_mov_b32_e32 v0, v19
	v_pk_fma_f32 v[102:103], v[34:35], v[2:3], v[8:9] op_sel_hi:[0,1,1]
	v_pk_fma_f32 v[8:9], v[20:21], v[0:1], v[98:99] op_sel_hi:[0,1,1]
	v_mov_b32_e32 v3, v19
	v_mov_b32_e32 v0, v15
	v_pk_fma_f32 v[8:9], v[20:21], v[2:3], v[8:9] op_sel:[1,0,0]
	v_mov_b32_e32 v3, v15
	v_pk_fma_f32 v[8:9], v[22:23], v[0:1], v[8:9] op_sel_hi:[0,1,1]
	v_mov_b32_e32 v0, v11
	v_pk_fma_f32 v[8:9], v[16:17], v[2:3], v[8:9] op_sel_hi:[0,1,1]
	v_mov_b32_e32 v3, v11
	v_pk_fma_f32 v[8:9], v[24:25], v[0:1], v[8:9] op_sel_hi:[0,1,1]
	v_mov_b32_e32 v0, v31
	v_pk_fma_f32 v[8:9], v[24:25], v[2:3], v[8:9] op_sel:[1,0,0]
	v_mov_b32_e32 v3, v31
	v_pk_fma_f32 v[8:9], v[26:27], v[0:1], v[8:9] op_sel_hi:[0,1,1]
	v_pk_fma_f32 v[98:99], v[34:35], v[2:3], v[8:9] op_sel_hi:[0,1,1]
	s_andn2_b64 exec, exec, s[10:11]
	s_cbranch_execnz .LBB121_35
; %bb.36:
	s_or_b64 exec, exec, s[10:11]
.LBB121_37:
	s_or_b64 exec, exec, s[0:1]
	v_cmp_lt_u32_e32 vcc, 23, v4
	s_and_saveexec_b64 s[0:1], vcc
	s_cbranch_execz .LBB121_41
; %bb.38:
	s_mov_b64 s[10:11], 0
	v_mov_b32_e32 v114, s13
	v_mov_b32_e32 v115, s7
	;; [unrolled: 1-line block ×3, first 2 shown]
	v_bfrev_b32_e32 v108, 1
.LBB121_39:                             ; =>This Inner Loop Header: Depth=1
	v_ashrrev_i32_e32 v95, 31, v94
	global_load_dwordx4 v[0:3], v[96:97], off offset:48
	global_load_dwordx4 v[20:23], v[96:97], off offset:32
	;; [unrolled: 1-line block ×3, first 2 shown]
	global_load_dwordx4 v[60:63], v[96:97], off
	global_load_dwordx4 v[4:7], v[96:97], off offset:560
	global_load_dwordx4 v[8:11], v[96:97], off offset:544
	;; [unrolled: 1-line block ×12, first 2 shown]
	v_add_co_u32_e32 v96, vcc, 0x800, v96
	v_lshlrev_b64 v[64:65], 2, v[94:95]
	v_addc_co_u32_e32 v97, vcc, 0, v97, vcc
	v_add_co_u32_e32 v64, vcc, s12, v64
	v_addc_co_u32_e32 v65, vcc, v114, v65, vcc
	global_load_dword v66, v[64:65], off
	global_load_dword v67, v[64:65], off offset:32
	global_load_dword v68, v[64:65], off offset:64
	;; [unrolled: 1-line block ×3, first 2 shown]
	v_add_u32_e32 v94, 32, v94
	v_cmp_ge_i32_e32 vcc, v94, v111
	s_or_b64 s[10:11], vcc, s[10:11]
	s_waitcnt vmcnt(16)
	v_mov_b32_e32 v106, v60
	v_mov_b32_e32 v109, v60
	s_waitcnt vmcnt(3)
	v_subrev_u32_e32 v60, s2, v66
	s_waitcnt vmcnt(2)
	v_subrev_u32_e32 v65, s2, v67
	v_lshlrev_b32_e32 v64, 2, v60
	v_lshlrev_b32_e32 v66, 2, v65
	v_ashrrev_i32_e32 v65, 31, v64
	s_waitcnt vmcnt(1)
	v_subrev_u32_e32 v67, s2, v68
	v_lshlrev_b64 v[64:65], 3, v[64:65]
	v_lshlrev_b32_e32 v68, 2, v67
	v_ashrrev_i32_e32 v67, 31, v66
	v_add_co_u32_e32 v112, vcc, s6, v64
	s_waitcnt vmcnt(0)
	v_subrev_u32_e32 v69, s2, v69
	v_lshlrev_b64 v[66:67], 3, v[66:67]
	v_addc_co_u32_e32 v113, vcc, v115, v65, vcc
	v_lshlrev_b32_e32 v70, 2, v69
	v_ashrrev_i32_e32 v69, 31, v68
	v_add_co_u32_e32 v124, vcc, s6, v66
	v_lshlrev_b64 v[68:69], 3, v[68:69]
	v_addc_co_u32_e32 v125, vcc, v115, v67, vcc
	v_ashrrev_i32_e32 v71, 31, v70
	v_add_co_u32_e32 v126, vcc, s6, v68
	v_lshlrev_b64 v[70:71], 3, v[70:71]
	v_addc_co_u32_e32 v127, vcc, v115, v69, vcc
	v_add_co_u32_e32 v128, vcc, s6, v70
	v_addc_co_u32_e32 v129, vcc, v115, v71, vcc
	global_load_dwordx4 v[116:119], v[112:113], off
	global_load_dwordx4 v[120:123], v[112:113], off offset:16
	global_load_dwordx4 v[84:87], v[124:125], off
	global_load_dwordx4 v[80:83], v[124:125], off offset:16
	;; [unrolled: 2-line block ×4, first 2 shown]
	s_waitcnt vmcnt(7)
	v_pk_fma_f32 v[112:113], v[116:117], v[106:107], v[100:101] op_sel_hi:[0,1,1]
	v_mov_b32_e32 v106, v24
	v_pk_fma_f32 v[112:113], v[116:117], v[108:109], v[112:113] op_sel:[1,0,0]
	v_mov_b32_e32 v124, v119
	v_mov_b32_e32 v109, v24
	v_pk_fma_f32 v[112:113], v[118:119], v[106:107], v[112:113] op_sel_hi:[0,1,1]
	v_mov_b32_e32 v106, v20
	v_pk_fma_f32 v[112:113], v[124:125], v[108:109], v[112:113] op_sel_hi:[0,1,1]
	v_mov_b32_e32 v109, v20
	s_waitcnt vmcnt(6)
	v_pk_fma_f32 v[112:113], v[120:121], v[106:107], v[112:113] op_sel_hi:[0,1,1]
	v_mov_b32_e32 v106, v0
	v_pk_fma_f32 v[112:113], v[120:121], v[108:109], v[112:113] op_sel:[1,0,0]
	v_mov_b32_e32 v110, v123
	v_mov_b32_e32 v109, v0
	v_pk_fma_f32 v[112:113], v[122:123], v[106:107], v[112:113] op_sel_hi:[0,1,1]
	v_mov_b32_e32 v106, v61
	v_pk_fma_f32 v[112:113], v[110:111], v[108:109], v[112:113] op_sel_hi:[0,1,1]
	v_pk_fma_f32 v[104:105], v[116:117], v[106:107], v[104:105] op_sel_hi:[0,1,1]
	v_mov_b32_e32 v109, v61
	v_mov_b32_e32 v106, v25
	v_pk_fma_f32 v[104:105], v[116:117], v[108:109], v[104:105] op_sel:[1,0,0]
	v_mov_b32_e32 v109, v25
	v_pk_fma_f32 v[24:25], v[118:119], v[106:107], v[104:105] op_sel_hi:[0,1,1]
	v_mov_b32_e32 v106, v21
	v_pk_fma_f32 v[24:25], v[124:125], v[108:109], v[24:25] op_sel_hi:[0,1,1]
	;; [unrolled: 2-line block ×3, first 2 shown]
	v_mov_b32_e32 v106, v1
	v_pk_fma_f32 v[20:21], v[120:121], v[108:109], v[20:21] op_sel:[1,0,0]
	v_mov_b32_e32 v109, v1
	v_pk_fma_f32 v[0:1], v[122:123], v[106:107], v[20:21] op_sel_hi:[0,1,1]
	v_mov_b32_e32 v106, v62
	v_pk_fma_f32 v[20:21], v[110:111], v[108:109], v[0:1] op_sel_hi:[0,1,1]
	v_pk_fma_f32 v[0:1], v[116:117], v[106:107], v[102:103] op_sel_hi:[0,1,1]
	v_mov_b32_e32 v109, v62
	v_mov_b32_e32 v106, v26
	v_pk_fma_f32 v[0:1], v[116:117], v[108:109], v[0:1] op_sel:[1,0,0]
	v_mov_b32_e32 v109, v26
	v_pk_fma_f32 v[0:1], v[118:119], v[106:107], v[0:1] op_sel_hi:[0,1,1]
	v_mov_b32_e32 v106, v22
	v_pk_fma_f32 v[0:1], v[124:125], v[108:109], v[0:1] op_sel_hi:[0,1,1]
	;; [unrolled: 2-line block ×3, first 2 shown]
	v_mov_b32_e32 v106, v2
	v_pk_fma_f32 v[0:1], v[120:121], v[108:109], v[0:1] op_sel:[1,0,0]
	v_mov_b32_e32 v109, v2
	v_pk_fma_f32 v[0:1], v[122:123], v[106:107], v[0:1] op_sel_hi:[0,1,1]
	v_mov_b32_e32 v106, v63
	v_pk_fma_f32 v[24:25], v[110:111], v[108:109], v[0:1] op_sel_hi:[0,1,1]
	v_pk_fma_f32 v[0:1], v[116:117], v[106:107], v[98:99] op_sel_hi:[0,1,1]
	v_mov_b32_e32 v109, v63
	v_mov_b32_e32 v106, v27
	v_pk_fma_f32 v[0:1], v[116:117], v[108:109], v[0:1] op_sel:[1,0,0]
	v_pk_fma_f32 v[0:1], v[118:119], v[106:107], v[0:1] op_sel_hi:[0,1,1]
	v_mov_b32_e32 v109, v27
	v_pk_fma_f32 v[62:63], v[124:125], v[108:109], v[0:1] op_sel_hi:[0,1,1]
	v_mov_b32_e32 v106, v23
	v_mov_b32_e32 v109, v23
	v_pk_fma_f32 v[62:63], v[120:121], v[106:107], v[62:63] op_sel_hi:[0,1,1]
	v_mov_b32_e32 v106, v3
	v_pk_fma_f32 v[62:63], v[120:121], v[108:109], v[62:63] op_sel:[1,0,0]
	v_pk_fma_f32 v[62:63], v[122:123], v[106:107], v[62:63] op_sel_hi:[0,1,1]
	v_mov_b32_e32 v109, v3
	v_mov_b32_e32 v106, v16
	v_pk_fma_f32 v[62:63], v[110:111], v[108:109], v[62:63] op_sel_hi:[0,1,1]
	s_waitcnt vmcnt(5)
	v_pk_fma_f32 v[98:99], v[84:85], v[106:107], v[112:113] op_sel_hi:[0,1,1]
	v_mov_b32_e32 v109, v16
	v_mov_b32_e32 v106, v12
	v_pk_fma_f32 v[98:99], v[84:85], v[108:109], v[98:99] op_sel:[1,0,0]
	v_mov_b32_e32 v100, v87
	v_mov_b32_e32 v109, v12
	v_pk_fma_f32 v[98:99], v[86:87], v[106:107], v[98:99] op_sel_hi:[0,1,1]
	v_mov_b32_e32 v106, v8
	v_pk_fma_f32 v[98:99], v[100:101], v[108:109], v[98:99] op_sel_hi:[0,1,1]
	v_mov_b32_e32 v109, v8
	s_waitcnt vmcnt(4)
	v_pk_fma_f32 v[98:99], v[80:81], v[106:107], v[98:99] op_sel_hi:[0,1,1]
	v_mov_b32_e32 v106, v4
	v_pk_fma_f32 v[98:99], v[80:81], v[108:109], v[98:99] op_sel:[1,0,0]
	v_mov_b32_e32 v60, v83
	v_mov_b32_e32 v109, v4
	v_pk_fma_f32 v[98:99], v[82:83], v[106:107], v[98:99] op_sel_hi:[0,1,1]
	v_mov_b32_e32 v106, v17
	v_pk_fma_f32 v[98:99], v[60:61], v[108:109], v[98:99] op_sel_hi:[0,1,1]
	v_pk_fma_f32 v[20:21], v[84:85], v[106:107], v[20:21] op_sel_hi:[0,1,1]
	v_mov_b32_e32 v109, v17
	v_mov_b32_e32 v106, v13
	v_pk_fma_f32 v[16:17], v[84:85], v[108:109], v[20:21] op_sel:[1,0,0]
	v_mov_b32_e32 v109, v13
	v_pk_fma_f32 v[12:13], v[86:87], v[106:107], v[16:17] op_sel_hi:[0,1,1]
	v_mov_b32_e32 v106, v9
	v_pk_fma_f32 v[12:13], v[100:101], v[108:109], v[12:13] op_sel_hi:[0,1,1]
	v_mov_b32_e32 v109, v9
	v_pk_fma_f32 v[8:9], v[80:81], v[106:107], v[12:13] op_sel_hi:[0,1,1]
	v_mov_b32_e32 v106, v5
	v_pk_fma_f32 v[8:9], v[80:81], v[108:109], v[8:9] op_sel:[1,0,0]
	v_mov_b32_e32 v109, v5
	v_pk_fma_f32 v[4:5], v[82:83], v[106:107], v[8:9] op_sel_hi:[0,1,1]
	v_mov_b32_e32 v106, v18
	v_pk_fma_f32 v[4:5], v[60:61], v[108:109], v[4:5] op_sel_hi:[0,1,1]
	v_pk_fma_f32 v[8:9], v[84:85], v[106:107], v[24:25] op_sel_hi:[0,1,1]
	v_mov_b32_e32 v109, v18
	v_mov_b32_e32 v106, v14
	v_pk_fma_f32 v[8:9], v[84:85], v[108:109], v[8:9] op_sel:[1,0,0]
	v_mov_b32_e32 v109, v14
	v_pk_fma_f32 v[8:9], v[86:87], v[106:107], v[8:9] op_sel_hi:[0,1,1]
	v_mov_b32_e32 v106, v10
	v_pk_fma_f32 v[8:9], v[100:101], v[108:109], v[8:9] op_sel_hi:[0,1,1]
	v_mov_b32_e32 v109, v10
	v_pk_fma_f32 v[8:9], v[80:81], v[106:107], v[8:9] op_sel_hi:[0,1,1]
	v_mov_b32_e32 v106, v6
	v_pk_fma_f32 v[8:9], v[80:81], v[108:109], v[8:9] op_sel:[1,0,0]
	;; [unrolled: 16-line block ×3, first 2 shown]
	v_mov_b32_e32 v109, v7
	v_pk_fma_f32 v[6:7], v[82:83], v[106:107], v[10:11] op_sel_hi:[0,1,1]
	v_mov_b32_e32 v106, v40
	v_pk_fma_f32 v[6:7], v[60:61], v[108:109], v[6:7] op_sel_hi:[0,1,1]
	s_waitcnt vmcnt(3)
	v_pk_fma_f32 v[10:11], v[76:77], v[106:107], v[98:99] op_sel_hi:[0,1,1]
	v_mov_b32_e32 v109, v40
	v_mov_b32_e32 v106, v36
	v_pk_fma_f32 v[10:11], v[76:77], v[108:109], v[10:11] op_sel:[1,0,0]
	v_mov_b32_e32 v26, v79
	v_mov_b32_e32 v109, v36
	v_pk_fma_f32 v[10:11], v[78:79], v[106:107], v[10:11] op_sel_hi:[0,1,1]
	v_mov_b32_e32 v106, v32
	v_pk_fma_f32 v[10:11], v[26:27], v[108:109], v[10:11] op_sel_hi:[0,1,1]
	v_mov_b32_e32 v109, v32
	s_waitcnt vmcnt(2)
	v_pk_fma_f32 v[10:11], v[72:73], v[106:107], v[10:11] op_sel_hi:[0,1,1]
	v_mov_b32_e32 v106, v28
	v_pk_fma_f32 v[10:11], v[72:73], v[108:109], v[10:11] op_sel:[1,0,0]
	v_mov_b32_e32 v22, v75
	v_mov_b32_e32 v109, v28
	v_pk_fma_f32 v[10:11], v[74:75], v[106:107], v[10:11] op_sel_hi:[0,1,1]
	v_mov_b32_e32 v106, v41
	v_pk_fma_f32 v[10:11], v[22:23], v[108:109], v[10:11] op_sel_hi:[0,1,1]
	v_pk_fma_f32 v[4:5], v[76:77], v[106:107], v[4:5] op_sel_hi:[0,1,1]
	v_mov_b32_e32 v109, v41
	v_mov_b32_e32 v106, v37
	v_pk_fma_f32 v[4:5], v[76:77], v[108:109], v[4:5] op_sel:[1,0,0]
	v_mov_b32_e32 v109, v37
	v_pk_fma_f32 v[4:5], v[78:79], v[106:107], v[4:5] op_sel_hi:[0,1,1]
	v_mov_b32_e32 v106, v33
	v_pk_fma_f32 v[4:5], v[26:27], v[108:109], v[4:5] op_sel_hi:[0,1,1]
	v_mov_b32_e32 v109, v33
	v_pk_fma_f32 v[4:5], v[72:73], v[106:107], v[4:5] op_sel_hi:[0,1,1]
	v_mov_b32_e32 v106, v29
	v_pk_fma_f32 v[4:5], v[72:73], v[108:109], v[4:5] op_sel:[1,0,0]
	v_mov_b32_e32 v109, v29
	v_pk_fma_f32 v[4:5], v[74:75], v[106:107], v[4:5] op_sel_hi:[0,1,1]
	v_mov_b32_e32 v106, v42
	v_pk_fma_f32 v[4:5], v[22:23], v[108:109], v[4:5] op_sel_hi:[0,1,1]
	v_pk_fma_f32 v[8:9], v[76:77], v[106:107], v[8:9] op_sel_hi:[0,1,1]
	v_mov_b32_e32 v109, v42
	v_mov_b32_e32 v106, v38
	v_pk_fma_f32 v[8:9], v[76:77], v[108:109], v[8:9] op_sel:[1,0,0]
	v_mov_b32_e32 v109, v38
	v_pk_fma_f32 v[8:9], v[78:79], v[106:107], v[8:9] op_sel_hi:[0,1,1]
	v_mov_b32_e32 v106, v34
	v_pk_fma_f32 v[8:9], v[26:27], v[108:109], v[8:9] op_sel_hi:[0,1,1]
	v_mov_b32_e32 v109, v34
	v_pk_fma_f32 v[8:9], v[72:73], v[106:107], v[8:9] op_sel_hi:[0,1,1]
	v_mov_b32_e32 v106, v30
	v_pk_fma_f32 v[8:9], v[72:73], v[108:109], v[8:9] op_sel:[1,0,0]
	;; [unrolled: 16-line block ×3, first 2 shown]
	v_mov_b32_e32 v109, v31
	v_pk_fma_f32 v[6:7], v[74:75], v[106:107], v[6:7] op_sel_hi:[0,1,1]
	v_mov_b32_e32 v106, v56
	v_pk_fma_f32 v[6:7], v[22:23], v[108:109], v[6:7] op_sel_hi:[0,1,1]
	s_waitcnt vmcnt(1)
	v_pk_fma_f32 v[10:11], v[68:69], v[106:107], v[10:11] op_sel_hi:[0,1,1]
	v_mov_b32_e32 v109, v56
	v_mov_b32_e32 v106, v52
	v_pk_fma_f32 v[10:11], v[68:69], v[108:109], v[10:11] op_sel:[1,0,0]
	v_mov_b32_e32 v0, v71
	v_mov_b32_e32 v109, v52
	v_pk_fma_f32 v[10:11], v[70:71], v[106:107], v[10:11] op_sel_hi:[0,1,1]
	v_mov_b32_e32 v106, v48
	v_pk_fma_f32 v[10:11], v[0:1], v[108:109], v[10:11] op_sel_hi:[0,1,1]
	v_mov_b32_e32 v109, v48
	s_waitcnt vmcnt(0)
	v_pk_fma_f32 v[10:11], v[64:65], v[106:107], v[10:11] op_sel_hi:[0,1,1]
	v_mov_b32_e32 v106, v44
	v_pk_fma_f32 v[10:11], v[64:65], v[108:109], v[10:11] op_sel:[1,0,0]
	v_mov_b32_e32 v2, v67
	v_mov_b32_e32 v109, v44
	v_pk_fma_f32 v[10:11], v[66:67], v[106:107], v[10:11] op_sel_hi:[0,1,1]
	v_mov_b32_e32 v106, v57
	v_pk_fma_f32 v[100:101], v[2:3], v[108:109], v[10:11] op_sel_hi:[0,1,1]
	v_pk_fma_f32 v[4:5], v[68:69], v[106:107], v[4:5] op_sel_hi:[0,1,1]
	v_mov_b32_e32 v109, v57
	v_mov_b32_e32 v106, v53
	v_pk_fma_f32 v[4:5], v[68:69], v[108:109], v[4:5] op_sel:[1,0,0]
	v_mov_b32_e32 v109, v53
	v_pk_fma_f32 v[4:5], v[70:71], v[106:107], v[4:5] op_sel_hi:[0,1,1]
	v_mov_b32_e32 v106, v49
	v_pk_fma_f32 v[4:5], v[0:1], v[108:109], v[4:5] op_sel_hi:[0,1,1]
	v_mov_b32_e32 v109, v49
	v_pk_fma_f32 v[4:5], v[64:65], v[106:107], v[4:5] op_sel_hi:[0,1,1]
	v_mov_b32_e32 v106, v45
	v_pk_fma_f32 v[4:5], v[64:65], v[108:109], v[4:5] op_sel:[1,0,0]
	v_mov_b32_e32 v109, v45
	v_pk_fma_f32 v[4:5], v[66:67], v[106:107], v[4:5] op_sel_hi:[0,1,1]
	v_mov_b32_e32 v106, v58
	v_pk_fma_f32 v[104:105], v[2:3], v[108:109], v[4:5] op_sel_hi:[0,1,1]
	v_pk_fma_f32 v[4:5], v[68:69], v[106:107], v[8:9] op_sel_hi:[0,1,1]
	v_mov_b32_e32 v109, v58
	v_mov_b32_e32 v106, v54
	v_pk_fma_f32 v[4:5], v[68:69], v[108:109], v[4:5] op_sel:[1,0,0]
	v_mov_b32_e32 v109, v54
	v_pk_fma_f32 v[4:5], v[70:71], v[106:107], v[4:5] op_sel_hi:[0,1,1]
	v_mov_b32_e32 v106, v50
	v_pk_fma_f32 v[4:5], v[0:1], v[108:109], v[4:5] op_sel_hi:[0,1,1]
	v_mov_b32_e32 v109, v50
	v_pk_fma_f32 v[4:5], v[64:65], v[106:107], v[4:5] op_sel_hi:[0,1,1]
	v_mov_b32_e32 v106, v46
	v_pk_fma_f32 v[4:5], v[64:65], v[108:109], v[4:5] op_sel:[1,0,0]
	;; [unrolled: 16-line block ×3, first 2 shown]
	v_mov_b32_e32 v109, v47
	v_pk_fma_f32 v[0:1], v[66:67], v[106:107], v[0:1] op_sel_hi:[0,1,1]
	v_pk_fma_f32 v[98:99], v[2:3], v[108:109], v[0:1] op_sel_hi:[0,1,1]
	s_andn2_b64 exec, exec, s[10:11]
	s_cbranch_execnz .LBB121_39
; %bb.40:
	s_or_b64 exec, exec, s[10:11]
.LBB121_41:
	s_or_b64 exec, exec, s[0:1]
.LBB121_42:
	s_or_b64 exec, exec, s[8:9]
.LBB121_43:
	v_mov_b32_dpp v6, v105 row_shr:1 row_mask:0xf bank_mask:0xf
	v_add_f32_e32 v6, v105, v6
	v_mov_b32_dpp v0, v100 row_shr:1 row_mask:0xf bank_mask:0xf
	v_mov_b32_dpp v2, v101 row_shr:1 row_mask:0xf bank_mask:0xf
	;; [unrolled: 1-line block ×3, first 2 shown]
	v_add_f32_e32 v7, v6, v7
	v_mov_b32_dpp v6, v102 row_shr:1 row_mask:0xf bank_mask:0xf
	v_add_f32_e32 v6, v102, v6
	v_mov_b32_dpp v4, v104 row_shr:1 row_mask:0xf bank_mask:0xf
	v_add_f32_e32 v0, v100, v0
	v_mov_b32_dpp v8, v6 row_shr:2 row_mask:0xf bank_mask:0xf
	v_add_f32_e32 v10, v6, v8
	v_mov_b32_dpp v6, v103 row_shr:1 row_mask:0xf bank_mask:0xf
	v_add_f32_e32 v6, v103, v6
	v_add_f32_e32 v2, v101, v2
	;; [unrolled: 1-line block ×3, first 2 shown]
	v_mov_b32_dpp v8, v6 row_shr:2 row_mask:0xf bank_mask:0xf
	v_add_f32_e32 v13, v6, v8
	v_mov_b32_dpp v6, v98 row_shr:1 row_mask:0xf bank_mask:0xf
	v_add_f32_e32 v6, v98, v6
	v_mov_b32_dpp v1, v0 row_shr:2 row_mask:0xf bank_mask:0xf
	v_mov_b32_dpp v3, v2 row_shr:2 row_mask:0xf bank_mask:0xf
	;; [unrolled: 1-line block ×3, first 2 shown]
	v_add_f32_e32 v16, v6, v8
	v_mov_b32_dpp v6, v99 row_shr:1 row_mask:0xf bank_mask:0xf
	v_add_f32_e32 v6, v99, v6
	v_mov_b32_dpp v5, v4 row_shr:2 row_mask:0xf bank_mask:0xf
	v_add_f32_e32 v0, v0, v1
	v_mov_b32_dpp v8, v6 row_shr:2 row_mask:0xf bank_mask:0xf
	v_add_f32_e32 v2, v2, v3
	v_add_f32_e32 v4, v4, v5
	;; [unrolled: 1-line block ×3, first 2 shown]
	v_mov_b32_dpp v1, v0 row_shr:4 row_mask:0xf bank_mask:0xe
	v_mov_b32_dpp v3, v2 row_shr:4 row_mask:0xf bank_mask:0xe
	;; [unrolled: 1-line block ×8, first 2 shown]
	v_cmp_eq_u32_e32 vcc, 7, v93
	s_and_b64 exec, exec, vcc
	s_cbranch_execz .LBB121_14
; %bb.44:
	s_load_dwordx2 s[2:3], s[4:5], 0x50
	v_add_f32_e32 v8, v0, v1
	v_and_b32_e32 v1, 0x7fffffff, v90
	v_cmp_eq_u32_e32 vcc, 0, v1
	v_cmp_eq_f32_e64 s[0:1], 0, v91
	v_add_f32_e32 v14, v2, v3
	v_add_f32_e32 v6, v4, v5
	;; [unrolled: 1-line block ×7, first 2 shown]
	s_and_b64 s[0:1], vcc, s[0:1]
	v_lshlrev_b32_e32 v16, 2, v92
	s_and_saveexec_b64 s[4:5], s[0:1]
	s_xor_b64 s[0:1], exec, s[4:5]
	s_cbranch_execz .LBB121_46
; %bb.45:
	v_xor_b32_e32 v18, 0x80000000, v89
	v_ashrrev_i32_e32 v17, 31, v16
	v_mov_b32_e32 v19, v88
	v_lshlrev_b64 v[16:17], 3, v[16:17]
	v_pk_mul_f32 v[14:15], v[14:15], v[18:19] op_sel_hi:[0,1]
	s_waitcnt lgkmcnt(0)
	v_mov_b32_e32 v1, s3
	v_add_co_u32_e32 v20, vcc, s2, v16
	v_pk_fma_f32 v[14:15], v[88:89], v[8:9], v[14:15] op_sel_hi:[1,0,1]
	v_pk_mul_f32 v[8:9], v[12:13], v[18:19] op_sel_hi:[0,1]
	v_addc_co_u32_e32 v21, vcc, v1, v17, vcc
	v_pk_fma_f32 v[16:17], v[88:89], v[6:7], v[8:9] op_sel_hi:[1,0,1]
	v_pk_mul_f32 v[6:7], v[10:11], v[18:19] op_sel_hi:[0,1]
	v_pk_mul_f32 v[4:5], v[4:5], v[18:19] op_sel_hi:[0,1]
	v_pk_fma_f32 v[2:3], v[88:89], v[2:3], v[6:7] op_sel_hi:[1,0,1]
	v_pk_fma_f32 v[4:5], v[88:89], v[0:1], v[4:5] op_sel_hi:[1,0,1]
	global_store_dwordx4 v[20:21], v[14:17], off
	global_store_dwordx4 v[20:21], v[2:5], off offset:16
                                        ; implicit-def: $vgpr89
                                        ; implicit-def: $vgpr90
                                        ; implicit-def: $vgpr8
                                        ; implicit-def: $vgpr14
                                        ; implicit-def: $vgpr6
                                        ; implicit-def: $vgpr12
                                        ; implicit-def: $vgpr2
                                        ; implicit-def: $vgpr10
                                        ; implicit-def: $vgpr0
                                        ; implicit-def: $vgpr4
                                        ; implicit-def: $vgpr16
.LBB121_46:
	s_andn2_saveexec_b64 s[0:1], s[0:1]
	s_cbranch_execz .LBB121_14
; %bb.47:
	v_ashrrev_i32_e32 v17, 31, v16
	v_lshlrev_b64 v[16:17], 3, v[16:17]
	s_waitcnt lgkmcnt(0)
	v_mov_b32_e32 v1, s3
	v_add_co_u32_e32 v24, vcc, s2, v16
	v_addc_co_u32_e32 v25, vcc, v1, v17, vcc
	global_load_dwordx4 v[16:19], v[24:25], off
	global_load_dwordx4 v[20:23], v[24:25], off offset:16
	v_xor_b32_e32 v26, 0x80000000, v89
	v_mov_b32_e32 v27, v88
	v_pk_mul_f32 v[14:15], v[14:15], v[26:27] op_sel_hi:[0,1]
	v_pk_mul_f32 v[12:13], v[12:13], v[26:27] op_sel_hi:[0,1]
	;; [unrolled: 1-line block ×4, first 2 shown]
	v_pk_fma_f32 v[8:9], v[88:89], v[8:9], v[14:15] op_sel_hi:[1,0,1]
	v_pk_fma_f32 v[6:7], v[88:89], v[6:7], v[12:13] op_sel_hi:[1,0,1]
	v_xor_b32_e32 v28, 0x80000000, v91
	v_mov_b32_e32 v29, v90
	v_pk_fma_f32 v[2:3], v[88:89], v[2:3], v[10:11] op_sel_hi:[1,0,1]
	v_pk_fma_f32 v[0:1], v[88:89], v[0:1], v[4:5] op_sel_hi:[1,0,1]
	s_waitcnt vmcnt(1)
	v_pk_fma_f32 v[4:5], v[90:91], v[16:17], v[8:9] op_sel_hi:[1,0,1]
	v_pk_fma_f32 v[6:7], v[90:91], v[18:19], v[6:7] op_sel_hi:[1,0,1]
	v_mov_b32_e32 v8, v19
	s_waitcnt vmcnt(0)
	v_pk_fma_f32 v[10:11], v[90:91], v[20:21], v[2:3] op_sel_hi:[1,0,1]
	v_pk_fma_f32 v[12:13], v[90:91], v[22:23], v[0:1] op_sel_hi:[1,0,1]
	v_mov_b32_e32 v14, v23
	v_pk_fma_f32 v[0:1], v[28:29], v[16:17], v[4:5] op_sel:[0,1,0]
	v_pk_fma_f32 v[2:3], v[28:29], v[8:9], v[6:7] op_sel_hi:[1,0,1]
	v_pk_fma_f32 v[4:5], v[28:29], v[20:21], v[10:11] op_sel:[0,1,0]
	v_pk_fma_f32 v[6:7], v[28:29], v[14:15], v[12:13] op_sel_hi:[1,0,1]
	global_store_dwordx4 v[24:25], v[0:3], off
	global_store_dwordx4 v[24:25], v[4:7], off offset:16
	s_endpgm
	.section	.rodata,"a",@progbits
	.p2align	6, 0x0
	.amdhsa_kernel _ZN9rocsparseL18bsrxmvn_4x4_kernelILj128ELj8E21rocsparse_complex_numIfEiifS2_S2_EEvT3_20rocsparse_direction_NS_24const_host_device_scalarIT1_EES3_PKS3_PKT2_SC_S9_PKT4_PKT5_S7_PT6_21rocsparse_index_base_b
		.amdhsa_group_segment_fixed_size 0
		.amdhsa_private_segment_fixed_size 0
		.amdhsa_kernarg_size 96
		.amdhsa_user_sgpr_count 6
		.amdhsa_user_sgpr_private_segment_buffer 1
		.amdhsa_user_sgpr_dispatch_ptr 0
		.amdhsa_user_sgpr_queue_ptr 0
		.amdhsa_user_sgpr_kernarg_segment_ptr 1
		.amdhsa_user_sgpr_dispatch_id 0
		.amdhsa_user_sgpr_flat_scratch_init 0
		.amdhsa_user_sgpr_kernarg_preload_length 0
		.amdhsa_user_sgpr_kernarg_preload_offset 0
		.amdhsa_user_sgpr_private_segment_size 0
		.amdhsa_uses_dynamic_stack 0
		.amdhsa_system_sgpr_private_segment_wavefront_offset 0
		.amdhsa_system_sgpr_workgroup_id_x 1
		.amdhsa_system_sgpr_workgroup_id_y 0
		.amdhsa_system_sgpr_workgroup_id_z 0
		.amdhsa_system_sgpr_workgroup_info 0
		.amdhsa_system_vgpr_workitem_id 0
		.amdhsa_next_free_vgpr 130
		.amdhsa_next_free_sgpr 16
		.amdhsa_accum_offset 132
		.amdhsa_reserve_vcc 1
		.amdhsa_reserve_flat_scratch 0
		.amdhsa_float_round_mode_32 0
		.amdhsa_float_round_mode_16_64 0
		.amdhsa_float_denorm_mode_32 3
		.amdhsa_float_denorm_mode_16_64 3
		.amdhsa_dx10_clamp 1
		.amdhsa_ieee_mode 1
		.amdhsa_fp16_overflow 0
		.amdhsa_tg_split 0
		.amdhsa_exception_fp_ieee_invalid_op 0
		.amdhsa_exception_fp_denorm_src 0
		.amdhsa_exception_fp_ieee_div_zero 0
		.amdhsa_exception_fp_ieee_overflow 0
		.amdhsa_exception_fp_ieee_underflow 0
		.amdhsa_exception_fp_ieee_inexact 0
		.amdhsa_exception_int_div_zero 0
	.end_amdhsa_kernel
	.section	.text._ZN9rocsparseL18bsrxmvn_4x4_kernelILj128ELj8E21rocsparse_complex_numIfEiifS2_S2_EEvT3_20rocsparse_direction_NS_24const_host_device_scalarIT1_EES3_PKS3_PKT2_SC_S9_PKT4_PKT5_S7_PT6_21rocsparse_index_base_b,"axG",@progbits,_ZN9rocsparseL18bsrxmvn_4x4_kernelILj128ELj8E21rocsparse_complex_numIfEiifS2_S2_EEvT3_20rocsparse_direction_NS_24const_host_device_scalarIT1_EES3_PKS3_PKT2_SC_S9_PKT4_PKT5_S7_PT6_21rocsparse_index_base_b,comdat
.Lfunc_end121:
	.size	_ZN9rocsparseL18bsrxmvn_4x4_kernelILj128ELj8E21rocsparse_complex_numIfEiifS2_S2_EEvT3_20rocsparse_direction_NS_24const_host_device_scalarIT1_EES3_PKS3_PKT2_SC_S9_PKT4_PKT5_S7_PT6_21rocsparse_index_base_b, .Lfunc_end121-_ZN9rocsparseL18bsrxmvn_4x4_kernelILj128ELj8E21rocsparse_complex_numIfEiifS2_S2_EEvT3_20rocsparse_direction_NS_24const_host_device_scalarIT1_EES3_PKS3_PKT2_SC_S9_PKT4_PKT5_S7_PT6_21rocsparse_index_base_b
                                        ; -- End function
	.section	.AMDGPU.csdata,"",@progbits
; Kernel info:
; codeLenInByte = 6948
; NumSgprs: 20
; NumVgprs: 130
; NumAgprs: 0
; TotalNumVgprs: 130
; ScratchSize: 0
; MemoryBound: 0
; FloatMode: 240
; IeeeMode: 1
; LDSByteSize: 0 bytes/workgroup (compile time only)
; SGPRBlocks: 2
; VGPRBlocks: 16
; NumSGPRsForWavesPerEU: 20
; NumVGPRsForWavesPerEU: 130
; AccumOffset: 132
; Occupancy: 3
; WaveLimiterHint : 1
; COMPUTE_PGM_RSRC2:SCRATCH_EN: 0
; COMPUTE_PGM_RSRC2:USER_SGPR: 6
; COMPUTE_PGM_RSRC2:TRAP_HANDLER: 0
; COMPUTE_PGM_RSRC2:TGID_X_EN: 1
; COMPUTE_PGM_RSRC2:TGID_Y_EN: 0
; COMPUTE_PGM_RSRC2:TGID_Z_EN: 0
; COMPUTE_PGM_RSRC2:TIDIG_COMP_CNT: 0
; COMPUTE_PGM_RSRC3_GFX90A:ACCUM_OFFSET: 32
; COMPUTE_PGM_RSRC3_GFX90A:TG_SPLIT: 0
	.section	.text._ZN9rocsparseL18bsrxmvn_4x4_kernelILj128ELj16E21rocsparse_complex_numIfEiifS2_S2_EEvT3_20rocsparse_direction_NS_24const_host_device_scalarIT1_EES3_PKS3_PKT2_SC_S9_PKT4_PKT5_S7_PT6_21rocsparse_index_base_b,"axG",@progbits,_ZN9rocsparseL18bsrxmvn_4x4_kernelILj128ELj16E21rocsparse_complex_numIfEiifS2_S2_EEvT3_20rocsparse_direction_NS_24const_host_device_scalarIT1_EES3_PKS3_PKT2_SC_S9_PKT4_PKT5_S7_PT6_21rocsparse_index_base_b,comdat
	.globl	_ZN9rocsparseL18bsrxmvn_4x4_kernelILj128ELj16E21rocsparse_complex_numIfEiifS2_S2_EEvT3_20rocsparse_direction_NS_24const_host_device_scalarIT1_EES3_PKS3_PKT2_SC_S9_PKT4_PKT5_S7_PT6_21rocsparse_index_base_b ; -- Begin function _ZN9rocsparseL18bsrxmvn_4x4_kernelILj128ELj16E21rocsparse_complex_numIfEiifS2_S2_EEvT3_20rocsparse_direction_NS_24const_host_device_scalarIT1_EES3_PKS3_PKT2_SC_S9_PKT4_PKT5_S7_PT6_21rocsparse_index_base_b
	.p2align	8
	.type	_ZN9rocsparseL18bsrxmvn_4x4_kernelILj128ELj16E21rocsparse_complex_numIfEiifS2_S2_EEvT3_20rocsparse_direction_NS_24const_host_device_scalarIT1_EES3_PKS3_PKT2_SC_S9_PKT4_PKT5_S7_PT6_21rocsparse_index_base_b,@function
_ZN9rocsparseL18bsrxmvn_4x4_kernelILj128ELj16E21rocsparse_complex_numIfEiifS2_S2_EEvT3_20rocsparse_direction_NS_24const_host_device_scalarIT1_EES3_PKS3_PKT2_SC_S9_PKT4_PKT5_S7_PT6_21rocsparse_index_base_b: ; @_ZN9rocsparseL18bsrxmvn_4x4_kernelILj128ELj16E21rocsparse_complex_numIfEiifS2_S2_EEvT3_20rocsparse_direction_NS_24const_host_device_scalarIT1_EES3_PKS3_PKT2_SC_S9_PKT4_PKT5_S7_PT6_21rocsparse_index_base_b
; %bb.0:
	s_load_dwordx2 s[2:3], s[4:5], 0x58
	s_load_dwordx2 s[10:11], s[4:5], 0x8
	;; [unrolled: 1-line block ×3, first 2 shown]
	s_waitcnt lgkmcnt(0)
	s_bitcmp1_b32 s3, 0
	s_cselect_b64 s[0:1], -1, 0
	s_xor_b64 s[12:13], s[0:1], -1
	s_and_b64 vcc, exec, s[0:1]
	v_mov_b32_e32 v88, s10
	s_cbranch_vccnz .LBB122_2
; %bb.1:
	v_pk_mov_b32 v[2:3], s[10:11], s[10:11] op_sel:[0,1]
	flat_load_dword v88, v[2:3]
.LBB122_2:
	v_cndmask_b32_e64 v1, 0, 1, s[12:13]
	v_cmp_ne_u32_e64 s[0:1], 1, v1
	s_andn2_b64 vcc, exec, s[12:13]
	v_mov_b32_e32 v89, s11
	s_cbranch_vccz .LBB122_15
; %bb.3:
	s_and_b64 vcc, exec, s[0:1]
	v_mov_b32_e32 v90, s8
	s_cbranch_vccz .LBB122_16
.LBB122_4:
	s_and_b64 vcc, exec, s[0:1]
	v_mov_b32_e32 v91, s9
	s_cbranch_vccnz .LBB122_6
.LBB122_5:
	v_pk_mov_b32 v[2:3], s[8:9], s[8:9] op_sel:[0,1]
	flat_load_dword v91, v[2:3] offset:4
.LBB122_6:
	s_waitcnt vmcnt(0) lgkmcnt(0)
	v_and_b32_e32 v1, 0x7fffffff, v88
	v_cmp_eq_u32_e32 vcc, 0, v1
	v_cmp_eq_f32_e64 s[0:1], 0, v89
	s_and_b64 s[10:11], vcc, s[0:1]
	s_mov_b64 s[0:1], -1
	s_and_saveexec_b64 s[8:9], s[10:11]
; %bb.7:
	v_and_b32_e32 v1, 0x7fffffff, v91
	v_cmp_neq_f32_e32 vcc, 1.0, v90
	v_cmp_ne_u32_e64 s[0:1], 0, v1
	s_or_b64 s[0:1], vcc, s[0:1]
	s_orn2_b64 s[0:1], s[0:1], exec
; %bb.8:
	s_or_b64 exec, exec, s[8:9]
	s_and_saveexec_b64 s[8:9], s[0:1]
	s_cbranch_execz .LBB122_14
; %bb.9:
	s_load_dwordx2 s[8:9], s[4:5], 0x18
	s_load_dwordx2 s[0:1], s[4:5], 0x0
	v_lshrrev_b32_e32 v1, 4, v0
	v_lshl_or_b32 v92, s6, 3, v1
	s_mov_b64 s[6:7], 0
	s_waitcnt lgkmcnt(0)
	s_cmp_lg_u64 s[8:9], 0
	s_cbranch_scc0 .LBB122_17
; %bb.10:
	s_load_dword s3, s[4:5], 0x10
                                        ; implicit-def: $vgpr1
	s_waitcnt lgkmcnt(0)
	v_cmp_gt_i32_e32 vcc, s3, v92
	s_and_saveexec_b64 s[10:11], vcc
	s_xor_b64 s[10:11], exec, s[10:11]
	s_cbranch_execz .LBB122_12
; %bb.11:
	v_ashrrev_i32_e32 v93, 31, v92
	v_lshlrev_b64 v[2:3], 2, v[92:93]
	v_mov_b32_e32 v1, s9
	v_add_co_u32_e32 v2, vcc, s8, v2
	v_addc_co_u32_e32 v3, vcc, v1, v3, vcc
	global_load_dword v1, v[2:3], off
	s_mov_b64 s[6:7], exec
	s_waitcnt vmcnt(0)
	v_subrev_u32_e32 v1, s2, v1
.LBB122_12:
	s_or_b64 exec, exec, s[10:11]
	s_branch .LBB122_18
.LBB122_13:
	v_cmp_gt_i32_e32 vcc, s0, v92
	s_andn2_b64 s[6:7], s[6:7], exec
	s_and_b64 s[8:9], vcc, exec
	s_or_b64 s[6:7], s[6:7], s[8:9]
	s_and_b64 exec, exec, s[6:7]
	s_cbranch_execnz .LBB122_19
.LBB122_14:
	s_endpgm
.LBB122_15:
	v_pk_mov_b32 v[2:3], s[10:11], s[10:11] op_sel:[0,1]
	flat_load_dword v89, v[2:3] offset:4
	s_and_b64 vcc, exec, s[0:1]
	v_mov_b32_e32 v90, s8
	s_cbranch_vccnz .LBB122_4
.LBB122_16:
	v_pk_mov_b32 v[2:3], s[8:9], s[8:9] op_sel:[0,1]
	flat_load_dword v90, v[2:3]
	s_and_b64 vcc, exec, s[0:1]
	v_mov_b32_e32 v91, s9
	s_cbranch_vccz .LBB122_5
	s_branch .LBB122_6
.LBB122_17:
                                        ; implicit-def: $vgpr1
	s_cbranch_execnz .LBB122_13
.LBB122_18:
	v_mov_b32_e32 v92, v1
	s_and_b64 exec, exec, s[6:7]
	s_cbranch_execz .LBB122_14
.LBB122_19:
	s_load_dwordx8 s[8:15], s[4:5], 0x20
	v_ashrrev_i32_e32 v93, 31, v92
	v_lshlrev_b64 v[2:3], 2, v[92:93]
	v_and_b32_e32 v93, 15, v0
	s_load_dwordx2 s[6:7], s[4:5], 0x40
	s_waitcnt lgkmcnt(0)
	v_mov_b32_e32 v1, s9
	v_add_co_u32_e32 v4, vcc, s8, v2
	v_addc_co_u32_e32 v5, vcc, v1, v3, vcc
	v_add_co_u32_e32 v1, vcc, 4, v4
	global_load_dword v10, v[4:5], off
	v_addc_co_u32_e32 v4, vcc, 0, v5, vcc
	v_mov_b32_e32 v5, s11
	v_add_co_u32_e32 v2, vcc, s10, v2
	s_cmp_eq_u64 s[10:11], 0
	v_addc_co_u32_e32 v3, vcc, v5, v3, vcc
	s_cselect_b64 vcc, -1, 0
	v_cndmask_b32_e32 v3, v3, v4, vcc
	v_cndmask_b32_e32 v2, v2, v1, vcc
	global_load_dword v1, v[2:3], off
	v_mov_b32_e32 v2, s15
	s_cmp_eq_u32 s1, 1
	s_waitcnt vmcnt(1)
	v_subrev_u32_e32 v0, s2, v10
	v_add_u32_e32 v94, v0, v93
	v_ashrrev_i32_e32 v95, 31, v94
	s_waitcnt vmcnt(0)
	v_subrev_u32_e32 v111, s2, v1
	v_lshlrev_b64 v[0:1], 6, v[94:95]
	v_add_co_u32_e32 v96, vcc, s14, v0
	v_addc_co_u32_e32 v97, vcc, v2, v1, vcc
	v_cmp_lt_i32_e64 s[0:1], v94, v111
	s_cbranch_scc1 .LBB122_31
; %bb.20:
	s_mov_b32 s10, 0
	v_mov_b32_e32 v103, 0
	v_mov_b32_e32 v102, 0
	;; [unrolled: 1-line block ×8, first 2 shown]
	s_and_saveexec_b64 s[8:9], s[0:1]
	s_cbranch_execz .LBB122_30
; %bb.21:
	v_add_u32_e32 v0, v10, v93
	v_subrev_u32_e32 v0, s2, v0
	v_add_u32_e32 v0, 16, v0
	v_max_i32_e32 v0, v0, v111
	v_not_b32_e32 v1, v10
	v_add3_u32 v0, v0, s2, v1
	v_sub_u32_e32 v8, v0, v93
	v_lshrrev_b32_e32 v0, 4, v8
	v_add_u32_e32 v0, 1, v0
	v_and_b32_e32 v1, 3, v0
	s_mov_b32 s11, s10
	v_cmp_ne_u32_e32 vcc, 0, v1
	v_pk_mov_b32 v[102:103], s[10:11], s[10:11] op_sel:[0,1]
	v_pk_mov_b32 v[104:105], s[10:11], s[10:11] op_sel:[0,1]
	;; [unrolled: 1-line block ×5, first 2 shown]
	v_mov_b32_e32 v0, v94
	s_and_saveexec_b64 s[10:11], vcc
	s_cbranch_execz .LBB122_25
; %bb.22:
	v_mov_b32_e32 v5, 0
	v_lshlrev_b32_e32 v9, 6, v1
	s_mov_b64 s[14:15], 0
	v_mov_b32_e32 v11, s13
	v_mov_b32_e32 v12, s7
	s_movk_i32 s3, 0x400
	v_bfrev_b32_e32 v6, 1
	v_mov_b32_e32 v0, v94
	v_pk_mov_b32 v[2:3], v[96:97], v[96:97] op_sel:[0,1]
	v_mov_b32_e32 v98, v5
	v_mov_b32_e32 v99, v5
	;; [unrolled: 1-line block ×8, first 2 shown]
.LBB122_23:                             ; =>This Inner Loop Header: Depth=1
	v_ashrrev_i32_e32 v1, 31, v0
	v_lshlrev_b64 v[14:15], 2, v[0:1]
	v_add_co_u32_e32 v22, vcc, s12, v14
	v_addc_co_u32_e32 v23, vcc, v11, v15, vcc
	global_load_dword v1, v[22:23], off
	global_load_dwordx4 v[14:17], v[2:3], off offset:16
	global_load_dwordx4 v[18:21], v[2:3], off
	v_subrev_u32_e32 v9, 64, v9
	v_add_u32_e32 v0, 16, v0
	s_waitcnt vmcnt(2)
	v_subrev_u32_e32 v1, s2, v1
	v_lshlrev_b32_e32 v22, 2, v1
	v_ashrrev_i32_e32 v23, 31, v22
	v_lshlrev_b64 v[22:23], 3, v[22:23]
	v_add_co_u32_e32 v38, vcc, s6, v22
	v_addc_co_u32_e32 v39, vcc, v12, v23, vcc
	global_load_dwordx4 v[22:25], v[38:39], off
	global_load_dwordx4 v[26:29], v[38:39], off offset:16
	global_load_dwordx4 v[30:33], v[2:3], off offset:32
	;; [unrolled: 1-line block ×3, first 2 shown]
	s_waitcnt vmcnt(4)
	v_mov_b32_e32 v4, v18
	v_mov_b32_e32 v7, v18
	v_add_co_u32_e32 v2, vcc, s3, v2
	v_addc_co_u32_e32 v3, vcc, 0, v3, vcc
	v_cmp_eq_u32_e32 vcc, 0, v9
	s_or_b64 s[14:15], vcc, s[14:15]
	s_waitcnt vmcnt(3)
	v_pk_fma_f32 v[38:39], v[22:23], v[4:5], v[102:103] op_sel_hi:[0,1,1]
	v_mov_b32_e32 v4, v19
	v_pk_fma_f32 v[38:39], v[22:23], v[6:7], v[38:39] op_sel:[1,0,0]
	v_mov_b32_e32 v18, v25
	v_mov_b32_e32 v7, v19
	v_pk_fma_f32 v[38:39], v[24:25], v[4:5], v[38:39] op_sel_hi:[0,1,1]
	v_mov_b32_e32 v4, v20
	v_pk_fma_f32 v[38:39], v[18:19], v[6:7], v[38:39] op_sel_hi:[0,1,1]
	v_mov_b32_e32 v7, v20
	s_waitcnt vmcnt(2)
	v_pk_fma_f32 v[38:39], v[26:27], v[4:5], v[38:39] op_sel_hi:[0,1,1]
	v_mov_b32_e32 v4, v21
	v_pk_fma_f32 v[38:39], v[26:27], v[6:7], v[38:39] op_sel:[1,0,0]
	v_mov_b32_e32 v40, v29
	v_mov_b32_e32 v7, v21
	v_pk_fma_f32 v[20:21], v[28:29], v[4:5], v[38:39] op_sel_hi:[0,1,1]
	v_mov_b32_e32 v4, v14
	v_pk_fma_f32 v[102:103], v[40:41], v[6:7], v[20:21] op_sel_hi:[0,1,1]
	v_pk_fma_f32 v[20:21], v[22:23], v[4:5], v[104:105] op_sel_hi:[0,1,1]
	v_mov_b32_e32 v7, v14
	v_mov_b32_e32 v4, v15
	v_pk_fma_f32 v[20:21], v[22:23], v[6:7], v[20:21] op_sel:[1,0,0]
	v_mov_b32_e32 v7, v15
	v_pk_fma_f32 v[14:15], v[24:25], v[4:5], v[20:21] op_sel_hi:[0,1,1]
	v_mov_b32_e32 v4, v16
	v_pk_fma_f32 v[14:15], v[18:19], v[6:7], v[14:15] op_sel_hi:[0,1,1]
	;; [unrolled: 2-line block ×3, first 2 shown]
	v_mov_b32_e32 v4, v17
	v_pk_fma_f32 v[14:15], v[26:27], v[6:7], v[14:15] op_sel:[1,0,0]
	v_mov_b32_e32 v7, v17
	v_pk_fma_f32 v[14:15], v[28:29], v[4:5], v[14:15] op_sel_hi:[0,1,1]
	s_waitcnt vmcnt(1)
	v_mov_b32_e32 v4, v30
	v_pk_fma_f32 v[104:105], v[40:41], v[6:7], v[14:15] op_sel_hi:[0,1,1]
	v_pk_fma_f32 v[14:15], v[22:23], v[4:5], v[100:101] op_sel_hi:[0,1,1]
	v_mov_b32_e32 v7, v30
	v_mov_b32_e32 v4, v31
	v_pk_fma_f32 v[14:15], v[22:23], v[6:7], v[14:15] op_sel:[1,0,0]
	v_mov_b32_e32 v7, v31
	v_pk_fma_f32 v[14:15], v[24:25], v[4:5], v[14:15] op_sel_hi:[0,1,1]
	v_mov_b32_e32 v4, v32
	v_pk_fma_f32 v[14:15], v[18:19], v[6:7], v[14:15] op_sel_hi:[0,1,1]
	;; [unrolled: 2-line block ×3, first 2 shown]
	v_mov_b32_e32 v4, v33
	v_pk_fma_f32 v[14:15], v[26:27], v[6:7], v[14:15] op_sel:[1,0,0]
	v_mov_b32_e32 v7, v33
	v_pk_fma_f32 v[14:15], v[28:29], v[4:5], v[14:15] op_sel_hi:[0,1,1]
	s_waitcnt vmcnt(0)
	v_mov_b32_e32 v4, v34
	v_pk_fma_f32 v[100:101], v[40:41], v[6:7], v[14:15] op_sel_hi:[0,1,1]
	v_pk_fma_f32 v[14:15], v[22:23], v[4:5], v[98:99] op_sel_hi:[0,1,1]
	v_mov_b32_e32 v7, v34
	v_mov_b32_e32 v4, v35
	v_pk_fma_f32 v[14:15], v[22:23], v[6:7], v[14:15] op_sel:[1,0,0]
	v_mov_b32_e32 v7, v35
	v_pk_fma_f32 v[14:15], v[24:25], v[4:5], v[14:15] op_sel_hi:[0,1,1]
	v_mov_b32_e32 v4, v36
	v_pk_fma_f32 v[14:15], v[18:19], v[6:7], v[14:15] op_sel_hi:[0,1,1]
	;; [unrolled: 2-line block ×3, first 2 shown]
	v_mov_b32_e32 v4, v37
	v_pk_fma_f32 v[14:15], v[26:27], v[6:7], v[14:15] op_sel:[1,0,0]
	v_mov_b32_e32 v7, v37
	v_pk_fma_f32 v[14:15], v[28:29], v[4:5], v[14:15] op_sel_hi:[0,1,1]
	v_pk_fma_f32 v[98:99], v[40:41], v[6:7], v[14:15] op_sel_hi:[0,1,1]
	s_andn2_b64 exec, exec, s[14:15]
	s_cbranch_execnz .LBB122_23
; %bb.24:
	s_or_b64 exec, exec, s[14:15]
.LBB122_25:
	s_or_b64 exec, exec, s[10:11]
	v_cmp_lt_u32_e32 vcc, 47, v8
	s_and_saveexec_b64 s[10:11], vcc
	s_cbranch_execz .LBB122_29
; %bb.26:
	s_mov_b64 s[14:15], 0
	v_mov_b32_e32 v11, s13
	v_mov_b32_e32 v12, s7
	;; [unrolled: 1-line block ×3, first 2 shown]
	v_bfrev_b32_e32 v6, 1
.LBB122_27:                             ; =>This Inner Loop Header: Depth=1
	v_ashrrev_i32_e32 v1, 31, v0
	v_lshlrev_b64 v[8:9], 2, v[0:1]
	v_add_co_u32_e32 v8, vcc, s12, v8
	v_addc_co_u32_e32 v9, vcc, v11, v9, vcc
	global_load_dword v1, v[8:9], off
	global_load_dwordx4 v[14:17], v[2:3], off offset:48
	global_load_dwordx4 v[18:21], v[2:3], off offset:32
	;; [unrolled: 1-line block ×3, first 2 shown]
	global_load_dwordx4 v[26:29], v[2:3], off
	v_add_u32_e32 v0, 64, v0
	s_waitcnt vmcnt(4)
	v_subrev_u32_e32 v1, s2, v1
	v_lshlrev_b32_e32 v30, 2, v1
	v_ashrrev_i32_e32 v31, 31, v30
	v_lshlrev_b64 v[30:31], 3, v[30:31]
	v_add_co_u32_e32 v38, vcc, s6, v30
	v_addc_co_u32_e32 v39, vcc, v12, v31, vcc
	global_load_dwordx4 v[30:33], v[38:39], off offset:16
	global_load_dwordx4 v[34:37], v[38:39], off
	global_load_dword v1, v[8:9], off offset:64
	s_waitcnt vmcnt(3)
	v_mov_b32_e32 v4, v26
	v_mov_b32_e32 v7, v26
	s_waitcnt vmcnt(1)
	v_pk_fma_f32 v[38:39], v[34:35], v[4:5], v[102:103] op_sel_hi:[0,1,1]
	v_pk_fma_f32 v[38:39], v[34:35], v[6:7], v[38:39] op_sel:[1,0,0]
	v_mov_b32_e32 v4, v27
	v_pk_fma_f32 v[38:39], v[36:37], v[4:5], v[38:39] op_sel_hi:[0,1,1]
	v_mov_b32_e32 v26, v37
	v_mov_b32_e32 v7, v27
	v_pk_fma_f32 v[38:39], v[26:27], v[6:7], v[38:39] op_sel_hi:[0,1,1]
	v_mov_b32_e32 v4, v28
	v_pk_fma_f32 v[38:39], v[30:31], v[4:5], v[38:39] op_sel_hi:[0,1,1]
	v_mov_b32_e32 v7, v28
	v_pk_fma_f32 v[38:39], v[30:31], v[6:7], v[38:39] op_sel:[1,0,0]
	v_mov_b32_e32 v4, v29
	v_pk_fma_f32 v[38:39], v[32:33], v[4:5], v[38:39] op_sel_hi:[0,1,1]
	v_mov_b32_e32 v28, v33
	v_mov_b32_e32 v7, v29
	v_mov_b32_e32 v4, v22
	v_pk_fma_f32 v[38:39], v[28:29], v[6:7], v[38:39] op_sel_hi:[0,1,1]
	v_pk_fma_f32 v[40:41], v[34:35], v[4:5], v[104:105] op_sel_hi:[0,1,1]
	v_mov_b32_e32 v7, v22
	v_pk_fma_f32 v[40:41], v[34:35], v[6:7], v[40:41] op_sel:[1,0,0]
	v_mov_b32_e32 v4, v23
	v_pk_fma_f32 v[40:41], v[36:37], v[4:5], v[40:41] op_sel_hi:[0,1,1]
	v_mov_b32_e32 v7, v23
	v_pk_fma_f32 v[22:23], v[26:27], v[6:7], v[40:41] op_sel_hi:[0,1,1]
	;; [unrolled: 2-line block ×3, first 2 shown]
	v_mov_b32_e32 v7, v24
	v_pk_fma_f32 v[22:23], v[30:31], v[6:7], v[22:23] op_sel:[1,0,0]
	v_mov_b32_e32 v4, v25
	v_pk_fma_f32 v[22:23], v[32:33], v[4:5], v[22:23] op_sel_hi:[0,1,1]
	v_mov_b32_e32 v7, v25
	v_mov_b32_e32 v4, v18
	v_pk_fma_f32 v[40:41], v[28:29], v[6:7], v[22:23] op_sel_hi:[0,1,1]
	v_pk_fma_f32 v[22:23], v[34:35], v[4:5], v[100:101] op_sel_hi:[0,1,1]
	v_mov_b32_e32 v7, v18
	v_pk_fma_f32 v[22:23], v[34:35], v[6:7], v[22:23] op_sel:[1,0,0]
	v_mov_b32_e32 v4, v19
	v_pk_fma_f32 v[22:23], v[36:37], v[4:5], v[22:23] op_sel_hi:[0,1,1]
	v_mov_b32_e32 v7, v19
	v_pk_fma_f32 v[18:19], v[26:27], v[6:7], v[22:23] op_sel_hi:[0,1,1]
	;; [unrolled: 2-line block ×3, first 2 shown]
	v_mov_b32_e32 v7, v20
	v_pk_fma_f32 v[18:19], v[30:31], v[6:7], v[18:19] op_sel:[1,0,0]
	v_mov_b32_e32 v4, v21
	v_pk_fma_f32 v[18:19], v[32:33], v[4:5], v[18:19] op_sel_hi:[0,1,1]
	v_mov_b32_e32 v7, v21
	v_mov_b32_e32 v4, v14
	v_pk_fma_f32 v[42:43], v[28:29], v[6:7], v[18:19] op_sel_hi:[0,1,1]
	v_pk_fma_f32 v[18:19], v[34:35], v[4:5], v[98:99] op_sel_hi:[0,1,1]
	v_mov_b32_e32 v7, v14
	v_pk_fma_f32 v[18:19], v[34:35], v[6:7], v[18:19] op_sel:[1,0,0]
	v_mov_b32_e32 v4, v15
	v_pk_fma_f32 v[18:19], v[36:37], v[4:5], v[18:19] op_sel_hi:[0,1,1]
	v_mov_b32_e32 v7, v15
	v_pk_fma_f32 v[14:15], v[26:27], v[6:7], v[18:19] op_sel_hi:[0,1,1]
	v_mov_b32_e32 v4, v16
	v_pk_fma_f32 v[14:15], v[30:31], v[4:5], v[14:15] op_sel_hi:[0,1,1]
	v_mov_b32_e32 v7, v16
	s_waitcnt vmcnt(0)
	v_subrev_u32_e32 v1, s2, v1
	v_pk_fma_f32 v[14:15], v[30:31], v[6:7], v[14:15] op_sel:[1,0,0]
	v_lshlrev_b32_e32 v30, 2, v1
	v_ashrrev_i32_e32 v31, 31, v30
	v_mov_b32_e32 v4, v17
	v_lshlrev_b64 v[30:31], 3, v[30:31]
	v_pk_fma_f32 v[14:15], v[32:33], v[4:5], v[14:15] op_sel_hi:[0,1,1]
	v_mov_b32_e32 v7, v17
	v_add_co_u32_e32 v46, vcc, s6, v30
	v_pk_fma_f32 v[44:45], v[28:29], v[6:7], v[14:15] op_sel_hi:[0,1,1]
	global_load_dwordx4 v[14:17], v[2:3], off offset:1072
	global_load_dwordx4 v[18:21], v[2:3], off offset:1056
	;; [unrolled: 1-line block ×4, first 2 shown]
	v_addc_co_u32_e32 v47, vcc, v12, v31, vcc
	global_load_dwordx4 v[30:33], v[46:47], off offset:16
	global_load_dwordx4 v[34:37], v[46:47], off
	global_load_dword v1, v[8:9], off offset:128
	s_waitcnt vmcnt(3)
	v_mov_b32_e32 v4, v26
	v_mov_b32_e32 v7, v26
	s_waitcnt vmcnt(1)
	v_pk_fma_f32 v[38:39], v[34:35], v[4:5], v[38:39] op_sel_hi:[0,1,1]
	v_pk_fma_f32 v[38:39], v[34:35], v[6:7], v[38:39] op_sel:[1,0,0]
	v_mov_b32_e32 v4, v27
	v_pk_fma_f32 v[38:39], v[36:37], v[4:5], v[38:39] op_sel_hi:[0,1,1]
	v_mov_b32_e32 v26, v37
	v_mov_b32_e32 v7, v27
	v_pk_fma_f32 v[38:39], v[26:27], v[6:7], v[38:39] op_sel_hi:[0,1,1]
	v_mov_b32_e32 v4, v28
	v_pk_fma_f32 v[38:39], v[30:31], v[4:5], v[38:39] op_sel_hi:[0,1,1]
	v_mov_b32_e32 v7, v28
	v_pk_fma_f32 v[38:39], v[30:31], v[6:7], v[38:39] op_sel:[1,0,0]
	v_mov_b32_e32 v4, v29
	v_pk_fma_f32 v[38:39], v[32:33], v[4:5], v[38:39] op_sel_hi:[0,1,1]
	v_mov_b32_e32 v28, v33
	v_mov_b32_e32 v7, v29
	;; [unrolled: 1-line block ×3, first 2 shown]
	v_pk_fma_f32 v[38:39], v[28:29], v[6:7], v[38:39] op_sel_hi:[0,1,1]
	v_pk_fma_f32 v[40:41], v[34:35], v[4:5], v[40:41] op_sel_hi:[0,1,1]
	v_mov_b32_e32 v7, v22
	v_pk_fma_f32 v[40:41], v[34:35], v[6:7], v[40:41] op_sel:[1,0,0]
	v_mov_b32_e32 v4, v23
	v_pk_fma_f32 v[40:41], v[36:37], v[4:5], v[40:41] op_sel_hi:[0,1,1]
	v_mov_b32_e32 v7, v23
	v_pk_fma_f32 v[22:23], v[26:27], v[6:7], v[40:41] op_sel_hi:[0,1,1]
	;; [unrolled: 2-line block ×3, first 2 shown]
	v_mov_b32_e32 v7, v24
	v_pk_fma_f32 v[22:23], v[30:31], v[6:7], v[22:23] op_sel:[1,0,0]
	v_mov_b32_e32 v4, v25
	v_pk_fma_f32 v[22:23], v[32:33], v[4:5], v[22:23] op_sel_hi:[0,1,1]
	v_mov_b32_e32 v7, v25
	v_mov_b32_e32 v4, v18
	v_pk_fma_f32 v[40:41], v[28:29], v[6:7], v[22:23] op_sel_hi:[0,1,1]
	v_pk_fma_f32 v[22:23], v[34:35], v[4:5], v[42:43] op_sel_hi:[0,1,1]
	v_mov_b32_e32 v7, v18
	v_pk_fma_f32 v[22:23], v[34:35], v[6:7], v[22:23] op_sel:[1,0,0]
	v_mov_b32_e32 v4, v19
	v_pk_fma_f32 v[22:23], v[36:37], v[4:5], v[22:23] op_sel_hi:[0,1,1]
	v_mov_b32_e32 v7, v19
	v_pk_fma_f32 v[18:19], v[26:27], v[6:7], v[22:23] op_sel_hi:[0,1,1]
	;; [unrolled: 2-line block ×3, first 2 shown]
	v_mov_b32_e32 v7, v20
	v_pk_fma_f32 v[18:19], v[30:31], v[6:7], v[18:19] op_sel:[1,0,0]
	v_mov_b32_e32 v4, v21
	v_pk_fma_f32 v[18:19], v[32:33], v[4:5], v[18:19] op_sel_hi:[0,1,1]
	v_mov_b32_e32 v7, v21
	v_mov_b32_e32 v4, v14
	v_pk_fma_f32 v[42:43], v[28:29], v[6:7], v[18:19] op_sel_hi:[0,1,1]
	v_pk_fma_f32 v[18:19], v[34:35], v[4:5], v[44:45] op_sel_hi:[0,1,1]
	v_mov_b32_e32 v7, v14
	v_pk_fma_f32 v[18:19], v[34:35], v[6:7], v[18:19] op_sel:[1,0,0]
	v_mov_b32_e32 v4, v15
	v_pk_fma_f32 v[18:19], v[36:37], v[4:5], v[18:19] op_sel_hi:[0,1,1]
	v_mov_b32_e32 v7, v15
	v_pk_fma_f32 v[14:15], v[26:27], v[6:7], v[18:19] op_sel_hi:[0,1,1]
	;; [unrolled: 2-line block ×3, first 2 shown]
	v_mov_b32_e32 v7, v16
	s_waitcnt vmcnt(0)
	v_subrev_u32_e32 v1, s2, v1
	v_pk_fma_f32 v[14:15], v[30:31], v[6:7], v[14:15] op_sel:[1,0,0]
	v_lshlrev_b32_e32 v30, 2, v1
	v_ashrrev_i32_e32 v31, 31, v30
	v_mov_b32_e32 v4, v17
	v_lshlrev_b64 v[30:31], 3, v[30:31]
	v_pk_fma_f32 v[14:15], v[32:33], v[4:5], v[14:15] op_sel_hi:[0,1,1]
	v_mov_b32_e32 v7, v17
	v_add_co_u32_e32 v46, vcc, s6, v30
	v_pk_fma_f32 v[44:45], v[28:29], v[6:7], v[14:15] op_sel_hi:[0,1,1]
	global_load_dwordx4 v[14:17], v[2:3], off offset:2096
	global_load_dwordx4 v[18:21], v[2:3], off offset:2080
	;; [unrolled: 1-line block ×4, first 2 shown]
	v_addc_co_u32_e32 v47, vcc, v12, v31, vcc
	global_load_dwordx4 v[30:33], v[46:47], off offset:16
	global_load_dwordx4 v[34:37], v[46:47], off
	global_load_dword v1, v[8:9], off offset:192
	s_waitcnt vmcnt(3)
	v_mov_b32_e32 v4, v26
	v_mov_b32_e32 v7, v26
	s_waitcnt vmcnt(1)
	v_pk_fma_f32 v[38:39], v[34:35], v[4:5], v[38:39] op_sel_hi:[0,1,1]
	v_pk_fma_f32 v[38:39], v[34:35], v[6:7], v[38:39] op_sel:[1,0,0]
	v_mov_b32_e32 v4, v27
	v_pk_fma_f32 v[38:39], v[36:37], v[4:5], v[38:39] op_sel_hi:[0,1,1]
	v_mov_b32_e32 v26, v37
	v_mov_b32_e32 v7, v27
	v_pk_fma_f32 v[38:39], v[26:27], v[6:7], v[38:39] op_sel_hi:[0,1,1]
	v_mov_b32_e32 v4, v28
	v_pk_fma_f32 v[38:39], v[30:31], v[4:5], v[38:39] op_sel_hi:[0,1,1]
	v_mov_b32_e32 v7, v28
	v_pk_fma_f32 v[38:39], v[30:31], v[6:7], v[38:39] op_sel:[1,0,0]
	v_mov_b32_e32 v4, v29
	v_pk_fma_f32 v[38:39], v[32:33], v[4:5], v[38:39] op_sel_hi:[0,1,1]
	v_mov_b32_e32 v28, v33
	v_mov_b32_e32 v7, v29
	;; [unrolled: 1-line block ×3, first 2 shown]
	v_pk_fma_f32 v[38:39], v[28:29], v[6:7], v[38:39] op_sel_hi:[0,1,1]
	v_pk_fma_f32 v[40:41], v[34:35], v[4:5], v[40:41] op_sel_hi:[0,1,1]
	v_mov_b32_e32 v7, v22
	v_pk_fma_f32 v[40:41], v[34:35], v[6:7], v[40:41] op_sel:[1,0,0]
	v_mov_b32_e32 v4, v23
	v_pk_fma_f32 v[40:41], v[36:37], v[4:5], v[40:41] op_sel_hi:[0,1,1]
	v_mov_b32_e32 v7, v23
	v_pk_fma_f32 v[22:23], v[26:27], v[6:7], v[40:41] op_sel_hi:[0,1,1]
	;; [unrolled: 2-line block ×3, first 2 shown]
	v_mov_b32_e32 v7, v24
	v_pk_fma_f32 v[22:23], v[30:31], v[6:7], v[22:23] op_sel:[1,0,0]
	v_mov_b32_e32 v4, v25
	v_pk_fma_f32 v[22:23], v[32:33], v[4:5], v[22:23] op_sel_hi:[0,1,1]
	v_mov_b32_e32 v7, v25
	v_mov_b32_e32 v4, v18
	v_pk_fma_f32 v[40:41], v[28:29], v[6:7], v[22:23] op_sel_hi:[0,1,1]
	v_pk_fma_f32 v[22:23], v[34:35], v[4:5], v[42:43] op_sel_hi:[0,1,1]
	v_mov_b32_e32 v7, v18
	v_pk_fma_f32 v[22:23], v[34:35], v[6:7], v[22:23] op_sel:[1,0,0]
	v_mov_b32_e32 v4, v19
	v_pk_fma_f32 v[22:23], v[36:37], v[4:5], v[22:23] op_sel_hi:[0,1,1]
	v_mov_b32_e32 v7, v19
	v_pk_fma_f32 v[18:19], v[26:27], v[6:7], v[22:23] op_sel_hi:[0,1,1]
	;; [unrolled: 2-line block ×3, first 2 shown]
	v_mov_b32_e32 v7, v20
	v_pk_fma_f32 v[18:19], v[30:31], v[6:7], v[18:19] op_sel:[1,0,0]
	v_mov_b32_e32 v4, v21
	v_pk_fma_f32 v[18:19], v[32:33], v[4:5], v[18:19] op_sel_hi:[0,1,1]
	v_mov_b32_e32 v7, v21
	v_mov_b32_e32 v4, v14
	v_pk_fma_f32 v[42:43], v[28:29], v[6:7], v[18:19] op_sel_hi:[0,1,1]
	v_pk_fma_f32 v[18:19], v[34:35], v[4:5], v[44:45] op_sel_hi:[0,1,1]
	v_mov_b32_e32 v7, v14
	v_pk_fma_f32 v[18:19], v[34:35], v[6:7], v[18:19] op_sel:[1,0,0]
	v_mov_b32_e32 v4, v15
	v_pk_fma_f32 v[18:19], v[36:37], v[4:5], v[18:19] op_sel_hi:[0,1,1]
	v_mov_b32_e32 v7, v15
	s_waitcnt vmcnt(0)
	v_subrev_u32_e32 v1, s2, v1
	v_pk_fma_f32 v[14:15], v[26:27], v[6:7], v[18:19] op_sel_hi:[0,1,1]
	v_mov_b32_e32 v4, v16
	v_lshlrev_b32_e32 v8, 2, v1
	v_pk_fma_f32 v[14:15], v[30:31], v[4:5], v[14:15] op_sel_hi:[0,1,1]
	v_mov_b32_e32 v7, v16
	v_ashrrev_i32_e32 v9, 31, v8
	v_pk_fma_f32 v[14:15], v[30:31], v[6:7], v[14:15] op_sel:[1,0,0]
	v_mov_b32_e32 v4, v17
	v_lshlrev_b64 v[8:9], 3, v[8:9]
	v_pk_fma_f32 v[14:15], v[32:33], v[4:5], v[14:15] op_sel_hi:[0,1,1]
	v_mov_b32_e32 v7, v17
	v_add_co_u32_e32 v8, vcc, s6, v8
	v_pk_fma_f32 v[44:45], v[28:29], v[6:7], v[14:15] op_sel_hi:[0,1,1]
	global_load_dwordx4 v[14:17], v[2:3], off offset:3120
	global_load_dwordx4 v[18:21], v[2:3], off offset:3104
	;; [unrolled: 1-line block ×4, first 2 shown]
	v_addc_co_u32_e32 v9, vcc, v12, v9, vcc
	global_load_dwordx4 v[30:33], v[8:9], off offset:16
	global_load_dwordx4 v[34:37], v[8:9], off
	v_add_co_u32_e32 v2, vcc, 0x1000, v2
	v_addc_co_u32_e32 v3, vcc, 0, v3, vcc
	v_cmp_ge_i32_e32 vcc, v0, v111
	s_or_b64 s[14:15], vcc, s[14:15]
	s_waitcnt vmcnt(2)
	v_mov_b32_e32 v4, v26
	v_mov_b32_e32 v7, v26
	s_waitcnt vmcnt(0)
	v_pk_fma_f32 v[8:9], v[34:35], v[4:5], v[38:39] op_sel_hi:[0,1,1]
	v_pk_fma_f32 v[8:9], v[34:35], v[6:7], v[8:9] op_sel:[1,0,0]
	v_mov_b32_e32 v4, v27
	v_pk_fma_f32 v[8:9], v[36:37], v[4:5], v[8:9] op_sel_hi:[0,1,1]
	v_mov_b32_e32 v26, v37
	v_mov_b32_e32 v7, v27
	v_pk_fma_f32 v[8:9], v[26:27], v[6:7], v[8:9] op_sel_hi:[0,1,1]
	v_mov_b32_e32 v4, v28
	v_pk_fma_f32 v[8:9], v[30:31], v[4:5], v[8:9] op_sel_hi:[0,1,1]
	v_mov_b32_e32 v7, v28
	v_pk_fma_f32 v[8:9], v[30:31], v[6:7], v[8:9] op_sel:[1,0,0]
	v_mov_b32_e32 v4, v29
	v_pk_fma_f32 v[8:9], v[32:33], v[4:5], v[8:9] op_sel_hi:[0,1,1]
	v_mov_b32_e32 v28, v33
	v_mov_b32_e32 v7, v29
	;; [unrolled: 1-line block ×3, first 2 shown]
	v_pk_fma_f32 v[102:103], v[28:29], v[6:7], v[8:9] op_sel_hi:[0,1,1]
	v_pk_fma_f32 v[8:9], v[34:35], v[4:5], v[40:41] op_sel_hi:[0,1,1]
	v_mov_b32_e32 v7, v22
	v_pk_fma_f32 v[8:9], v[34:35], v[6:7], v[8:9] op_sel:[1,0,0]
	v_mov_b32_e32 v4, v23
	v_pk_fma_f32 v[8:9], v[36:37], v[4:5], v[8:9] op_sel_hi:[0,1,1]
	v_mov_b32_e32 v7, v23
	v_pk_fma_f32 v[8:9], v[26:27], v[6:7], v[8:9] op_sel_hi:[0,1,1]
	;; [unrolled: 2-line block ×3, first 2 shown]
	v_mov_b32_e32 v7, v24
	v_pk_fma_f32 v[8:9], v[30:31], v[6:7], v[8:9] op_sel:[1,0,0]
	v_mov_b32_e32 v4, v25
	v_pk_fma_f32 v[8:9], v[32:33], v[4:5], v[8:9] op_sel_hi:[0,1,1]
	v_mov_b32_e32 v7, v25
	v_mov_b32_e32 v4, v18
	v_pk_fma_f32 v[104:105], v[28:29], v[6:7], v[8:9] op_sel_hi:[0,1,1]
	v_pk_fma_f32 v[8:9], v[34:35], v[4:5], v[42:43] op_sel_hi:[0,1,1]
	v_mov_b32_e32 v7, v18
	v_pk_fma_f32 v[8:9], v[34:35], v[6:7], v[8:9] op_sel:[1,0,0]
	v_mov_b32_e32 v4, v19
	v_pk_fma_f32 v[8:9], v[36:37], v[4:5], v[8:9] op_sel_hi:[0,1,1]
	v_mov_b32_e32 v7, v19
	v_pk_fma_f32 v[8:9], v[26:27], v[6:7], v[8:9] op_sel_hi:[0,1,1]
	;; [unrolled: 2-line block ×3, first 2 shown]
	v_mov_b32_e32 v7, v20
	v_pk_fma_f32 v[8:9], v[30:31], v[6:7], v[8:9] op_sel:[1,0,0]
	v_mov_b32_e32 v4, v21
	v_pk_fma_f32 v[8:9], v[32:33], v[4:5], v[8:9] op_sel_hi:[0,1,1]
	v_mov_b32_e32 v7, v21
	v_mov_b32_e32 v4, v14
	v_pk_fma_f32 v[100:101], v[28:29], v[6:7], v[8:9] op_sel_hi:[0,1,1]
	v_pk_fma_f32 v[8:9], v[34:35], v[4:5], v[44:45] op_sel_hi:[0,1,1]
	v_mov_b32_e32 v7, v14
	v_pk_fma_f32 v[8:9], v[34:35], v[6:7], v[8:9] op_sel:[1,0,0]
	v_mov_b32_e32 v4, v15
	v_pk_fma_f32 v[8:9], v[36:37], v[4:5], v[8:9] op_sel_hi:[0,1,1]
	v_mov_b32_e32 v7, v15
	v_pk_fma_f32 v[8:9], v[26:27], v[6:7], v[8:9] op_sel_hi:[0,1,1]
	;; [unrolled: 2-line block ×3, first 2 shown]
	v_mov_b32_e32 v7, v16
	v_pk_fma_f32 v[8:9], v[30:31], v[6:7], v[8:9] op_sel:[1,0,0]
	v_mov_b32_e32 v4, v17
	v_pk_fma_f32 v[8:9], v[32:33], v[4:5], v[8:9] op_sel_hi:[0,1,1]
	v_mov_b32_e32 v7, v17
	v_pk_fma_f32 v[98:99], v[28:29], v[6:7], v[8:9] op_sel_hi:[0,1,1]
	s_andn2_b64 exec, exec, s[14:15]
	s_cbranch_execnz .LBB122_27
; %bb.28:
	s_or_b64 exec, exec, s[14:15]
.LBB122_29:
	s_or_b64 exec, exec, s[10:11]
.LBB122_30:
	s_or_b64 exec, exec, s[8:9]
	s_cbranch_execz .LBB122_32
	s_branch .LBB122_43
.LBB122_31:
                                        ; implicit-def: $vgpr103
                                        ; implicit-def: $vgpr105
                                        ; implicit-def: $vgpr101
                                        ; implicit-def: $vgpr99
.LBB122_32:
	s_mov_b32 s10, 0
	v_mov_b32_e32 v103, 0
	v_mov_b32_e32 v102, 0
	;; [unrolled: 1-line block ×8, first 2 shown]
	s_and_saveexec_b64 s[8:9], s[0:1]
	s_cbranch_execz .LBB122_42
; %bb.33:
	v_add_u32_e32 v0, v10, v93
	v_subrev_u32_e32 v0, s2, v0
	v_add_u32_e32 v0, 16, v0
	v_max_i32_e32 v0, v0, v111
	v_not_b32_e32 v1, v10
	v_add3_u32 v0, v0, s2, v1
	v_sub_u32_e32 v4, v0, v93
	v_lshrrev_b32_e32 v0, 4, v4
	v_add_u32_e32 v0, 1, v0
	v_and_b32_e32 v0, 3, v0
	s_mov_b32 s11, s10
	v_cmp_ne_u32_e32 vcc, 0, v0
	v_pk_mov_b32 v[102:103], s[10:11], s[10:11] op_sel:[0,1]
	v_pk_mov_b32 v[104:105], s[10:11], s[10:11] op_sel:[0,1]
	;; [unrolled: 1-line block ×4, first 2 shown]
	s_and_saveexec_b64 s[0:1], vcc
	s_cbranch_execz .LBB122_37
; %bb.34:
	v_mov_b32_e32 v1, 0
	v_lshlrev_b32_e32 v5, 6, v0
	s_mov_b64 s[10:11], 0
	v_mov_b32_e32 v6, s13
	v_mov_b32_e32 v7, s7
	s_movk_i32 s3, 0x400
	v_bfrev_b32_e32 v2, 1
	v_mov_b32_e32 v98, v1
	v_mov_b32_e32 v99, v1
	;; [unrolled: 1-line block ×8, first 2 shown]
.LBB122_35:                             ; =>This Inner Loop Header: Depth=1
	v_ashrrev_i32_e32 v95, 31, v94
	v_lshlrev_b64 v[8:9], 2, v[94:95]
	v_add_co_u32_e32 v20, vcc, s12, v8
	v_addc_co_u32_e32 v21, vcc, v6, v9, vcc
	global_load_dword v0, v[20:21], off
	global_load_dwordx4 v[8:11], v[96:97], off offset:32
	global_load_dwordx4 v[12:15], v[96:97], off offset:16
	global_load_dwordx4 v[16:19], v[96:97], off
	v_subrev_u32_e32 v5, 64, v5
	v_add_u32_e32 v94, 16, v94
	s_waitcnt vmcnt(3)
	v_subrev_u32_e32 v0, s2, v0
	v_lshlrev_b32_e32 v20, 2, v0
	v_ashrrev_i32_e32 v21, 31, v20
	v_lshlrev_b64 v[20:21], 3, v[20:21]
	v_add_co_u32_e32 v32, vcc, s6, v20
	v_addc_co_u32_e32 v33, vcc, v7, v21, vcc
	global_load_dwordx4 v[20:23], v[32:33], off
	global_load_dwordx4 v[24:27], v[32:33], off offset:16
	global_load_dwordx4 v[28:31], v[96:97], off offset:48
	s_waitcnt vmcnt(3)
	v_mov_b32_e32 v0, v16
	v_mov_b32_e32 v3, v16
	v_add_co_u32_e32 v96, vcc, s3, v96
	v_addc_co_u32_e32 v97, vcc, 0, v97, vcc
	v_cmp_eq_u32_e32 vcc, 0, v5
	s_or_b64 s[10:11], vcc, s[10:11]
	s_waitcnt vmcnt(2)
	v_pk_fma_f32 v[32:33], v[20:21], v[0:1], v[102:103] op_sel_hi:[0,1,1]
	v_mov_b32_e32 v0, v12
	v_pk_fma_f32 v[32:33], v[20:21], v[2:3], v[32:33] op_sel:[1,0,0]
	v_mov_b32_e32 v16, v23
	v_mov_b32_e32 v3, v12
	v_pk_fma_f32 v[32:33], v[22:23], v[0:1], v[32:33] op_sel_hi:[0,1,1]
	v_mov_b32_e32 v0, v8
	v_pk_fma_f32 v[32:33], v[16:17], v[2:3], v[32:33] op_sel_hi:[0,1,1]
	v_mov_b32_e32 v3, v8
	s_waitcnt vmcnt(1)
	v_pk_fma_f32 v[32:33], v[24:25], v[0:1], v[32:33] op_sel_hi:[0,1,1]
	s_waitcnt vmcnt(0)
	v_mov_b32_e32 v0, v28
	v_pk_fma_f32 v[32:33], v[24:25], v[2:3], v[32:33] op_sel:[1,0,0]
	v_mov_b32_e32 v34, v27
	v_mov_b32_e32 v3, v28
	v_pk_fma_f32 v[32:33], v[26:27], v[0:1], v[32:33] op_sel_hi:[0,1,1]
	v_mov_b32_e32 v0, v17
	v_pk_fma_f32 v[102:103], v[34:35], v[2:3], v[32:33] op_sel_hi:[0,1,1]
	v_pk_fma_f32 v[32:33], v[20:21], v[0:1], v[104:105] op_sel_hi:[0,1,1]
	v_mov_b32_e32 v3, v17
	v_mov_b32_e32 v0, v13
	v_pk_fma_f32 v[32:33], v[20:21], v[2:3], v[32:33] op_sel:[1,0,0]
	v_mov_b32_e32 v3, v13
	v_pk_fma_f32 v[12:13], v[22:23], v[0:1], v[32:33] op_sel_hi:[0,1,1]
	v_mov_b32_e32 v0, v9
	v_pk_fma_f32 v[12:13], v[16:17], v[2:3], v[12:13] op_sel_hi:[0,1,1]
	v_mov_b32_e32 v3, v9
	v_pk_fma_f32 v[8:9], v[24:25], v[0:1], v[12:13] op_sel_hi:[0,1,1]
	v_mov_b32_e32 v0, v29
	v_pk_fma_f32 v[8:9], v[24:25], v[2:3], v[8:9] op_sel:[1,0,0]
	v_mov_b32_e32 v3, v29
	v_pk_fma_f32 v[8:9], v[26:27], v[0:1], v[8:9] op_sel_hi:[0,1,1]
	v_mov_b32_e32 v0, v18
	v_pk_fma_f32 v[104:105], v[34:35], v[2:3], v[8:9] op_sel_hi:[0,1,1]
	v_pk_fma_f32 v[8:9], v[20:21], v[0:1], v[100:101] op_sel_hi:[0,1,1]
	v_mov_b32_e32 v3, v18
	v_mov_b32_e32 v0, v14
	v_pk_fma_f32 v[8:9], v[20:21], v[2:3], v[8:9] op_sel:[1,0,0]
	v_mov_b32_e32 v3, v14
	v_pk_fma_f32 v[8:9], v[22:23], v[0:1], v[8:9] op_sel_hi:[0,1,1]
	v_mov_b32_e32 v0, v10
	v_pk_fma_f32 v[8:9], v[16:17], v[2:3], v[8:9] op_sel_hi:[0,1,1]
	v_mov_b32_e32 v3, v10
	v_pk_fma_f32 v[8:9], v[24:25], v[0:1], v[8:9] op_sel_hi:[0,1,1]
	v_mov_b32_e32 v0, v30
	v_pk_fma_f32 v[8:9], v[24:25], v[2:3], v[8:9] op_sel:[1,0,0]
	v_mov_b32_e32 v3, v30
	v_pk_fma_f32 v[8:9], v[26:27], v[0:1], v[8:9] op_sel_hi:[0,1,1]
	v_mov_b32_e32 v0, v19
	v_pk_fma_f32 v[100:101], v[34:35], v[2:3], v[8:9] op_sel_hi:[0,1,1]
	v_pk_fma_f32 v[8:9], v[20:21], v[0:1], v[98:99] op_sel_hi:[0,1,1]
	v_mov_b32_e32 v3, v19
	v_mov_b32_e32 v0, v15
	v_pk_fma_f32 v[8:9], v[20:21], v[2:3], v[8:9] op_sel:[1,0,0]
	v_mov_b32_e32 v3, v15
	v_pk_fma_f32 v[8:9], v[22:23], v[0:1], v[8:9] op_sel_hi:[0,1,1]
	v_mov_b32_e32 v0, v11
	v_pk_fma_f32 v[8:9], v[16:17], v[2:3], v[8:9] op_sel_hi:[0,1,1]
	v_mov_b32_e32 v3, v11
	v_pk_fma_f32 v[8:9], v[24:25], v[0:1], v[8:9] op_sel_hi:[0,1,1]
	v_mov_b32_e32 v0, v31
	v_pk_fma_f32 v[8:9], v[24:25], v[2:3], v[8:9] op_sel:[1,0,0]
	v_mov_b32_e32 v3, v31
	v_pk_fma_f32 v[8:9], v[26:27], v[0:1], v[8:9] op_sel_hi:[0,1,1]
	v_pk_fma_f32 v[98:99], v[34:35], v[2:3], v[8:9] op_sel_hi:[0,1,1]
	s_andn2_b64 exec, exec, s[10:11]
	s_cbranch_execnz .LBB122_35
; %bb.36:
	s_or_b64 exec, exec, s[10:11]
.LBB122_37:
	s_or_b64 exec, exec, s[0:1]
	v_cmp_lt_u32_e32 vcc, 47, v4
	s_and_saveexec_b64 s[0:1], vcc
	s_cbranch_execz .LBB122_41
; %bb.38:
	s_mov_b64 s[10:11], 0
	v_mov_b32_e32 v114, s13
	v_mov_b32_e32 v115, s7
	;; [unrolled: 1-line block ×3, first 2 shown]
	v_bfrev_b32_e32 v108, 1
.LBB122_39:                             ; =>This Inner Loop Header: Depth=1
	v_ashrrev_i32_e32 v95, 31, v94
	global_load_dwordx4 v[0:3], v[96:97], off offset:48
	global_load_dwordx4 v[20:23], v[96:97], off offset:32
	;; [unrolled: 1-line block ×3, first 2 shown]
	global_load_dwordx4 v[60:63], v[96:97], off
	global_load_dwordx4 v[4:7], v[96:97], off offset:1072
	global_load_dwordx4 v[8:11], v[96:97], off offset:1056
	;; [unrolled: 1-line block ×12, first 2 shown]
	v_add_co_u32_e32 v96, vcc, 0x1000, v96
	v_lshlrev_b64 v[64:65], 2, v[94:95]
	v_addc_co_u32_e32 v97, vcc, 0, v97, vcc
	v_add_co_u32_e32 v64, vcc, s12, v64
	v_addc_co_u32_e32 v65, vcc, v114, v65, vcc
	global_load_dword v66, v[64:65], off
	global_load_dword v67, v[64:65], off offset:64
	global_load_dword v68, v[64:65], off offset:128
	;; [unrolled: 1-line block ×3, first 2 shown]
	v_add_u32_e32 v94, 64, v94
	v_cmp_ge_i32_e32 vcc, v94, v111
	s_or_b64 s[10:11], vcc, s[10:11]
	s_waitcnt vmcnt(16)
	v_mov_b32_e32 v106, v60
	v_mov_b32_e32 v109, v60
	s_waitcnt vmcnt(3)
	v_subrev_u32_e32 v60, s2, v66
	s_waitcnt vmcnt(2)
	v_subrev_u32_e32 v65, s2, v67
	v_lshlrev_b32_e32 v64, 2, v60
	v_lshlrev_b32_e32 v66, 2, v65
	v_ashrrev_i32_e32 v65, 31, v64
	s_waitcnt vmcnt(1)
	v_subrev_u32_e32 v67, s2, v68
	v_lshlrev_b64 v[64:65], 3, v[64:65]
	v_lshlrev_b32_e32 v68, 2, v67
	v_ashrrev_i32_e32 v67, 31, v66
	v_add_co_u32_e32 v112, vcc, s6, v64
	s_waitcnt vmcnt(0)
	v_subrev_u32_e32 v69, s2, v69
	v_lshlrev_b64 v[66:67], 3, v[66:67]
	v_addc_co_u32_e32 v113, vcc, v115, v65, vcc
	v_lshlrev_b32_e32 v70, 2, v69
	v_ashrrev_i32_e32 v69, 31, v68
	v_add_co_u32_e32 v124, vcc, s6, v66
	v_lshlrev_b64 v[68:69], 3, v[68:69]
	v_addc_co_u32_e32 v125, vcc, v115, v67, vcc
	v_ashrrev_i32_e32 v71, 31, v70
	v_add_co_u32_e32 v126, vcc, s6, v68
	v_lshlrev_b64 v[70:71], 3, v[70:71]
	v_addc_co_u32_e32 v127, vcc, v115, v69, vcc
	v_add_co_u32_e32 v128, vcc, s6, v70
	v_addc_co_u32_e32 v129, vcc, v115, v71, vcc
	global_load_dwordx4 v[116:119], v[112:113], off
	global_load_dwordx4 v[120:123], v[112:113], off offset:16
	global_load_dwordx4 v[84:87], v[124:125], off
	global_load_dwordx4 v[80:83], v[124:125], off offset:16
	;; [unrolled: 2-line block ×4, first 2 shown]
	s_waitcnt vmcnt(7)
	v_pk_fma_f32 v[112:113], v[116:117], v[106:107], v[102:103] op_sel_hi:[0,1,1]
	v_mov_b32_e32 v106, v24
	v_pk_fma_f32 v[112:113], v[116:117], v[108:109], v[112:113] op_sel:[1,0,0]
	v_mov_b32_e32 v124, v119
	v_mov_b32_e32 v109, v24
	v_pk_fma_f32 v[112:113], v[118:119], v[106:107], v[112:113] op_sel_hi:[0,1,1]
	v_mov_b32_e32 v106, v20
	v_pk_fma_f32 v[112:113], v[124:125], v[108:109], v[112:113] op_sel_hi:[0,1,1]
	v_mov_b32_e32 v109, v20
	s_waitcnt vmcnt(6)
	v_pk_fma_f32 v[112:113], v[120:121], v[106:107], v[112:113] op_sel_hi:[0,1,1]
	v_mov_b32_e32 v106, v0
	v_pk_fma_f32 v[112:113], v[120:121], v[108:109], v[112:113] op_sel:[1,0,0]
	v_mov_b32_e32 v110, v123
	v_mov_b32_e32 v109, v0
	v_pk_fma_f32 v[112:113], v[122:123], v[106:107], v[112:113] op_sel_hi:[0,1,1]
	v_mov_b32_e32 v106, v61
	v_pk_fma_f32 v[112:113], v[110:111], v[108:109], v[112:113] op_sel_hi:[0,1,1]
	v_pk_fma_f32 v[104:105], v[116:117], v[106:107], v[104:105] op_sel_hi:[0,1,1]
	v_mov_b32_e32 v109, v61
	v_mov_b32_e32 v106, v25
	v_pk_fma_f32 v[104:105], v[116:117], v[108:109], v[104:105] op_sel:[1,0,0]
	v_mov_b32_e32 v109, v25
	v_pk_fma_f32 v[24:25], v[118:119], v[106:107], v[104:105] op_sel_hi:[0,1,1]
	v_mov_b32_e32 v106, v21
	v_pk_fma_f32 v[24:25], v[124:125], v[108:109], v[24:25] op_sel_hi:[0,1,1]
	;; [unrolled: 2-line block ×3, first 2 shown]
	v_mov_b32_e32 v106, v1
	v_pk_fma_f32 v[20:21], v[120:121], v[108:109], v[20:21] op_sel:[1,0,0]
	v_mov_b32_e32 v109, v1
	v_pk_fma_f32 v[0:1], v[122:123], v[106:107], v[20:21] op_sel_hi:[0,1,1]
	v_mov_b32_e32 v106, v62
	v_pk_fma_f32 v[20:21], v[110:111], v[108:109], v[0:1] op_sel_hi:[0,1,1]
	v_pk_fma_f32 v[0:1], v[116:117], v[106:107], v[100:101] op_sel_hi:[0,1,1]
	v_mov_b32_e32 v109, v62
	v_mov_b32_e32 v106, v26
	v_pk_fma_f32 v[0:1], v[116:117], v[108:109], v[0:1] op_sel:[1,0,0]
	v_mov_b32_e32 v109, v26
	v_pk_fma_f32 v[0:1], v[118:119], v[106:107], v[0:1] op_sel_hi:[0,1,1]
	v_mov_b32_e32 v106, v22
	v_pk_fma_f32 v[0:1], v[124:125], v[108:109], v[0:1] op_sel_hi:[0,1,1]
	;; [unrolled: 2-line block ×3, first 2 shown]
	v_mov_b32_e32 v106, v2
	v_pk_fma_f32 v[0:1], v[120:121], v[108:109], v[0:1] op_sel:[1,0,0]
	v_mov_b32_e32 v109, v2
	v_pk_fma_f32 v[0:1], v[122:123], v[106:107], v[0:1] op_sel_hi:[0,1,1]
	v_mov_b32_e32 v106, v63
	v_pk_fma_f32 v[24:25], v[110:111], v[108:109], v[0:1] op_sel_hi:[0,1,1]
	v_pk_fma_f32 v[0:1], v[116:117], v[106:107], v[98:99] op_sel_hi:[0,1,1]
	v_mov_b32_e32 v109, v63
	v_mov_b32_e32 v106, v27
	v_pk_fma_f32 v[0:1], v[116:117], v[108:109], v[0:1] op_sel:[1,0,0]
	v_pk_fma_f32 v[0:1], v[118:119], v[106:107], v[0:1] op_sel_hi:[0,1,1]
	v_mov_b32_e32 v109, v27
	v_pk_fma_f32 v[62:63], v[124:125], v[108:109], v[0:1] op_sel_hi:[0,1,1]
	v_mov_b32_e32 v106, v23
	v_mov_b32_e32 v109, v23
	v_pk_fma_f32 v[62:63], v[120:121], v[106:107], v[62:63] op_sel_hi:[0,1,1]
	v_mov_b32_e32 v106, v3
	v_pk_fma_f32 v[62:63], v[120:121], v[108:109], v[62:63] op_sel:[1,0,0]
	v_pk_fma_f32 v[62:63], v[122:123], v[106:107], v[62:63] op_sel_hi:[0,1,1]
	v_mov_b32_e32 v109, v3
	v_mov_b32_e32 v106, v16
	v_pk_fma_f32 v[62:63], v[110:111], v[108:109], v[62:63] op_sel_hi:[0,1,1]
	s_waitcnt vmcnt(5)
	v_pk_fma_f32 v[98:99], v[84:85], v[106:107], v[112:113] op_sel_hi:[0,1,1]
	v_mov_b32_e32 v109, v16
	v_mov_b32_e32 v106, v12
	v_pk_fma_f32 v[98:99], v[84:85], v[108:109], v[98:99] op_sel:[1,0,0]
	v_mov_b32_e32 v102, v87
	v_mov_b32_e32 v109, v12
	v_pk_fma_f32 v[98:99], v[86:87], v[106:107], v[98:99] op_sel_hi:[0,1,1]
	v_mov_b32_e32 v106, v8
	v_pk_fma_f32 v[98:99], v[102:103], v[108:109], v[98:99] op_sel_hi:[0,1,1]
	v_mov_b32_e32 v109, v8
	s_waitcnt vmcnt(4)
	v_pk_fma_f32 v[98:99], v[80:81], v[106:107], v[98:99] op_sel_hi:[0,1,1]
	v_mov_b32_e32 v106, v4
	v_pk_fma_f32 v[98:99], v[80:81], v[108:109], v[98:99] op_sel:[1,0,0]
	v_mov_b32_e32 v60, v83
	v_mov_b32_e32 v109, v4
	v_pk_fma_f32 v[98:99], v[82:83], v[106:107], v[98:99] op_sel_hi:[0,1,1]
	v_mov_b32_e32 v106, v17
	v_pk_fma_f32 v[98:99], v[60:61], v[108:109], v[98:99] op_sel_hi:[0,1,1]
	v_pk_fma_f32 v[20:21], v[84:85], v[106:107], v[20:21] op_sel_hi:[0,1,1]
	v_mov_b32_e32 v109, v17
	v_mov_b32_e32 v106, v13
	v_pk_fma_f32 v[16:17], v[84:85], v[108:109], v[20:21] op_sel:[1,0,0]
	v_mov_b32_e32 v109, v13
	v_pk_fma_f32 v[12:13], v[86:87], v[106:107], v[16:17] op_sel_hi:[0,1,1]
	v_mov_b32_e32 v106, v9
	v_pk_fma_f32 v[12:13], v[102:103], v[108:109], v[12:13] op_sel_hi:[0,1,1]
	v_mov_b32_e32 v109, v9
	v_pk_fma_f32 v[8:9], v[80:81], v[106:107], v[12:13] op_sel_hi:[0,1,1]
	v_mov_b32_e32 v106, v5
	v_pk_fma_f32 v[8:9], v[80:81], v[108:109], v[8:9] op_sel:[1,0,0]
	v_mov_b32_e32 v109, v5
	v_pk_fma_f32 v[4:5], v[82:83], v[106:107], v[8:9] op_sel_hi:[0,1,1]
	v_mov_b32_e32 v106, v18
	v_pk_fma_f32 v[4:5], v[60:61], v[108:109], v[4:5] op_sel_hi:[0,1,1]
	v_pk_fma_f32 v[8:9], v[84:85], v[106:107], v[24:25] op_sel_hi:[0,1,1]
	v_mov_b32_e32 v109, v18
	v_mov_b32_e32 v106, v14
	v_pk_fma_f32 v[8:9], v[84:85], v[108:109], v[8:9] op_sel:[1,0,0]
	v_mov_b32_e32 v109, v14
	v_pk_fma_f32 v[8:9], v[86:87], v[106:107], v[8:9] op_sel_hi:[0,1,1]
	v_mov_b32_e32 v106, v10
	v_pk_fma_f32 v[8:9], v[102:103], v[108:109], v[8:9] op_sel_hi:[0,1,1]
	v_mov_b32_e32 v109, v10
	v_pk_fma_f32 v[8:9], v[80:81], v[106:107], v[8:9] op_sel_hi:[0,1,1]
	v_mov_b32_e32 v106, v6
	v_pk_fma_f32 v[8:9], v[80:81], v[108:109], v[8:9] op_sel:[1,0,0]
	;; [unrolled: 16-line block ×3, first 2 shown]
	v_mov_b32_e32 v109, v7
	v_pk_fma_f32 v[6:7], v[82:83], v[106:107], v[10:11] op_sel_hi:[0,1,1]
	v_mov_b32_e32 v106, v40
	v_pk_fma_f32 v[6:7], v[60:61], v[108:109], v[6:7] op_sel_hi:[0,1,1]
	s_waitcnt vmcnt(3)
	v_pk_fma_f32 v[10:11], v[76:77], v[106:107], v[98:99] op_sel_hi:[0,1,1]
	v_mov_b32_e32 v109, v40
	v_mov_b32_e32 v106, v36
	v_pk_fma_f32 v[10:11], v[76:77], v[108:109], v[10:11] op_sel:[1,0,0]
	v_mov_b32_e32 v26, v79
	v_mov_b32_e32 v109, v36
	v_pk_fma_f32 v[10:11], v[78:79], v[106:107], v[10:11] op_sel_hi:[0,1,1]
	v_mov_b32_e32 v106, v32
	v_pk_fma_f32 v[10:11], v[26:27], v[108:109], v[10:11] op_sel_hi:[0,1,1]
	v_mov_b32_e32 v109, v32
	s_waitcnt vmcnt(2)
	v_pk_fma_f32 v[10:11], v[72:73], v[106:107], v[10:11] op_sel_hi:[0,1,1]
	v_mov_b32_e32 v106, v28
	v_pk_fma_f32 v[10:11], v[72:73], v[108:109], v[10:11] op_sel:[1,0,0]
	v_mov_b32_e32 v22, v75
	v_mov_b32_e32 v109, v28
	v_pk_fma_f32 v[10:11], v[74:75], v[106:107], v[10:11] op_sel_hi:[0,1,1]
	v_mov_b32_e32 v106, v41
	v_pk_fma_f32 v[10:11], v[22:23], v[108:109], v[10:11] op_sel_hi:[0,1,1]
	v_pk_fma_f32 v[4:5], v[76:77], v[106:107], v[4:5] op_sel_hi:[0,1,1]
	v_mov_b32_e32 v109, v41
	v_mov_b32_e32 v106, v37
	v_pk_fma_f32 v[4:5], v[76:77], v[108:109], v[4:5] op_sel:[1,0,0]
	v_mov_b32_e32 v109, v37
	v_pk_fma_f32 v[4:5], v[78:79], v[106:107], v[4:5] op_sel_hi:[0,1,1]
	v_mov_b32_e32 v106, v33
	v_pk_fma_f32 v[4:5], v[26:27], v[108:109], v[4:5] op_sel_hi:[0,1,1]
	v_mov_b32_e32 v109, v33
	v_pk_fma_f32 v[4:5], v[72:73], v[106:107], v[4:5] op_sel_hi:[0,1,1]
	v_mov_b32_e32 v106, v29
	v_pk_fma_f32 v[4:5], v[72:73], v[108:109], v[4:5] op_sel:[1,0,0]
	v_mov_b32_e32 v109, v29
	v_pk_fma_f32 v[4:5], v[74:75], v[106:107], v[4:5] op_sel_hi:[0,1,1]
	v_mov_b32_e32 v106, v42
	v_pk_fma_f32 v[4:5], v[22:23], v[108:109], v[4:5] op_sel_hi:[0,1,1]
	v_pk_fma_f32 v[8:9], v[76:77], v[106:107], v[8:9] op_sel_hi:[0,1,1]
	v_mov_b32_e32 v109, v42
	v_mov_b32_e32 v106, v38
	v_pk_fma_f32 v[8:9], v[76:77], v[108:109], v[8:9] op_sel:[1,0,0]
	v_mov_b32_e32 v109, v38
	v_pk_fma_f32 v[8:9], v[78:79], v[106:107], v[8:9] op_sel_hi:[0,1,1]
	v_mov_b32_e32 v106, v34
	v_pk_fma_f32 v[8:9], v[26:27], v[108:109], v[8:9] op_sel_hi:[0,1,1]
	v_mov_b32_e32 v109, v34
	v_pk_fma_f32 v[8:9], v[72:73], v[106:107], v[8:9] op_sel_hi:[0,1,1]
	v_mov_b32_e32 v106, v30
	v_pk_fma_f32 v[8:9], v[72:73], v[108:109], v[8:9] op_sel:[1,0,0]
	;; [unrolled: 16-line block ×3, first 2 shown]
	v_mov_b32_e32 v109, v31
	v_pk_fma_f32 v[6:7], v[74:75], v[106:107], v[6:7] op_sel_hi:[0,1,1]
	v_mov_b32_e32 v106, v56
	v_pk_fma_f32 v[6:7], v[22:23], v[108:109], v[6:7] op_sel_hi:[0,1,1]
	s_waitcnt vmcnt(1)
	v_pk_fma_f32 v[10:11], v[68:69], v[106:107], v[10:11] op_sel_hi:[0,1,1]
	v_mov_b32_e32 v109, v56
	v_mov_b32_e32 v106, v52
	v_pk_fma_f32 v[10:11], v[68:69], v[108:109], v[10:11] op_sel:[1,0,0]
	v_mov_b32_e32 v0, v71
	v_mov_b32_e32 v109, v52
	v_pk_fma_f32 v[10:11], v[70:71], v[106:107], v[10:11] op_sel_hi:[0,1,1]
	v_mov_b32_e32 v106, v48
	v_pk_fma_f32 v[10:11], v[0:1], v[108:109], v[10:11] op_sel_hi:[0,1,1]
	v_mov_b32_e32 v109, v48
	s_waitcnt vmcnt(0)
	v_pk_fma_f32 v[10:11], v[64:65], v[106:107], v[10:11] op_sel_hi:[0,1,1]
	v_mov_b32_e32 v106, v44
	v_pk_fma_f32 v[10:11], v[64:65], v[108:109], v[10:11] op_sel:[1,0,0]
	v_mov_b32_e32 v2, v67
	v_mov_b32_e32 v109, v44
	v_pk_fma_f32 v[10:11], v[66:67], v[106:107], v[10:11] op_sel_hi:[0,1,1]
	v_mov_b32_e32 v106, v57
	v_pk_fma_f32 v[102:103], v[2:3], v[108:109], v[10:11] op_sel_hi:[0,1,1]
	v_pk_fma_f32 v[4:5], v[68:69], v[106:107], v[4:5] op_sel_hi:[0,1,1]
	v_mov_b32_e32 v109, v57
	v_mov_b32_e32 v106, v53
	v_pk_fma_f32 v[4:5], v[68:69], v[108:109], v[4:5] op_sel:[1,0,0]
	v_mov_b32_e32 v109, v53
	v_pk_fma_f32 v[4:5], v[70:71], v[106:107], v[4:5] op_sel_hi:[0,1,1]
	v_mov_b32_e32 v106, v49
	v_pk_fma_f32 v[4:5], v[0:1], v[108:109], v[4:5] op_sel_hi:[0,1,1]
	v_mov_b32_e32 v109, v49
	v_pk_fma_f32 v[4:5], v[64:65], v[106:107], v[4:5] op_sel_hi:[0,1,1]
	v_mov_b32_e32 v106, v45
	v_pk_fma_f32 v[4:5], v[64:65], v[108:109], v[4:5] op_sel:[1,0,0]
	v_mov_b32_e32 v109, v45
	v_pk_fma_f32 v[4:5], v[66:67], v[106:107], v[4:5] op_sel_hi:[0,1,1]
	v_mov_b32_e32 v106, v58
	v_pk_fma_f32 v[104:105], v[2:3], v[108:109], v[4:5] op_sel_hi:[0,1,1]
	v_pk_fma_f32 v[4:5], v[68:69], v[106:107], v[8:9] op_sel_hi:[0,1,1]
	v_mov_b32_e32 v109, v58
	v_mov_b32_e32 v106, v54
	v_pk_fma_f32 v[4:5], v[68:69], v[108:109], v[4:5] op_sel:[1,0,0]
	v_mov_b32_e32 v109, v54
	v_pk_fma_f32 v[4:5], v[70:71], v[106:107], v[4:5] op_sel_hi:[0,1,1]
	v_mov_b32_e32 v106, v50
	v_pk_fma_f32 v[4:5], v[0:1], v[108:109], v[4:5] op_sel_hi:[0,1,1]
	v_mov_b32_e32 v109, v50
	v_pk_fma_f32 v[4:5], v[64:65], v[106:107], v[4:5] op_sel_hi:[0,1,1]
	v_mov_b32_e32 v106, v46
	v_pk_fma_f32 v[4:5], v[64:65], v[108:109], v[4:5] op_sel:[1,0,0]
	v_mov_b32_e32 v109, v46
	v_pk_fma_f32 v[4:5], v[66:67], v[106:107], v[4:5] op_sel_hi:[0,1,1]
	v_mov_b32_e32 v106, v59
	v_pk_fma_f32 v[100:101], v[2:3], v[108:109], v[4:5] op_sel_hi:[0,1,1]
	v_pk_fma_f32 v[4:5], v[68:69], v[106:107], v[6:7] op_sel_hi:[0,1,1]
	v_mov_b32_e32 v109, v59
	v_mov_b32_e32 v106, v55
	v_pk_fma_f32 v[4:5], v[68:69], v[108:109], v[4:5] op_sel:[1,0,0]
	v_mov_b32_e32 v109, v55
	v_pk_fma_f32 v[4:5], v[70:71], v[106:107], v[4:5] op_sel_hi:[0,1,1]
	v_mov_b32_e32 v106, v51
	v_pk_fma_f32 v[0:1], v[0:1], v[108:109], v[4:5] op_sel_hi:[0,1,1]
	v_mov_b32_e32 v109, v51
	v_pk_fma_f32 v[0:1], v[64:65], v[106:107], v[0:1] op_sel_hi:[0,1,1]
	v_mov_b32_e32 v106, v47
	v_pk_fma_f32 v[0:1], v[64:65], v[108:109], v[0:1] op_sel:[1,0,0]
	v_mov_b32_e32 v109, v47
	v_pk_fma_f32 v[0:1], v[66:67], v[106:107], v[0:1] op_sel_hi:[0,1,1]
	v_pk_fma_f32 v[98:99], v[2:3], v[108:109], v[0:1] op_sel_hi:[0,1,1]
	s_andn2_b64 exec, exec, s[10:11]
	s_cbranch_execnz .LBB122_39
; %bb.40:
	s_or_b64 exec, exec, s[10:11]
.LBB122_41:
	s_or_b64 exec, exec, s[0:1]
.LBB122_42:
	s_or_b64 exec, exec, s[8:9]
.LBB122_43:
	v_mov_b32_dpp v6, v105 row_shr:1 row_mask:0xf bank_mask:0xf
	v_add_f32_e32 v6, v105, v6
	v_mov_b32_dpp v0, v102 row_shr:1 row_mask:0xf bank_mask:0xf
	v_mov_b32_dpp v2, v103 row_shr:1 row_mask:0xf bank_mask:0xf
	;; [unrolled: 1-line block ×3, first 2 shown]
	v_add_f32_e32 v6, v6, v7
	v_mov_b32_dpp v4, v104 row_shr:1 row_mask:0xf bank_mask:0xf
	v_add_f32_e32 v0, v102, v0
	v_mov_b32_dpp v7, v6 row_shr:4 row_mask:0xf bank_mask:0xe
	v_add_f32_e32 v7, v6, v7
	v_mov_b32_dpp v6, v100 row_shr:1 row_mask:0xf bank_mask:0xf
	v_add_f32_e32 v6, v100, v6
	v_add_f32_e32 v2, v103, v2
	v_add_f32_e32 v4, v104, v4
	v_mov_b32_dpp v8, v6 row_shr:2 row_mask:0xf bank_mask:0xf
	v_add_f32_e32 v6, v6, v8
	v_mov_b32_dpp v1, v0 row_shr:2 row_mask:0xf bank_mask:0xf
	v_mov_b32_dpp v3, v2 row_shr:2 row_mask:0xf bank_mask:0xf
	;; [unrolled: 1-line block ×3, first 2 shown]
	v_add_f32_e32 v10, v6, v8
	v_mov_b32_dpp v6, v101 row_shr:1 row_mask:0xf bank_mask:0xf
	v_add_f32_e32 v6, v101, v6
	v_mov_b32_dpp v5, v4 row_shr:2 row_mask:0xf bank_mask:0xf
	;; [unrolled: 2-line block ×3, first 2 shown]
	v_add_f32_e32 v6, v6, v8
	v_add_f32_e32 v2, v2, v3
	;; [unrolled: 1-line block ×3, first 2 shown]
	v_mov_b32_dpp v8, v6 row_shr:4 row_mask:0xf bank_mask:0xe
	v_add_f32_e32 v13, v6, v8
	v_mov_b32_dpp v6, v98 row_shr:1 row_mask:0xf bank_mask:0xf
	v_add_f32_e32 v6, v98, v6
	v_mov_b32_dpp v1, v0 row_shr:4 row_mask:0xf bank_mask:0xe
	v_mov_b32_dpp v3, v2 row_shr:4 row_mask:0xf bank_mask:0xe
	v_mov_b32_dpp v8, v6 row_shr:2 row_mask:0xf bank_mask:0xf
	v_add_f32_e32 v6, v6, v8
	v_mov_b32_dpp v5, v4 row_shr:4 row_mask:0xf bank_mask:0xe
	v_add_f32_e32 v0, v0, v1
	v_mov_b32_dpp v8, v6 row_shr:4 row_mask:0xf bank_mask:0xe
	;; [unrolled: 2-line block ×3, first 2 shown]
	v_add_f32_e32 v6, v99, v6
	v_add_f32_e32 v2, v2, v3
	;; [unrolled: 1-line block ×3, first 2 shown]
	v_mov_b32_dpp v8, v6 row_shr:2 row_mask:0xf bank_mask:0xf
	v_add_f32_e32 v6, v6, v8
	v_mov_b32_dpp v1, v0 row_shr:8 row_mask:0xf bank_mask:0xc
	v_mov_b32_dpp v3, v2 row_shr:8 row_mask:0xf bank_mask:0xc
	;; [unrolled: 1-line block ×3, first 2 shown]
	v_add_f32_e32 v18, v6, v8
	v_mov_b32_dpp v5, v4 row_shr:8 row_mask:0xf bank_mask:0xc
	v_mov_b32_dpp v9, v7 row_shr:8 row_mask:0xf bank_mask:0xc
	;; [unrolled: 1-line block ×6, first 2 shown]
	v_cmp_eq_u32_e32 vcc, 15, v93
	s_and_b64 exec, exec, vcc
	s_cbranch_execz .LBB122_14
; %bb.44:
	s_load_dwordx2 s[2:3], s[4:5], 0x50
	v_add_f32_e32 v8, v0, v1
	v_and_b32_e32 v1, 0x7fffffff, v90
	v_cmp_eq_u32_e32 vcc, 0, v1
	v_cmp_eq_f32_e64 s[0:1], 0, v91
	v_add_f32_e32 v14, v2, v3
	v_add_f32_e32 v6, v4, v5
	;; [unrolled: 1-line block ×7, first 2 shown]
	s_and_b64 s[0:1], vcc, s[0:1]
	v_lshlrev_b32_e32 v16, 2, v92
	s_and_saveexec_b64 s[4:5], s[0:1]
	s_xor_b64 s[0:1], exec, s[4:5]
	s_cbranch_execz .LBB122_46
; %bb.45:
	v_xor_b32_e32 v18, 0x80000000, v89
	v_ashrrev_i32_e32 v17, 31, v16
	v_mov_b32_e32 v19, v88
	v_lshlrev_b64 v[16:17], 3, v[16:17]
	v_pk_mul_f32 v[14:15], v[14:15], v[18:19] op_sel_hi:[0,1]
	s_waitcnt lgkmcnt(0)
	v_mov_b32_e32 v1, s3
	v_add_co_u32_e32 v20, vcc, s2, v16
	v_pk_fma_f32 v[14:15], v[88:89], v[8:9], v[14:15] op_sel_hi:[1,0,1]
	v_pk_mul_f32 v[8:9], v[12:13], v[18:19] op_sel_hi:[0,1]
	v_addc_co_u32_e32 v21, vcc, v1, v17, vcc
	v_pk_fma_f32 v[16:17], v[88:89], v[6:7], v[8:9] op_sel_hi:[1,0,1]
	v_pk_mul_f32 v[6:7], v[10:11], v[18:19] op_sel_hi:[0,1]
	v_pk_mul_f32 v[4:5], v[4:5], v[18:19] op_sel_hi:[0,1]
	v_pk_fma_f32 v[2:3], v[88:89], v[2:3], v[6:7] op_sel_hi:[1,0,1]
	v_pk_fma_f32 v[4:5], v[88:89], v[0:1], v[4:5] op_sel_hi:[1,0,1]
	global_store_dwordx4 v[20:21], v[14:17], off
	global_store_dwordx4 v[20:21], v[2:5], off offset:16
                                        ; implicit-def: $vgpr89
                                        ; implicit-def: $vgpr90
                                        ; implicit-def: $vgpr8
                                        ; implicit-def: $vgpr14
                                        ; implicit-def: $vgpr6
                                        ; implicit-def: $vgpr12
                                        ; implicit-def: $vgpr2
                                        ; implicit-def: $vgpr10
                                        ; implicit-def: $vgpr0
                                        ; implicit-def: $vgpr4
                                        ; implicit-def: $vgpr16
.LBB122_46:
	s_andn2_saveexec_b64 s[0:1], s[0:1]
	s_cbranch_execz .LBB122_14
; %bb.47:
	v_ashrrev_i32_e32 v17, 31, v16
	v_lshlrev_b64 v[16:17], 3, v[16:17]
	s_waitcnt lgkmcnt(0)
	v_mov_b32_e32 v1, s3
	v_add_co_u32_e32 v24, vcc, s2, v16
	v_addc_co_u32_e32 v25, vcc, v1, v17, vcc
	global_load_dwordx4 v[16:19], v[24:25], off
	global_load_dwordx4 v[20:23], v[24:25], off offset:16
	v_xor_b32_e32 v26, 0x80000000, v89
	v_mov_b32_e32 v27, v88
	v_pk_mul_f32 v[14:15], v[14:15], v[26:27] op_sel_hi:[0,1]
	v_pk_mul_f32 v[12:13], v[12:13], v[26:27] op_sel_hi:[0,1]
	;; [unrolled: 1-line block ×4, first 2 shown]
	v_pk_fma_f32 v[8:9], v[88:89], v[8:9], v[14:15] op_sel_hi:[1,0,1]
	v_pk_fma_f32 v[6:7], v[88:89], v[6:7], v[12:13] op_sel_hi:[1,0,1]
	v_xor_b32_e32 v28, 0x80000000, v91
	v_mov_b32_e32 v29, v90
	v_pk_fma_f32 v[2:3], v[88:89], v[2:3], v[10:11] op_sel_hi:[1,0,1]
	v_pk_fma_f32 v[0:1], v[88:89], v[0:1], v[4:5] op_sel_hi:[1,0,1]
	s_waitcnt vmcnt(1)
	v_pk_fma_f32 v[4:5], v[90:91], v[16:17], v[8:9] op_sel_hi:[1,0,1]
	v_pk_fma_f32 v[6:7], v[90:91], v[18:19], v[6:7] op_sel_hi:[1,0,1]
	v_mov_b32_e32 v8, v19
	s_waitcnt vmcnt(0)
	v_pk_fma_f32 v[10:11], v[90:91], v[20:21], v[2:3] op_sel_hi:[1,0,1]
	v_pk_fma_f32 v[12:13], v[90:91], v[22:23], v[0:1] op_sel_hi:[1,0,1]
	v_mov_b32_e32 v14, v23
	v_pk_fma_f32 v[0:1], v[28:29], v[16:17], v[4:5] op_sel:[0,1,0]
	v_pk_fma_f32 v[2:3], v[28:29], v[8:9], v[6:7] op_sel_hi:[1,0,1]
	v_pk_fma_f32 v[4:5], v[28:29], v[20:21], v[10:11] op_sel:[0,1,0]
	v_pk_fma_f32 v[6:7], v[28:29], v[14:15], v[12:13] op_sel_hi:[1,0,1]
	global_store_dwordx4 v[24:25], v[0:3], off
	global_store_dwordx4 v[24:25], v[4:7], off offset:16
	s_endpgm
	.section	.rodata,"a",@progbits
	.p2align	6, 0x0
	.amdhsa_kernel _ZN9rocsparseL18bsrxmvn_4x4_kernelILj128ELj16E21rocsparse_complex_numIfEiifS2_S2_EEvT3_20rocsparse_direction_NS_24const_host_device_scalarIT1_EES3_PKS3_PKT2_SC_S9_PKT4_PKT5_S7_PT6_21rocsparse_index_base_b
		.amdhsa_group_segment_fixed_size 0
		.amdhsa_private_segment_fixed_size 0
		.amdhsa_kernarg_size 96
		.amdhsa_user_sgpr_count 6
		.amdhsa_user_sgpr_private_segment_buffer 1
		.amdhsa_user_sgpr_dispatch_ptr 0
		.amdhsa_user_sgpr_queue_ptr 0
		.amdhsa_user_sgpr_kernarg_segment_ptr 1
		.amdhsa_user_sgpr_dispatch_id 0
		.amdhsa_user_sgpr_flat_scratch_init 0
		.amdhsa_user_sgpr_kernarg_preload_length 0
		.amdhsa_user_sgpr_kernarg_preload_offset 0
		.amdhsa_user_sgpr_private_segment_size 0
		.amdhsa_uses_dynamic_stack 0
		.amdhsa_system_sgpr_private_segment_wavefront_offset 0
		.amdhsa_system_sgpr_workgroup_id_x 1
		.amdhsa_system_sgpr_workgroup_id_y 0
		.amdhsa_system_sgpr_workgroup_id_z 0
		.amdhsa_system_sgpr_workgroup_info 0
		.amdhsa_system_vgpr_workitem_id 0
		.amdhsa_next_free_vgpr 130
		.amdhsa_next_free_sgpr 16
		.amdhsa_accum_offset 132
		.amdhsa_reserve_vcc 1
		.amdhsa_reserve_flat_scratch 0
		.amdhsa_float_round_mode_32 0
		.amdhsa_float_round_mode_16_64 0
		.amdhsa_float_denorm_mode_32 3
		.amdhsa_float_denorm_mode_16_64 3
		.amdhsa_dx10_clamp 1
		.amdhsa_ieee_mode 1
		.amdhsa_fp16_overflow 0
		.amdhsa_tg_split 0
		.amdhsa_exception_fp_ieee_invalid_op 0
		.amdhsa_exception_fp_denorm_src 0
		.amdhsa_exception_fp_ieee_div_zero 0
		.amdhsa_exception_fp_ieee_overflow 0
		.amdhsa_exception_fp_ieee_underflow 0
		.amdhsa_exception_fp_ieee_inexact 0
		.amdhsa_exception_int_div_zero 0
	.end_amdhsa_kernel
	.section	.text._ZN9rocsparseL18bsrxmvn_4x4_kernelILj128ELj16E21rocsparse_complex_numIfEiifS2_S2_EEvT3_20rocsparse_direction_NS_24const_host_device_scalarIT1_EES3_PKS3_PKT2_SC_S9_PKT4_PKT5_S7_PT6_21rocsparse_index_base_b,"axG",@progbits,_ZN9rocsparseL18bsrxmvn_4x4_kernelILj128ELj16E21rocsparse_complex_numIfEiifS2_S2_EEvT3_20rocsparse_direction_NS_24const_host_device_scalarIT1_EES3_PKS3_PKT2_SC_S9_PKT4_PKT5_S7_PT6_21rocsparse_index_base_b,comdat
.Lfunc_end122:
	.size	_ZN9rocsparseL18bsrxmvn_4x4_kernelILj128ELj16E21rocsparse_complex_numIfEiifS2_S2_EEvT3_20rocsparse_direction_NS_24const_host_device_scalarIT1_EES3_PKS3_PKT2_SC_S9_PKT4_PKT5_S7_PT6_21rocsparse_index_base_b, .Lfunc_end122-_ZN9rocsparseL18bsrxmvn_4x4_kernelILj128ELj16E21rocsparse_complex_numIfEiifS2_S2_EEvT3_20rocsparse_direction_NS_24const_host_device_scalarIT1_EES3_PKS3_PKT2_SC_S9_PKT4_PKT5_S7_PT6_21rocsparse_index_base_b
                                        ; -- End function
	.section	.AMDGPU.csdata,"",@progbits
; Kernel info:
; codeLenInByte = 7044
; NumSgprs: 20
; NumVgprs: 130
; NumAgprs: 0
; TotalNumVgprs: 130
; ScratchSize: 0
; MemoryBound: 0
; FloatMode: 240
; IeeeMode: 1
; LDSByteSize: 0 bytes/workgroup (compile time only)
; SGPRBlocks: 2
; VGPRBlocks: 16
; NumSGPRsForWavesPerEU: 20
; NumVGPRsForWavesPerEU: 130
; AccumOffset: 132
; Occupancy: 3
; WaveLimiterHint : 1
; COMPUTE_PGM_RSRC2:SCRATCH_EN: 0
; COMPUTE_PGM_RSRC2:USER_SGPR: 6
; COMPUTE_PGM_RSRC2:TRAP_HANDLER: 0
; COMPUTE_PGM_RSRC2:TGID_X_EN: 1
; COMPUTE_PGM_RSRC2:TGID_Y_EN: 0
; COMPUTE_PGM_RSRC2:TGID_Z_EN: 0
; COMPUTE_PGM_RSRC2:TIDIG_COMP_CNT: 0
; COMPUTE_PGM_RSRC3_GFX90A:ACCUM_OFFSET: 32
; COMPUTE_PGM_RSRC3_GFX90A:TG_SPLIT: 0
	.section	.text._ZN9rocsparseL18bsrxmvn_4x4_kernelILj128ELj32E21rocsparse_complex_numIfEiifS2_S2_EEvT3_20rocsparse_direction_NS_24const_host_device_scalarIT1_EES3_PKS3_PKT2_SC_S9_PKT4_PKT5_S7_PT6_21rocsparse_index_base_b,"axG",@progbits,_ZN9rocsparseL18bsrxmvn_4x4_kernelILj128ELj32E21rocsparse_complex_numIfEiifS2_S2_EEvT3_20rocsparse_direction_NS_24const_host_device_scalarIT1_EES3_PKS3_PKT2_SC_S9_PKT4_PKT5_S7_PT6_21rocsparse_index_base_b,comdat
	.globl	_ZN9rocsparseL18bsrxmvn_4x4_kernelILj128ELj32E21rocsparse_complex_numIfEiifS2_S2_EEvT3_20rocsparse_direction_NS_24const_host_device_scalarIT1_EES3_PKS3_PKT2_SC_S9_PKT4_PKT5_S7_PT6_21rocsparse_index_base_b ; -- Begin function _ZN9rocsparseL18bsrxmvn_4x4_kernelILj128ELj32E21rocsparse_complex_numIfEiifS2_S2_EEvT3_20rocsparse_direction_NS_24const_host_device_scalarIT1_EES3_PKS3_PKT2_SC_S9_PKT4_PKT5_S7_PT6_21rocsparse_index_base_b
	.p2align	8
	.type	_ZN9rocsparseL18bsrxmvn_4x4_kernelILj128ELj32E21rocsparse_complex_numIfEiifS2_S2_EEvT3_20rocsparse_direction_NS_24const_host_device_scalarIT1_EES3_PKS3_PKT2_SC_S9_PKT4_PKT5_S7_PT6_21rocsparse_index_base_b,@function
_ZN9rocsparseL18bsrxmvn_4x4_kernelILj128ELj32E21rocsparse_complex_numIfEiifS2_S2_EEvT3_20rocsparse_direction_NS_24const_host_device_scalarIT1_EES3_PKS3_PKT2_SC_S9_PKT4_PKT5_S7_PT6_21rocsparse_index_base_b: ; @_ZN9rocsparseL18bsrxmvn_4x4_kernelILj128ELj32E21rocsparse_complex_numIfEiifS2_S2_EEvT3_20rocsparse_direction_NS_24const_host_device_scalarIT1_EES3_PKS3_PKT2_SC_S9_PKT4_PKT5_S7_PT6_21rocsparse_index_base_b
; %bb.0:
	s_load_dwordx2 s[16:17], s[4:5], 0x58
	s_load_dwordx2 s[8:9], s[4:5], 0x8
	;; [unrolled: 1-line block ×3, first 2 shown]
	s_waitcnt lgkmcnt(0)
	s_bitcmp1_b32 s17, 0
	s_cselect_b64 s[0:1], -1, 0
	s_xor_b64 s[10:11], s[0:1], -1
	s_and_b64 vcc, exec, s[0:1]
	v_mov_b32_e32 v88, s8
	s_cbranch_vccnz .LBB123_2
; %bb.1:
	v_pk_mov_b32 v[2:3], s[8:9], s[8:9] op_sel:[0,1]
	flat_load_dword v88, v[2:3]
.LBB123_2:
	v_cndmask_b32_e64 v1, 0, 1, s[10:11]
	v_cmp_ne_u32_e64 s[0:1], 1, v1
	s_andn2_b64 vcc, exec, s[10:11]
	v_mov_b32_e32 v89, s9
	s_cbranch_vccz .LBB123_15
; %bb.3:
	s_and_b64 vcc, exec, s[0:1]
	v_mov_b32_e32 v90, s2
	s_cbranch_vccz .LBB123_16
.LBB123_4:
	s_and_b64 vcc, exec, s[0:1]
	v_mov_b32_e32 v91, s3
	s_cbranch_vccnz .LBB123_6
.LBB123_5:
	v_pk_mov_b32 v[2:3], s[2:3], s[2:3] op_sel:[0,1]
	flat_load_dword v91, v[2:3] offset:4
.LBB123_6:
	s_waitcnt vmcnt(0) lgkmcnt(0)
	v_and_b32_e32 v1, 0x7fffffff, v88
	v_cmp_eq_u32_e32 vcc, 0, v1
	v_cmp_eq_f32_e64 s[0:1], 0, v89
	s_and_b64 s[8:9], vcc, s[0:1]
	s_mov_b64 s[0:1], -1
	s_and_saveexec_b64 s[2:3], s[8:9]
; %bb.7:
	v_and_b32_e32 v1, 0x7fffffff, v91
	v_cmp_neq_f32_e32 vcc, 1.0, v90
	v_cmp_ne_u32_e64 s[0:1], 0, v1
	s_or_b64 s[0:1], vcc, s[0:1]
	s_orn2_b64 s[0:1], s[0:1], exec
; %bb.8:
	s_or_b64 exec, exec, s[2:3]
	s_and_saveexec_b64 s[2:3], s[0:1]
	s_cbranch_execz .LBB123_14
; %bb.9:
	s_load_dwordx2 s[8:9], s[4:5], 0x18
	s_load_dwordx2 s[0:1], s[4:5], 0x0
	v_lshrrev_b32_e32 v1, 5, v0
	v_lshl_or_b32 v92, s6, 2, v1
	s_mov_b64 s[2:3], 0
	s_waitcnt lgkmcnt(0)
	s_cmp_lg_u64 s[8:9], 0
	s_cbranch_scc0 .LBB123_17
; %bb.10:
	s_load_dword s6, s[4:5], 0x10
                                        ; implicit-def: $vgpr1
	s_waitcnt lgkmcnt(0)
	v_cmp_gt_i32_e32 vcc, s6, v92
	s_and_saveexec_b64 s[6:7], vcc
	s_xor_b64 s[6:7], exec, s[6:7]
	s_cbranch_execz .LBB123_12
; %bb.11:
	v_ashrrev_i32_e32 v93, 31, v92
	v_lshlrev_b64 v[2:3], 2, v[92:93]
	v_mov_b32_e32 v1, s9
	v_add_co_u32_e32 v2, vcc, s8, v2
	v_addc_co_u32_e32 v3, vcc, v1, v3, vcc
	global_load_dword v1, v[2:3], off
	s_mov_b64 s[2:3], exec
	s_waitcnt vmcnt(0)
	v_subrev_u32_e32 v1, s16, v1
.LBB123_12:
	s_or_b64 exec, exec, s[6:7]
	s_branch .LBB123_18
.LBB123_13:
	v_cmp_gt_i32_e32 vcc, s0, v92
	s_andn2_b64 s[2:3], s[2:3], exec
	s_and_b64 s[6:7], vcc, exec
	s_or_b64 s[2:3], s[2:3], s[6:7]
	s_and_b64 exec, exec, s[2:3]
	s_cbranch_execnz .LBB123_19
.LBB123_14:
	s_endpgm
.LBB123_15:
	v_pk_mov_b32 v[2:3], s[8:9], s[8:9] op_sel:[0,1]
	flat_load_dword v89, v[2:3] offset:4
	s_and_b64 vcc, exec, s[0:1]
	v_mov_b32_e32 v90, s2
	s_cbranch_vccnz .LBB123_4
.LBB123_16:
	v_pk_mov_b32 v[2:3], s[2:3], s[2:3] op_sel:[0,1]
	flat_load_dword v90, v[2:3]
	s_and_b64 vcc, exec, s[0:1]
	v_mov_b32_e32 v91, s3
	s_cbranch_vccz .LBB123_5
	s_branch .LBB123_6
.LBB123_17:
                                        ; implicit-def: $vgpr1
	s_cbranch_execnz .LBB123_13
.LBB123_18:
	v_mov_b32_e32 v92, v1
	s_and_b64 exec, exec, s[2:3]
	s_cbranch_execz .LBB123_14
.LBB123_19:
	s_load_dwordx8 s[8:15], s[4:5], 0x20
	v_ashrrev_i32_e32 v93, 31, v92
	v_lshlrev_b64 v[2:3], 2, v[92:93]
	v_and_b32_e32 v93, 31, v0
	s_load_dwordx2 s[6:7], s[4:5], 0x40
	s_waitcnt lgkmcnt(0)
	v_mov_b32_e32 v1, s9
	v_add_co_u32_e32 v4, vcc, s8, v2
	v_addc_co_u32_e32 v5, vcc, v1, v3, vcc
	v_add_co_u32_e32 v1, vcc, 4, v4
	global_load_dword v10, v[4:5], off
	v_addc_co_u32_e32 v4, vcc, 0, v5, vcc
	v_mov_b32_e32 v5, s11
	v_add_co_u32_e32 v2, vcc, s10, v2
	s_cmp_eq_u64 s[10:11], 0
	v_addc_co_u32_e32 v3, vcc, v5, v3, vcc
	s_cselect_b64 vcc, -1, 0
	v_cndmask_b32_e32 v3, v3, v4, vcc
	v_cndmask_b32_e32 v2, v2, v1, vcc
	global_load_dword v1, v[2:3], off
	v_mov_b32_e32 v2, s15
	s_cmp_eq_u32 s1, 1
	s_waitcnt vmcnt(1)
	v_subrev_u32_e32 v0, s16, v10
	v_add_u32_e32 v94, v0, v93
	v_ashrrev_i32_e32 v95, 31, v94
	s_waitcnt vmcnt(0)
	v_subrev_u32_e32 v111, s16, v1
	v_lshlrev_b64 v[0:1], 6, v[94:95]
	v_add_co_u32_e32 v96, vcc, s14, v0
	v_addc_co_u32_e32 v97, vcc, v2, v1, vcc
	v_cmp_lt_i32_e64 s[0:1], v94, v111
	s_cbranch_scc1 .LBB123_31
; %bb.20:
	s_mov_b32 s2, 0
	v_mov_b32_e32 v105, 0
	v_mov_b32_e32 v104, 0
	;; [unrolled: 1-line block ×8, first 2 shown]
	s_and_saveexec_b64 s[8:9], s[0:1]
	s_cbranch_execz .LBB123_30
; %bb.21:
	v_add_u32_e32 v0, v10, v93
	v_subrev_u32_e32 v0, s16, v0
	v_add_u32_e32 v0, 32, v0
	v_max_i32_e32 v0, v0, v111
	v_not_b32_e32 v1, v10
	v_add3_u32 v0, v0, s16, v1
	v_sub_u32_e32 v8, v0, v93
	v_lshrrev_b32_e32 v0, 5, v8
	v_add_u32_e32 v0, 1, v0
	v_and_b32_e32 v1, 3, v0
	s_mov_b32 s3, s2
	v_cmp_ne_u32_e32 vcc, 0, v1
	v_pk_mov_b32 v[104:105], s[2:3], s[2:3] op_sel:[0,1]
	v_pk_mov_b32 v[102:103], s[2:3], s[2:3] op_sel:[0,1]
	;; [unrolled: 1-line block ×5, first 2 shown]
	v_mov_b32_e32 v0, v94
	s_and_saveexec_b64 s[2:3], vcc
	s_cbranch_execz .LBB123_25
; %bb.22:
	v_mov_b32_e32 v5, 0
	v_lshlrev_b32_e32 v9, 6, v1
	s_mov_b64 s[10:11], 0
	v_mov_b32_e32 v11, s13
	v_mov_b32_e32 v12, s7
	s_movk_i32 s14, 0x800
	v_bfrev_b32_e32 v6, 1
	v_mov_b32_e32 v0, v94
	v_pk_mov_b32 v[2:3], v[96:97], v[96:97] op_sel:[0,1]
	v_mov_b32_e32 v98, v5
	v_mov_b32_e32 v99, v5
	;; [unrolled: 1-line block ×8, first 2 shown]
.LBB123_23:                             ; =>This Inner Loop Header: Depth=1
	v_ashrrev_i32_e32 v1, 31, v0
	v_lshlrev_b64 v[14:15], 2, v[0:1]
	v_add_co_u32_e32 v22, vcc, s12, v14
	v_addc_co_u32_e32 v23, vcc, v11, v15, vcc
	global_load_dword v1, v[22:23], off
	global_load_dwordx4 v[14:17], v[2:3], off offset:16
	global_load_dwordx4 v[18:21], v[2:3], off
	v_subrev_u32_e32 v9, 64, v9
	v_add_u32_e32 v0, 32, v0
	s_waitcnt vmcnt(2)
	v_subrev_u32_e32 v1, s16, v1
	v_lshlrev_b32_e32 v22, 2, v1
	v_ashrrev_i32_e32 v23, 31, v22
	v_lshlrev_b64 v[22:23], 3, v[22:23]
	v_add_co_u32_e32 v38, vcc, s6, v22
	v_addc_co_u32_e32 v39, vcc, v12, v23, vcc
	global_load_dwordx4 v[22:25], v[38:39], off
	global_load_dwordx4 v[26:29], v[38:39], off offset:16
	global_load_dwordx4 v[30:33], v[2:3], off offset:32
	;; [unrolled: 1-line block ×3, first 2 shown]
	s_waitcnt vmcnt(4)
	v_mov_b32_e32 v4, v18
	v_mov_b32_e32 v7, v18
	v_add_co_u32_e32 v2, vcc, s14, v2
	v_addc_co_u32_e32 v3, vcc, 0, v3, vcc
	v_cmp_eq_u32_e32 vcc, 0, v9
	s_or_b64 s[10:11], vcc, s[10:11]
	s_waitcnt vmcnt(3)
	v_pk_fma_f32 v[38:39], v[22:23], v[4:5], v[104:105] op_sel_hi:[0,1,1]
	v_mov_b32_e32 v4, v19
	v_pk_fma_f32 v[38:39], v[22:23], v[6:7], v[38:39] op_sel:[1,0,0]
	v_mov_b32_e32 v18, v25
	v_mov_b32_e32 v7, v19
	v_pk_fma_f32 v[38:39], v[24:25], v[4:5], v[38:39] op_sel_hi:[0,1,1]
	v_mov_b32_e32 v4, v20
	v_pk_fma_f32 v[38:39], v[18:19], v[6:7], v[38:39] op_sel_hi:[0,1,1]
	v_mov_b32_e32 v7, v20
	s_waitcnt vmcnt(2)
	v_pk_fma_f32 v[38:39], v[26:27], v[4:5], v[38:39] op_sel_hi:[0,1,1]
	v_mov_b32_e32 v4, v21
	v_pk_fma_f32 v[38:39], v[26:27], v[6:7], v[38:39] op_sel:[1,0,0]
	v_mov_b32_e32 v40, v29
	v_mov_b32_e32 v7, v21
	v_pk_fma_f32 v[20:21], v[28:29], v[4:5], v[38:39] op_sel_hi:[0,1,1]
	v_mov_b32_e32 v4, v14
	v_pk_fma_f32 v[104:105], v[40:41], v[6:7], v[20:21] op_sel_hi:[0,1,1]
	v_pk_fma_f32 v[20:21], v[22:23], v[4:5], v[102:103] op_sel_hi:[0,1,1]
	v_mov_b32_e32 v7, v14
	v_mov_b32_e32 v4, v15
	v_pk_fma_f32 v[20:21], v[22:23], v[6:7], v[20:21] op_sel:[1,0,0]
	v_mov_b32_e32 v7, v15
	v_pk_fma_f32 v[14:15], v[24:25], v[4:5], v[20:21] op_sel_hi:[0,1,1]
	v_mov_b32_e32 v4, v16
	v_pk_fma_f32 v[14:15], v[18:19], v[6:7], v[14:15] op_sel_hi:[0,1,1]
	;; [unrolled: 2-line block ×3, first 2 shown]
	v_mov_b32_e32 v4, v17
	v_pk_fma_f32 v[14:15], v[26:27], v[6:7], v[14:15] op_sel:[1,0,0]
	v_mov_b32_e32 v7, v17
	v_pk_fma_f32 v[14:15], v[28:29], v[4:5], v[14:15] op_sel_hi:[0,1,1]
	s_waitcnt vmcnt(1)
	v_mov_b32_e32 v4, v30
	v_pk_fma_f32 v[102:103], v[40:41], v[6:7], v[14:15] op_sel_hi:[0,1,1]
	v_pk_fma_f32 v[14:15], v[22:23], v[4:5], v[100:101] op_sel_hi:[0,1,1]
	v_mov_b32_e32 v7, v30
	v_mov_b32_e32 v4, v31
	v_pk_fma_f32 v[14:15], v[22:23], v[6:7], v[14:15] op_sel:[1,0,0]
	v_mov_b32_e32 v7, v31
	v_pk_fma_f32 v[14:15], v[24:25], v[4:5], v[14:15] op_sel_hi:[0,1,1]
	v_mov_b32_e32 v4, v32
	v_pk_fma_f32 v[14:15], v[18:19], v[6:7], v[14:15] op_sel_hi:[0,1,1]
	;; [unrolled: 2-line block ×3, first 2 shown]
	v_mov_b32_e32 v4, v33
	v_pk_fma_f32 v[14:15], v[26:27], v[6:7], v[14:15] op_sel:[1,0,0]
	v_mov_b32_e32 v7, v33
	v_pk_fma_f32 v[14:15], v[28:29], v[4:5], v[14:15] op_sel_hi:[0,1,1]
	s_waitcnt vmcnt(0)
	v_mov_b32_e32 v4, v34
	v_pk_fma_f32 v[100:101], v[40:41], v[6:7], v[14:15] op_sel_hi:[0,1,1]
	v_pk_fma_f32 v[14:15], v[22:23], v[4:5], v[98:99] op_sel_hi:[0,1,1]
	v_mov_b32_e32 v7, v34
	v_mov_b32_e32 v4, v35
	v_pk_fma_f32 v[14:15], v[22:23], v[6:7], v[14:15] op_sel:[1,0,0]
	v_mov_b32_e32 v7, v35
	v_pk_fma_f32 v[14:15], v[24:25], v[4:5], v[14:15] op_sel_hi:[0,1,1]
	v_mov_b32_e32 v4, v36
	v_pk_fma_f32 v[14:15], v[18:19], v[6:7], v[14:15] op_sel_hi:[0,1,1]
	;; [unrolled: 2-line block ×3, first 2 shown]
	v_mov_b32_e32 v4, v37
	v_pk_fma_f32 v[14:15], v[26:27], v[6:7], v[14:15] op_sel:[1,0,0]
	v_mov_b32_e32 v7, v37
	v_pk_fma_f32 v[14:15], v[28:29], v[4:5], v[14:15] op_sel_hi:[0,1,1]
	v_pk_fma_f32 v[98:99], v[40:41], v[6:7], v[14:15] op_sel_hi:[0,1,1]
	s_andn2_b64 exec, exec, s[10:11]
	s_cbranch_execnz .LBB123_23
; %bb.24:
	s_or_b64 exec, exec, s[10:11]
.LBB123_25:
	s_or_b64 exec, exec, s[2:3]
	s_movk_i32 s2, 0x5f
	v_cmp_lt_u32_e32 vcc, s2, v8
	s_and_saveexec_b64 s[10:11], vcc
	s_cbranch_execz .LBB123_29
; %bb.26:
	s_mov_b64 s[14:15], 0
	v_mov_b32_e32 v11, s13
	v_mov_b32_e32 v12, s7
	s_movk_i32 s17, 0x1000
	v_mov_b32_e32 v5, 0
	v_bfrev_b32_e32 v6, 1
.LBB123_27:                             ; =>This Inner Loop Header: Depth=1
	v_ashrrev_i32_e32 v1, 31, v0
	v_lshlrev_b64 v[8:9], 2, v[0:1]
	v_add_co_u32_e32 v8, vcc, s12, v8
	v_addc_co_u32_e32 v9, vcc, v11, v9, vcc
	global_load_dword v1, v[8:9], off
	global_load_dwordx4 v[14:17], v[2:3], off offset:48
	global_load_dwordx4 v[18:21], v[2:3], off offset:32
	;; [unrolled: 1-line block ×3, first 2 shown]
	global_load_dwordx4 v[26:29], v[2:3], off
	v_add_u32_e32 v0, 0x80, v0
	v_cmp_ge_i32_e64 s[2:3], v0, v111
	s_or_b64 s[14:15], s[2:3], s[14:15]
	s_waitcnt vmcnt(4)
	v_subrev_u32_e32 v1, s16, v1
	v_lshlrev_b32_e32 v30, 2, v1
	v_ashrrev_i32_e32 v31, 31, v30
	v_lshlrev_b64 v[30:31], 3, v[30:31]
	v_add_co_u32_e32 v38, vcc, s6, v30
	v_addc_co_u32_e32 v39, vcc, v12, v31, vcc
	global_load_dwordx4 v[30:33], v[38:39], off offset:16
	global_load_dwordx4 v[34:37], v[38:39], off
	global_load_dword v1, v[8:9], off offset:128
	s_waitcnt vmcnt(3)
	v_mov_b32_e32 v4, v26
	v_mov_b32_e32 v7, v26
	s_waitcnt vmcnt(1)
	v_pk_fma_f32 v[38:39], v[34:35], v[4:5], v[104:105] op_sel_hi:[0,1,1]
	v_pk_fma_f32 v[38:39], v[34:35], v[6:7], v[38:39] op_sel:[1,0,0]
	v_mov_b32_e32 v4, v27
	v_pk_fma_f32 v[38:39], v[36:37], v[4:5], v[38:39] op_sel_hi:[0,1,1]
	v_mov_b32_e32 v26, v37
	v_mov_b32_e32 v7, v27
	v_pk_fma_f32 v[38:39], v[26:27], v[6:7], v[38:39] op_sel_hi:[0,1,1]
	v_mov_b32_e32 v4, v28
	v_pk_fma_f32 v[38:39], v[30:31], v[4:5], v[38:39] op_sel_hi:[0,1,1]
	v_mov_b32_e32 v7, v28
	v_pk_fma_f32 v[38:39], v[30:31], v[6:7], v[38:39] op_sel:[1,0,0]
	v_mov_b32_e32 v4, v29
	v_pk_fma_f32 v[38:39], v[32:33], v[4:5], v[38:39] op_sel_hi:[0,1,1]
	v_mov_b32_e32 v28, v33
	v_mov_b32_e32 v7, v29
	;; [unrolled: 1-line block ×3, first 2 shown]
	v_pk_fma_f32 v[38:39], v[28:29], v[6:7], v[38:39] op_sel_hi:[0,1,1]
	v_pk_fma_f32 v[40:41], v[34:35], v[4:5], v[102:103] op_sel_hi:[0,1,1]
	v_mov_b32_e32 v7, v22
	v_pk_fma_f32 v[40:41], v[34:35], v[6:7], v[40:41] op_sel:[1,0,0]
	v_mov_b32_e32 v4, v23
	v_pk_fma_f32 v[40:41], v[36:37], v[4:5], v[40:41] op_sel_hi:[0,1,1]
	v_mov_b32_e32 v7, v23
	v_pk_fma_f32 v[22:23], v[26:27], v[6:7], v[40:41] op_sel_hi:[0,1,1]
	;; [unrolled: 2-line block ×3, first 2 shown]
	v_mov_b32_e32 v7, v24
	v_pk_fma_f32 v[22:23], v[30:31], v[6:7], v[22:23] op_sel:[1,0,0]
	v_mov_b32_e32 v4, v25
	v_pk_fma_f32 v[22:23], v[32:33], v[4:5], v[22:23] op_sel_hi:[0,1,1]
	v_mov_b32_e32 v7, v25
	v_mov_b32_e32 v4, v18
	v_pk_fma_f32 v[40:41], v[28:29], v[6:7], v[22:23] op_sel_hi:[0,1,1]
	v_pk_fma_f32 v[22:23], v[34:35], v[4:5], v[100:101] op_sel_hi:[0,1,1]
	v_mov_b32_e32 v7, v18
	v_pk_fma_f32 v[22:23], v[34:35], v[6:7], v[22:23] op_sel:[1,0,0]
	v_mov_b32_e32 v4, v19
	v_pk_fma_f32 v[22:23], v[36:37], v[4:5], v[22:23] op_sel_hi:[0,1,1]
	v_mov_b32_e32 v7, v19
	v_pk_fma_f32 v[18:19], v[26:27], v[6:7], v[22:23] op_sel_hi:[0,1,1]
	;; [unrolled: 2-line block ×3, first 2 shown]
	v_mov_b32_e32 v7, v20
	v_pk_fma_f32 v[18:19], v[30:31], v[6:7], v[18:19] op_sel:[1,0,0]
	v_mov_b32_e32 v4, v21
	v_pk_fma_f32 v[18:19], v[32:33], v[4:5], v[18:19] op_sel_hi:[0,1,1]
	v_mov_b32_e32 v7, v21
	v_mov_b32_e32 v4, v14
	v_pk_fma_f32 v[42:43], v[28:29], v[6:7], v[18:19] op_sel_hi:[0,1,1]
	v_pk_fma_f32 v[18:19], v[34:35], v[4:5], v[98:99] op_sel_hi:[0,1,1]
	v_mov_b32_e32 v7, v14
	v_pk_fma_f32 v[18:19], v[34:35], v[6:7], v[18:19] op_sel:[1,0,0]
	v_mov_b32_e32 v4, v15
	v_pk_fma_f32 v[18:19], v[36:37], v[4:5], v[18:19] op_sel_hi:[0,1,1]
	v_mov_b32_e32 v7, v15
	v_pk_fma_f32 v[14:15], v[26:27], v[6:7], v[18:19] op_sel_hi:[0,1,1]
	;; [unrolled: 2-line block ×3, first 2 shown]
	v_mov_b32_e32 v7, v16
	s_waitcnt vmcnt(0)
	v_subrev_u32_e32 v1, s16, v1
	v_pk_fma_f32 v[14:15], v[30:31], v[6:7], v[14:15] op_sel:[1,0,0]
	v_lshlrev_b32_e32 v30, 2, v1
	v_ashrrev_i32_e32 v31, 31, v30
	v_mov_b32_e32 v4, v17
	v_lshlrev_b64 v[30:31], 3, v[30:31]
	v_pk_fma_f32 v[14:15], v[32:33], v[4:5], v[14:15] op_sel_hi:[0,1,1]
	v_mov_b32_e32 v7, v17
	v_add_co_u32_e32 v46, vcc, s6, v30
	v_pk_fma_f32 v[44:45], v[28:29], v[6:7], v[14:15] op_sel_hi:[0,1,1]
	global_load_dwordx4 v[14:17], v[2:3], off offset:2096
	global_load_dwordx4 v[18:21], v[2:3], off offset:2080
	;; [unrolled: 1-line block ×4, first 2 shown]
	v_addc_co_u32_e32 v47, vcc, v12, v31, vcc
	global_load_dwordx4 v[30:33], v[46:47], off offset:16
	global_load_dwordx4 v[34:37], v[46:47], off
	global_load_dword v1, v[8:9], off offset:256
	v_add_co_u32_e32 v46, vcc, s17, v2
	v_addc_co_u32_e32 v47, vcc, 0, v3, vcc
	s_waitcnt vmcnt(3)
	v_mov_b32_e32 v4, v26
	v_mov_b32_e32 v7, v26
	s_waitcnt vmcnt(1)
	v_pk_fma_f32 v[38:39], v[34:35], v[4:5], v[38:39] op_sel_hi:[0,1,1]
	v_pk_fma_f32 v[38:39], v[34:35], v[6:7], v[38:39] op_sel:[1,0,0]
	v_mov_b32_e32 v4, v27
	v_pk_fma_f32 v[38:39], v[36:37], v[4:5], v[38:39] op_sel_hi:[0,1,1]
	v_mov_b32_e32 v26, v37
	v_mov_b32_e32 v7, v27
	v_pk_fma_f32 v[38:39], v[26:27], v[6:7], v[38:39] op_sel_hi:[0,1,1]
	v_mov_b32_e32 v4, v28
	v_pk_fma_f32 v[38:39], v[30:31], v[4:5], v[38:39] op_sel_hi:[0,1,1]
	v_mov_b32_e32 v7, v28
	v_pk_fma_f32 v[38:39], v[30:31], v[6:7], v[38:39] op_sel:[1,0,0]
	v_mov_b32_e32 v4, v29
	v_pk_fma_f32 v[38:39], v[32:33], v[4:5], v[38:39] op_sel_hi:[0,1,1]
	v_mov_b32_e32 v28, v33
	v_mov_b32_e32 v7, v29
	;; [unrolled: 1-line block ×3, first 2 shown]
	v_pk_fma_f32 v[38:39], v[28:29], v[6:7], v[38:39] op_sel_hi:[0,1,1]
	v_pk_fma_f32 v[40:41], v[34:35], v[4:5], v[40:41] op_sel_hi:[0,1,1]
	v_mov_b32_e32 v7, v22
	v_pk_fma_f32 v[40:41], v[34:35], v[6:7], v[40:41] op_sel:[1,0,0]
	v_mov_b32_e32 v4, v23
	v_pk_fma_f32 v[40:41], v[36:37], v[4:5], v[40:41] op_sel_hi:[0,1,1]
	v_mov_b32_e32 v7, v23
	v_pk_fma_f32 v[22:23], v[26:27], v[6:7], v[40:41] op_sel_hi:[0,1,1]
	;; [unrolled: 2-line block ×3, first 2 shown]
	v_mov_b32_e32 v7, v24
	v_pk_fma_f32 v[22:23], v[30:31], v[6:7], v[22:23] op_sel:[1,0,0]
	v_mov_b32_e32 v4, v25
	v_pk_fma_f32 v[22:23], v[32:33], v[4:5], v[22:23] op_sel_hi:[0,1,1]
	v_mov_b32_e32 v7, v25
	v_mov_b32_e32 v4, v18
	v_pk_fma_f32 v[40:41], v[28:29], v[6:7], v[22:23] op_sel_hi:[0,1,1]
	v_pk_fma_f32 v[22:23], v[34:35], v[4:5], v[42:43] op_sel_hi:[0,1,1]
	v_mov_b32_e32 v7, v18
	v_pk_fma_f32 v[22:23], v[34:35], v[6:7], v[22:23] op_sel:[1,0,0]
	v_mov_b32_e32 v4, v19
	v_pk_fma_f32 v[22:23], v[36:37], v[4:5], v[22:23] op_sel_hi:[0,1,1]
	v_mov_b32_e32 v7, v19
	v_pk_fma_f32 v[18:19], v[26:27], v[6:7], v[22:23] op_sel_hi:[0,1,1]
	;; [unrolled: 2-line block ×3, first 2 shown]
	v_mov_b32_e32 v7, v20
	v_pk_fma_f32 v[18:19], v[30:31], v[6:7], v[18:19] op_sel:[1,0,0]
	v_mov_b32_e32 v4, v21
	v_pk_fma_f32 v[18:19], v[32:33], v[4:5], v[18:19] op_sel_hi:[0,1,1]
	v_mov_b32_e32 v7, v21
	v_mov_b32_e32 v4, v14
	v_pk_fma_f32 v[42:43], v[28:29], v[6:7], v[18:19] op_sel_hi:[0,1,1]
	v_pk_fma_f32 v[18:19], v[34:35], v[4:5], v[44:45] op_sel_hi:[0,1,1]
	v_mov_b32_e32 v7, v14
	v_pk_fma_f32 v[18:19], v[34:35], v[6:7], v[18:19] op_sel:[1,0,0]
	v_mov_b32_e32 v4, v15
	v_pk_fma_f32 v[18:19], v[36:37], v[4:5], v[18:19] op_sel_hi:[0,1,1]
	v_mov_b32_e32 v7, v15
	v_pk_fma_f32 v[14:15], v[26:27], v[6:7], v[18:19] op_sel_hi:[0,1,1]
	;; [unrolled: 2-line block ×3, first 2 shown]
	v_mov_b32_e32 v7, v16
	s_waitcnt vmcnt(0)
	v_subrev_u32_e32 v1, s16, v1
	v_pk_fma_f32 v[14:15], v[30:31], v[6:7], v[14:15] op_sel:[1,0,0]
	v_lshlrev_b32_e32 v30, 2, v1
	v_ashrrev_i32_e32 v31, 31, v30
	v_lshlrev_b64 v[30:31], 3, v[30:31]
	v_mov_b32_e32 v4, v17
	v_add_co_u32_e32 v48, vcc, s6, v30
	v_pk_fma_f32 v[14:15], v[32:33], v[4:5], v[14:15] op_sel_hi:[0,1,1]
	v_mov_b32_e32 v7, v17
	v_addc_co_u32_e32 v49, vcc, v12, v31, vcc
	v_pk_fma_f32 v[44:45], v[28:29], v[6:7], v[14:15] op_sel_hi:[0,1,1]
	global_load_dwordx4 v[14:17], v[46:47], off
	global_load_dwordx4 v[18:21], v[46:47], off offset:48
	global_load_dwordx4 v[22:25], v[46:47], off offset:32
	;; [unrolled: 1-line block ×4, first 2 shown]
	global_load_dwordx4 v[34:37], v[48:49], off
	global_load_dword v1, v[8:9], off offset:384
	s_waitcnt vmcnt(6)
	v_mov_b32_e32 v4, v14
	v_mov_b32_e32 v7, v14
	s_waitcnt vmcnt(1)
	v_pk_fma_f32 v[38:39], v[34:35], v[4:5], v[38:39] op_sel_hi:[0,1,1]
	v_pk_fma_f32 v[38:39], v[34:35], v[6:7], v[38:39] op_sel:[1,0,0]
	v_mov_b32_e32 v4, v15
	v_pk_fma_f32 v[38:39], v[36:37], v[4:5], v[38:39] op_sel_hi:[0,1,1]
	v_mov_b32_e32 v14, v37
	v_mov_b32_e32 v7, v15
	v_pk_fma_f32 v[38:39], v[14:15], v[6:7], v[38:39] op_sel_hi:[0,1,1]
	v_mov_b32_e32 v4, v16
	v_pk_fma_f32 v[38:39], v[30:31], v[4:5], v[38:39] op_sel_hi:[0,1,1]
	v_mov_b32_e32 v7, v16
	v_pk_fma_f32 v[38:39], v[30:31], v[6:7], v[38:39] op_sel:[1,0,0]
	v_mov_b32_e32 v4, v17
	v_pk_fma_f32 v[38:39], v[32:33], v[4:5], v[38:39] op_sel_hi:[0,1,1]
	v_mov_b32_e32 v16, v33
	v_mov_b32_e32 v7, v17
	;; [unrolled: 1-line block ×3, first 2 shown]
	v_pk_fma_f32 v[38:39], v[16:17], v[6:7], v[38:39] op_sel_hi:[0,1,1]
	v_pk_fma_f32 v[40:41], v[34:35], v[4:5], v[40:41] op_sel_hi:[0,1,1]
	v_mov_b32_e32 v7, v26
	v_pk_fma_f32 v[40:41], v[34:35], v[6:7], v[40:41] op_sel:[1,0,0]
	v_mov_b32_e32 v4, v27
	v_pk_fma_f32 v[40:41], v[36:37], v[4:5], v[40:41] op_sel_hi:[0,1,1]
	v_mov_b32_e32 v7, v27
	v_pk_fma_f32 v[26:27], v[14:15], v[6:7], v[40:41] op_sel_hi:[0,1,1]
	v_mov_b32_e32 v4, v28
	v_pk_fma_f32 v[26:27], v[30:31], v[4:5], v[26:27] op_sel_hi:[0,1,1]
	v_mov_b32_e32 v7, v28
	v_pk_fma_f32 v[26:27], v[30:31], v[6:7], v[26:27] op_sel:[1,0,0]
	v_mov_b32_e32 v4, v29
	v_pk_fma_f32 v[26:27], v[32:33], v[4:5], v[26:27] op_sel_hi:[0,1,1]
	v_mov_b32_e32 v7, v29
	v_mov_b32_e32 v4, v22
	v_pk_fma_f32 v[40:41], v[16:17], v[6:7], v[26:27] op_sel_hi:[0,1,1]
	v_pk_fma_f32 v[26:27], v[34:35], v[4:5], v[42:43] op_sel_hi:[0,1,1]
	v_mov_b32_e32 v7, v22
	v_pk_fma_f32 v[26:27], v[34:35], v[6:7], v[26:27] op_sel:[1,0,0]
	v_mov_b32_e32 v4, v23
	v_pk_fma_f32 v[26:27], v[36:37], v[4:5], v[26:27] op_sel_hi:[0,1,1]
	v_mov_b32_e32 v7, v23
	v_pk_fma_f32 v[22:23], v[14:15], v[6:7], v[26:27] op_sel_hi:[0,1,1]
	;; [unrolled: 2-line block ×3, first 2 shown]
	v_mov_b32_e32 v7, v24
	v_pk_fma_f32 v[22:23], v[30:31], v[6:7], v[22:23] op_sel:[1,0,0]
	v_mov_b32_e32 v4, v25
	v_pk_fma_f32 v[22:23], v[32:33], v[4:5], v[22:23] op_sel_hi:[0,1,1]
	v_mov_b32_e32 v7, v25
	v_mov_b32_e32 v4, v18
	v_pk_fma_f32 v[42:43], v[16:17], v[6:7], v[22:23] op_sel_hi:[0,1,1]
	v_pk_fma_f32 v[22:23], v[34:35], v[4:5], v[44:45] op_sel_hi:[0,1,1]
	v_mov_b32_e32 v7, v18
	v_pk_fma_f32 v[22:23], v[34:35], v[6:7], v[22:23] op_sel:[1,0,0]
	v_mov_b32_e32 v4, v19
	v_pk_fma_f32 v[22:23], v[36:37], v[4:5], v[22:23] op_sel_hi:[0,1,1]
	v_mov_b32_e32 v7, v19
	s_waitcnt vmcnt(0)
	v_subrev_u32_e32 v1, s16, v1
	v_pk_fma_f32 v[14:15], v[14:15], v[6:7], v[22:23] op_sel_hi:[0,1,1]
	v_mov_b32_e32 v4, v20
	v_lshlrev_b32_e32 v8, 2, v1
	v_pk_fma_f32 v[14:15], v[30:31], v[4:5], v[14:15] op_sel_hi:[0,1,1]
	v_mov_b32_e32 v7, v20
	v_ashrrev_i32_e32 v9, 31, v8
	v_pk_fma_f32 v[14:15], v[30:31], v[6:7], v[14:15] op_sel:[1,0,0]
	v_mov_b32_e32 v4, v21
	v_lshlrev_b64 v[8:9], 3, v[8:9]
	v_pk_fma_f32 v[14:15], v[32:33], v[4:5], v[14:15] op_sel_hi:[0,1,1]
	v_mov_b32_e32 v7, v21
	v_add_co_u32_e32 v8, vcc, s6, v8
	v_pk_fma_f32 v[44:45], v[16:17], v[6:7], v[14:15] op_sel_hi:[0,1,1]
	global_load_dwordx4 v[14:17], v[46:47], off offset:2096
	global_load_dwordx4 v[18:21], v[46:47], off offset:2080
	;; [unrolled: 1-line block ×4, first 2 shown]
	v_addc_co_u32_e32 v9, vcc, v12, v9, vcc
	global_load_dwordx4 v[30:33], v[8:9], off offset:16
	global_load_dwordx4 v[34:37], v[8:9], off
	v_add_co_u32_e32 v2, vcc, 0x2000, v2
	v_addc_co_u32_e32 v3, vcc, 0, v3, vcc
	s_waitcnt vmcnt(2)
	v_mov_b32_e32 v4, v26
	v_mov_b32_e32 v7, v26
	s_waitcnt vmcnt(0)
	v_pk_fma_f32 v[8:9], v[34:35], v[4:5], v[38:39] op_sel_hi:[0,1,1]
	v_pk_fma_f32 v[8:9], v[34:35], v[6:7], v[8:9] op_sel:[1,0,0]
	v_mov_b32_e32 v4, v27
	v_pk_fma_f32 v[8:9], v[36:37], v[4:5], v[8:9] op_sel_hi:[0,1,1]
	v_mov_b32_e32 v26, v37
	v_mov_b32_e32 v7, v27
	v_pk_fma_f32 v[8:9], v[26:27], v[6:7], v[8:9] op_sel_hi:[0,1,1]
	v_mov_b32_e32 v4, v28
	v_pk_fma_f32 v[8:9], v[30:31], v[4:5], v[8:9] op_sel_hi:[0,1,1]
	v_mov_b32_e32 v7, v28
	v_pk_fma_f32 v[8:9], v[30:31], v[6:7], v[8:9] op_sel:[1,0,0]
	v_mov_b32_e32 v4, v29
	v_pk_fma_f32 v[8:9], v[32:33], v[4:5], v[8:9] op_sel_hi:[0,1,1]
	v_mov_b32_e32 v28, v33
	v_mov_b32_e32 v7, v29
	;; [unrolled: 1-line block ×3, first 2 shown]
	v_pk_fma_f32 v[104:105], v[28:29], v[6:7], v[8:9] op_sel_hi:[0,1,1]
	v_pk_fma_f32 v[8:9], v[34:35], v[4:5], v[40:41] op_sel_hi:[0,1,1]
	v_mov_b32_e32 v7, v22
	v_pk_fma_f32 v[8:9], v[34:35], v[6:7], v[8:9] op_sel:[1,0,0]
	v_mov_b32_e32 v4, v23
	v_pk_fma_f32 v[8:9], v[36:37], v[4:5], v[8:9] op_sel_hi:[0,1,1]
	v_mov_b32_e32 v7, v23
	v_pk_fma_f32 v[8:9], v[26:27], v[6:7], v[8:9] op_sel_hi:[0,1,1]
	;; [unrolled: 2-line block ×3, first 2 shown]
	v_mov_b32_e32 v7, v24
	v_pk_fma_f32 v[8:9], v[30:31], v[6:7], v[8:9] op_sel:[1,0,0]
	v_mov_b32_e32 v4, v25
	v_pk_fma_f32 v[8:9], v[32:33], v[4:5], v[8:9] op_sel_hi:[0,1,1]
	v_mov_b32_e32 v7, v25
	v_mov_b32_e32 v4, v18
	v_pk_fma_f32 v[102:103], v[28:29], v[6:7], v[8:9] op_sel_hi:[0,1,1]
	v_pk_fma_f32 v[8:9], v[34:35], v[4:5], v[42:43] op_sel_hi:[0,1,1]
	v_mov_b32_e32 v7, v18
	v_pk_fma_f32 v[8:9], v[34:35], v[6:7], v[8:9] op_sel:[1,0,0]
	v_mov_b32_e32 v4, v19
	v_pk_fma_f32 v[8:9], v[36:37], v[4:5], v[8:9] op_sel_hi:[0,1,1]
	v_mov_b32_e32 v7, v19
	v_pk_fma_f32 v[8:9], v[26:27], v[6:7], v[8:9] op_sel_hi:[0,1,1]
	;; [unrolled: 2-line block ×3, first 2 shown]
	v_mov_b32_e32 v7, v20
	v_pk_fma_f32 v[8:9], v[30:31], v[6:7], v[8:9] op_sel:[1,0,0]
	v_mov_b32_e32 v4, v21
	v_pk_fma_f32 v[8:9], v[32:33], v[4:5], v[8:9] op_sel_hi:[0,1,1]
	v_mov_b32_e32 v7, v21
	v_mov_b32_e32 v4, v14
	v_pk_fma_f32 v[100:101], v[28:29], v[6:7], v[8:9] op_sel_hi:[0,1,1]
	v_pk_fma_f32 v[8:9], v[34:35], v[4:5], v[44:45] op_sel_hi:[0,1,1]
	v_mov_b32_e32 v7, v14
	v_pk_fma_f32 v[8:9], v[34:35], v[6:7], v[8:9] op_sel:[1,0,0]
	v_mov_b32_e32 v4, v15
	v_pk_fma_f32 v[8:9], v[36:37], v[4:5], v[8:9] op_sel_hi:[0,1,1]
	v_mov_b32_e32 v7, v15
	v_pk_fma_f32 v[8:9], v[26:27], v[6:7], v[8:9] op_sel_hi:[0,1,1]
	;; [unrolled: 2-line block ×3, first 2 shown]
	v_mov_b32_e32 v7, v16
	v_pk_fma_f32 v[8:9], v[30:31], v[6:7], v[8:9] op_sel:[1,0,0]
	v_mov_b32_e32 v4, v17
	v_pk_fma_f32 v[8:9], v[32:33], v[4:5], v[8:9] op_sel_hi:[0,1,1]
	v_mov_b32_e32 v7, v17
	v_pk_fma_f32 v[98:99], v[28:29], v[6:7], v[8:9] op_sel_hi:[0,1,1]
	s_andn2_b64 exec, exec, s[14:15]
	s_cbranch_execnz .LBB123_27
; %bb.28:
	s_or_b64 exec, exec, s[14:15]
.LBB123_29:
	s_or_b64 exec, exec, s[10:11]
.LBB123_30:
	s_or_b64 exec, exec, s[8:9]
	s_cbranch_execz .LBB123_32
	s_branch .LBB123_43
.LBB123_31:
                                        ; implicit-def: $vgpr105
                                        ; implicit-def: $vgpr103
                                        ; implicit-def: $vgpr101
                                        ; implicit-def: $vgpr99
.LBB123_32:
	s_mov_b32 s8, 0
	v_mov_b32_e32 v105, 0
	v_mov_b32_e32 v104, 0
	;; [unrolled: 1-line block ×8, first 2 shown]
	s_and_saveexec_b64 s[2:3], s[0:1]
	s_cbranch_execz .LBB123_42
; %bb.33:
	v_add_u32_e32 v0, v10, v93
	v_subrev_u32_e32 v0, s16, v0
	v_add_u32_e32 v0, 32, v0
	v_max_i32_e32 v0, v0, v111
	v_not_b32_e32 v1, v10
	v_add3_u32 v0, v0, s16, v1
	v_sub_u32_e32 v4, v0, v93
	v_lshrrev_b32_e32 v0, 5, v4
	v_add_u32_e32 v0, 1, v0
	v_and_b32_e32 v0, 3, v0
	s_mov_b32 s9, s8
	v_cmp_ne_u32_e32 vcc, 0, v0
	v_pk_mov_b32 v[104:105], s[8:9], s[8:9] op_sel:[0,1]
	v_pk_mov_b32 v[102:103], s[8:9], s[8:9] op_sel:[0,1]
	;; [unrolled: 1-line block ×4, first 2 shown]
	s_and_saveexec_b64 s[0:1], vcc
	s_cbranch_execz .LBB123_37
; %bb.34:
	v_mov_b32_e32 v1, 0
	v_lshlrev_b32_e32 v5, 6, v0
	s_mov_b64 s[8:9], 0
	v_mov_b32_e32 v6, s13
	v_mov_b32_e32 v7, s7
	s_movk_i32 s10, 0x800
	v_bfrev_b32_e32 v2, 1
	v_mov_b32_e32 v98, v1
	v_mov_b32_e32 v99, v1
	;; [unrolled: 1-line block ×8, first 2 shown]
.LBB123_35:                             ; =>This Inner Loop Header: Depth=1
	v_ashrrev_i32_e32 v95, 31, v94
	v_lshlrev_b64 v[8:9], 2, v[94:95]
	v_add_co_u32_e32 v20, vcc, s12, v8
	v_addc_co_u32_e32 v21, vcc, v6, v9, vcc
	global_load_dword v0, v[20:21], off
	global_load_dwordx4 v[8:11], v[96:97], off offset:32
	global_load_dwordx4 v[12:15], v[96:97], off offset:16
	global_load_dwordx4 v[16:19], v[96:97], off
	v_subrev_u32_e32 v5, 64, v5
	v_add_u32_e32 v94, 32, v94
	s_waitcnt vmcnt(3)
	v_subrev_u32_e32 v0, s16, v0
	v_lshlrev_b32_e32 v20, 2, v0
	v_ashrrev_i32_e32 v21, 31, v20
	v_lshlrev_b64 v[20:21], 3, v[20:21]
	v_add_co_u32_e32 v32, vcc, s6, v20
	v_addc_co_u32_e32 v33, vcc, v7, v21, vcc
	global_load_dwordx4 v[20:23], v[32:33], off
	global_load_dwordx4 v[24:27], v[32:33], off offset:16
	global_load_dwordx4 v[28:31], v[96:97], off offset:48
	s_waitcnt vmcnt(3)
	v_mov_b32_e32 v0, v16
	v_mov_b32_e32 v3, v16
	v_add_co_u32_e32 v96, vcc, s10, v96
	v_addc_co_u32_e32 v97, vcc, 0, v97, vcc
	v_cmp_eq_u32_e32 vcc, 0, v5
	s_or_b64 s[8:9], vcc, s[8:9]
	s_waitcnt vmcnt(2)
	v_pk_fma_f32 v[32:33], v[20:21], v[0:1], v[104:105] op_sel_hi:[0,1,1]
	v_mov_b32_e32 v0, v12
	v_pk_fma_f32 v[32:33], v[20:21], v[2:3], v[32:33] op_sel:[1,0,0]
	v_mov_b32_e32 v16, v23
	v_mov_b32_e32 v3, v12
	v_pk_fma_f32 v[32:33], v[22:23], v[0:1], v[32:33] op_sel_hi:[0,1,1]
	v_mov_b32_e32 v0, v8
	v_pk_fma_f32 v[32:33], v[16:17], v[2:3], v[32:33] op_sel_hi:[0,1,1]
	v_mov_b32_e32 v3, v8
	s_waitcnt vmcnt(1)
	v_pk_fma_f32 v[32:33], v[24:25], v[0:1], v[32:33] op_sel_hi:[0,1,1]
	s_waitcnt vmcnt(0)
	v_mov_b32_e32 v0, v28
	v_pk_fma_f32 v[32:33], v[24:25], v[2:3], v[32:33] op_sel:[1,0,0]
	v_mov_b32_e32 v34, v27
	v_mov_b32_e32 v3, v28
	v_pk_fma_f32 v[32:33], v[26:27], v[0:1], v[32:33] op_sel_hi:[0,1,1]
	v_mov_b32_e32 v0, v17
	v_pk_fma_f32 v[104:105], v[34:35], v[2:3], v[32:33] op_sel_hi:[0,1,1]
	v_pk_fma_f32 v[32:33], v[20:21], v[0:1], v[102:103] op_sel_hi:[0,1,1]
	v_mov_b32_e32 v3, v17
	v_mov_b32_e32 v0, v13
	v_pk_fma_f32 v[32:33], v[20:21], v[2:3], v[32:33] op_sel:[1,0,0]
	v_mov_b32_e32 v3, v13
	v_pk_fma_f32 v[12:13], v[22:23], v[0:1], v[32:33] op_sel_hi:[0,1,1]
	v_mov_b32_e32 v0, v9
	v_pk_fma_f32 v[12:13], v[16:17], v[2:3], v[12:13] op_sel_hi:[0,1,1]
	v_mov_b32_e32 v3, v9
	v_pk_fma_f32 v[8:9], v[24:25], v[0:1], v[12:13] op_sel_hi:[0,1,1]
	v_mov_b32_e32 v0, v29
	v_pk_fma_f32 v[8:9], v[24:25], v[2:3], v[8:9] op_sel:[1,0,0]
	v_mov_b32_e32 v3, v29
	v_pk_fma_f32 v[8:9], v[26:27], v[0:1], v[8:9] op_sel_hi:[0,1,1]
	v_mov_b32_e32 v0, v18
	v_pk_fma_f32 v[102:103], v[34:35], v[2:3], v[8:9] op_sel_hi:[0,1,1]
	v_pk_fma_f32 v[8:9], v[20:21], v[0:1], v[100:101] op_sel_hi:[0,1,1]
	v_mov_b32_e32 v3, v18
	v_mov_b32_e32 v0, v14
	v_pk_fma_f32 v[8:9], v[20:21], v[2:3], v[8:9] op_sel:[1,0,0]
	v_mov_b32_e32 v3, v14
	v_pk_fma_f32 v[8:9], v[22:23], v[0:1], v[8:9] op_sel_hi:[0,1,1]
	v_mov_b32_e32 v0, v10
	v_pk_fma_f32 v[8:9], v[16:17], v[2:3], v[8:9] op_sel_hi:[0,1,1]
	v_mov_b32_e32 v3, v10
	v_pk_fma_f32 v[8:9], v[24:25], v[0:1], v[8:9] op_sel_hi:[0,1,1]
	v_mov_b32_e32 v0, v30
	v_pk_fma_f32 v[8:9], v[24:25], v[2:3], v[8:9] op_sel:[1,0,0]
	v_mov_b32_e32 v3, v30
	v_pk_fma_f32 v[8:9], v[26:27], v[0:1], v[8:9] op_sel_hi:[0,1,1]
	v_mov_b32_e32 v0, v19
	v_pk_fma_f32 v[100:101], v[34:35], v[2:3], v[8:9] op_sel_hi:[0,1,1]
	v_pk_fma_f32 v[8:9], v[20:21], v[0:1], v[98:99] op_sel_hi:[0,1,1]
	v_mov_b32_e32 v3, v19
	v_mov_b32_e32 v0, v15
	v_pk_fma_f32 v[8:9], v[20:21], v[2:3], v[8:9] op_sel:[1,0,0]
	v_mov_b32_e32 v3, v15
	v_pk_fma_f32 v[8:9], v[22:23], v[0:1], v[8:9] op_sel_hi:[0,1,1]
	v_mov_b32_e32 v0, v11
	v_pk_fma_f32 v[8:9], v[16:17], v[2:3], v[8:9] op_sel_hi:[0,1,1]
	v_mov_b32_e32 v3, v11
	v_pk_fma_f32 v[8:9], v[24:25], v[0:1], v[8:9] op_sel_hi:[0,1,1]
	v_mov_b32_e32 v0, v31
	v_pk_fma_f32 v[8:9], v[24:25], v[2:3], v[8:9] op_sel:[1,0,0]
	v_mov_b32_e32 v3, v31
	v_pk_fma_f32 v[8:9], v[26:27], v[0:1], v[8:9] op_sel_hi:[0,1,1]
	v_pk_fma_f32 v[98:99], v[34:35], v[2:3], v[8:9] op_sel_hi:[0,1,1]
	s_andn2_b64 exec, exec, s[8:9]
	s_cbranch_execnz .LBB123_35
; %bb.36:
	s_or_b64 exec, exec, s[8:9]
.LBB123_37:
	s_or_b64 exec, exec, s[0:1]
	s_movk_i32 s0, 0x5f
	v_cmp_lt_u32_e32 vcc, s0, v4
	s_and_saveexec_b64 s[0:1], vcc
	s_cbranch_execz .LBB123_41
; %bb.38:
	s_mov_b64 s[8:9], 0
	v_mov_b32_e32 v114, s13
	v_mov_b32_e32 v115, s7
	s_movk_i32 s7, 0x1000
	v_mov_b32_e32 v107, 0
	v_bfrev_b32_e32 v108, 1
.LBB123_39:                             ; =>This Inner Loop Header: Depth=1
	v_add_co_u32_e32 v64, vcc, s7, v96
	v_addc_co_u32_e32 v65, vcc, 0, v97, vcc
	v_ashrrev_i32_e32 v95, 31, v94
	global_load_dwordx4 v[0:3], v[96:97], off offset:48
	global_load_dwordx4 v[20:23], v[96:97], off offset:32
	;; [unrolled: 1-line block ×3, first 2 shown]
	global_load_dwordx4 v[28:31], v[96:97], off
	global_load_dwordx4 v[4:7], v[96:97], off offset:2096
	global_load_dwordx4 v[8:11], v[96:97], off offset:2080
	;; [unrolled: 1-line block ×4, first 2 shown]
	v_add_co_u32_e32 v96, vcc, 0x2000, v96
	v_lshlrev_b64 v[66:67], 2, v[94:95]
	v_addc_co_u32_e32 v97, vcc, 0, v97, vcc
	global_load_dwordx4 v[48:51], v[64:65], off offset:48
	global_load_dwordx4 v[52:55], v[64:65], off offset:32
	global_load_dwordx4 v[60:63], v[64:65], off
	global_load_dwordx4 v[56:59], v[64:65], off offset:16
	global_load_dwordx4 v[32:35], v[64:65], off offset:2096
	;; [unrolled: 1-line block ×5, first 2 shown]
	v_add_co_u32_e32 v64, vcc, s12, v66
	v_addc_co_u32_e32 v65, vcc, v114, v67, vcc
	global_load_dword v66, v[64:65], off
	global_load_dword v67, v[64:65], off offset:128
	global_load_dword v68, v[64:65], off offset:256
	;; [unrolled: 1-line block ×3, first 2 shown]
	v_add_u32_e32 v94, 0x80, v94
	v_cmp_ge_i32_e32 vcc, v94, v111
	s_or_b64 s[8:9], vcc, s[8:9]
	s_waitcnt vmcnt(16)
	v_mov_b32_e32 v106, v28
	v_mov_b32_e32 v109, v28
	s_waitcnt vmcnt(3)
	v_subrev_u32_e32 v28, s16, v66
	s_waitcnt vmcnt(2)
	v_subrev_u32_e32 v65, s16, v67
	v_lshlrev_b32_e32 v64, 2, v28
	v_lshlrev_b32_e32 v66, 2, v65
	v_ashrrev_i32_e32 v65, 31, v64
	s_waitcnt vmcnt(1)
	v_subrev_u32_e32 v67, s16, v68
	v_lshlrev_b64 v[64:65], 3, v[64:65]
	v_lshlrev_b32_e32 v68, 2, v67
	v_ashrrev_i32_e32 v67, 31, v66
	v_add_co_u32_e32 v112, vcc, s6, v64
	s_waitcnt vmcnt(0)
	v_subrev_u32_e32 v69, s16, v69
	v_lshlrev_b64 v[66:67], 3, v[66:67]
	v_addc_co_u32_e32 v113, vcc, v115, v65, vcc
	v_lshlrev_b32_e32 v70, 2, v69
	v_ashrrev_i32_e32 v69, 31, v68
	v_add_co_u32_e32 v124, vcc, s6, v66
	v_lshlrev_b64 v[68:69], 3, v[68:69]
	v_addc_co_u32_e32 v125, vcc, v115, v67, vcc
	v_ashrrev_i32_e32 v71, 31, v70
	v_add_co_u32_e32 v126, vcc, s6, v68
	v_lshlrev_b64 v[70:71], 3, v[70:71]
	v_addc_co_u32_e32 v127, vcc, v115, v69, vcc
	v_add_co_u32_e32 v128, vcc, s6, v70
	v_addc_co_u32_e32 v129, vcc, v115, v71, vcc
	global_load_dwordx4 v[116:119], v[112:113], off
	global_load_dwordx4 v[120:123], v[112:113], off offset:16
	global_load_dwordx4 v[84:87], v[124:125], off
	global_load_dwordx4 v[80:83], v[124:125], off offset:16
	;; [unrolled: 2-line block ×4, first 2 shown]
	s_waitcnt vmcnt(7)
	v_pk_fma_f32 v[112:113], v[116:117], v[106:107], v[104:105] op_sel_hi:[0,1,1]
	v_mov_b32_e32 v106, v24
	v_pk_fma_f32 v[112:113], v[116:117], v[108:109], v[112:113] op_sel:[1,0,0]
	v_mov_b32_e32 v124, v119
	v_mov_b32_e32 v109, v24
	v_pk_fma_f32 v[112:113], v[118:119], v[106:107], v[112:113] op_sel_hi:[0,1,1]
	v_mov_b32_e32 v106, v20
	v_pk_fma_f32 v[112:113], v[124:125], v[108:109], v[112:113] op_sel_hi:[0,1,1]
	v_mov_b32_e32 v109, v20
	s_waitcnt vmcnt(6)
	v_pk_fma_f32 v[112:113], v[120:121], v[106:107], v[112:113] op_sel_hi:[0,1,1]
	v_mov_b32_e32 v106, v0
	v_pk_fma_f32 v[112:113], v[120:121], v[108:109], v[112:113] op_sel:[1,0,0]
	v_mov_b32_e32 v110, v123
	v_mov_b32_e32 v109, v0
	v_pk_fma_f32 v[112:113], v[122:123], v[106:107], v[112:113] op_sel_hi:[0,1,1]
	v_mov_b32_e32 v106, v29
	v_pk_fma_f32 v[112:113], v[110:111], v[108:109], v[112:113] op_sel_hi:[0,1,1]
	v_pk_fma_f32 v[102:103], v[116:117], v[106:107], v[102:103] op_sel_hi:[0,1,1]
	v_mov_b32_e32 v109, v29
	v_mov_b32_e32 v106, v25
	v_pk_fma_f32 v[102:103], v[116:117], v[108:109], v[102:103] op_sel:[1,0,0]
	v_mov_b32_e32 v109, v25
	v_pk_fma_f32 v[24:25], v[118:119], v[106:107], v[102:103] op_sel_hi:[0,1,1]
	v_mov_b32_e32 v106, v21
	v_pk_fma_f32 v[24:25], v[124:125], v[108:109], v[24:25] op_sel_hi:[0,1,1]
	;; [unrolled: 2-line block ×3, first 2 shown]
	v_mov_b32_e32 v106, v1
	v_pk_fma_f32 v[20:21], v[120:121], v[108:109], v[20:21] op_sel:[1,0,0]
	v_mov_b32_e32 v109, v1
	v_pk_fma_f32 v[0:1], v[122:123], v[106:107], v[20:21] op_sel_hi:[0,1,1]
	v_mov_b32_e32 v106, v30
	v_pk_fma_f32 v[20:21], v[110:111], v[108:109], v[0:1] op_sel_hi:[0,1,1]
	v_pk_fma_f32 v[0:1], v[116:117], v[106:107], v[100:101] op_sel_hi:[0,1,1]
	v_mov_b32_e32 v109, v30
	v_mov_b32_e32 v106, v26
	v_pk_fma_f32 v[0:1], v[116:117], v[108:109], v[0:1] op_sel:[1,0,0]
	v_mov_b32_e32 v109, v26
	v_pk_fma_f32 v[0:1], v[118:119], v[106:107], v[0:1] op_sel_hi:[0,1,1]
	v_mov_b32_e32 v106, v22
	v_pk_fma_f32 v[0:1], v[124:125], v[108:109], v[0:1] op_sel_hi:[0,1,1]
	;; [unrolled: 2-line block ×3, first 2 shown]
	v_mov_b32_e32 v106, v2
	v_pk_fma_f32 v[0:1], v[120:121], v[108:109], v[0:1] op_sel:[1,0,0]
	v_mov_b32_e32 v109, v2
	v_pk_fma_f32 v[0:1], v[122:123], v[106:107], v[0:1] op_sel_hi:[0,1,1]
	v_mov_b32_e32 v106, v31
	v_pk_fma_f32 v[24:25], v[110:111], v[108:109], v[0:1] op_sel_hi:[0,1,1]
	v_pk_fma_f32 v[0:1], v[116:117], v[106:107], v[98:99] op_sel_hi:[0,1,1]
	v_mov_b32_e32 v109, v31
	v_mov_b32_e32 v106, v27
	v_pk_fma_f32 v[0:1], v[116:117], v[108:109], v[0:1] op_sel:[1,0,0]
	v_pk_fma_f32 v[0:1], v[118:119], v[106:107], v[0:1] op_sel_hi:[0,1,1]
	v_mov_b32_e32 v109, v27
	v_pk_fma_f32 v[30:31], v[124:125], v[108:109], v[0:1] op_sel_hi:[0,1,1]
	v_mov_b32_e32 v106, v23
	v_mov_b32_e32 v109, v23
	v_pk_fma_f32 v[30:31], v[120:121], v[106:107], v[30:31] op_sel_hi:[0,1,1]
	v_mov_b32_e32 v106, v3
	v_pk_fma_f32 v[30:31], v[120:121], v[108:109], v[30:31] op_sel:[1,0,0]
	v_pk_fma_f32 v[30:31], v[122:123], v[106:107], v[30:31] op_sel_hi:[0,1,1]
	v_mov_b32_e32 v109, v3
	v_mov_b32_e32 v106, v16
	v_pk_fma_f32 v[30:31], v[110:111], v[108:109], v[30:31] op_sel_hi:[0,1,1]
	s_waitcnt vmcnt(5)
	v_pk_fma_f32 v[98:99], v[84:85], v[106:107], v[112:113] op_sel_hi:[0,1,1]
	v_mov_b32_e32 v109, v16
	v_mov_b32_e32 v106, v12
	v_pk_fma_f32 v[98:99], v[84:85], v[108:109], v[98:99] op_sel:[1,0,0]
	v_mov_b32_e32 v104, v87
	v_mov_b32_e32 v109, v12
	v_pk_fma_f32 v[98:99], v[86:87], v[106:107], v[98:99] op_sel_hi:[0,1,1]
	v_mov_b32_e32 v106, v8
	v_pk_fma_f32 v[98:99], v[104:105], v[108:109], v[98:99] op_sel_hi:[0,1,1]
	v_mov_b32_e32 v109, v8
	s_waitcnt vmcnt(4)
	v_pk_fma_f32 v[98:99], v[80:81], v[106:107], v[98:99] op_sel_hi:[0,1,1]
	v_mov_b32_e32 v106, v4
	v_pk_fma_f32 v[98:99], v[80:81], v[108:109], v[98:99] op_sel:[1,0,0]
	v_mov_b32_e32 v28, v83
	v_mov_b32_e32 v109, v4
	v_pk_fma_f32 v[98:99], v[82:83], v[106:107], v[98:99] op_sel_hi:[0,1,1]
	v_mov_b32_e32 v106, v17
	v_pk_fma_f32 v[98:99], v[28:29], v[108:109], v[98:99] op_sel_hi:[0,1,1]
	v_pk_fma_f32 v[20:21], v[84:85], v[106:107], v[20:21] op_sel_hi:[0,1,1]
	v_mov_b32_e32 v109, v17
	v_mov_b32_e32 v106, v13
	v_pk_fma_f32 v[16:17], v[84:85], v[108:109], v[20:21] op_sel:[1,0,0]
	v_mov_b32_e32 v109, v13
	v_pk_fma_f32 v[12:13], v[86:87], v[106:107], v[16:17] op_sel_hi:[0,1,1]
	v_mov_b32_e32 v106, v9
	v_pk_fma_f32 v[12:13], v[104:105], v[108:109], v[12:13] op_sel_hi:[0,1,1]
	v_mov_b32_e32 v109, v9
	v_pk_fma_f32 v[8:9], v[80:81], v[106:107], v[12:13] op_sel_hi:[0,1,1]
	v_mov_b32_e32 v106, v5
	v_pk_fma_f32 v[8:9], v[80:81], v[108:109], v[8:9] op_sel:[1,0,0]
	v_mov_b32_e32 v109, v5
	v_pk_fma_f32 v[4:5], v[82:83], v[106:107], v[8:9] op_sel_hi:[0,1,1]
	v_mov_b32_e32 v106, v18
	v_pk_fma_f32 v[4:5], v[28:29], v[108:109], v[4:5] op_sel_hi:[0,1,1]
	v_pk_fma_f32 v[8:9], v[84:85], v[106:107], v[24:25] op_sel_hi:[0,1,1]
	v_mov_b32_e32 v109, v18
	v_mov_b32_e32 v106, v14
	v_pk_fma_f32 v[8:9], v[84:85], v[108:109], v[8:9] op_sel:[1,0,0]
	v_mov_b32_e32 v109, v14
	v_pk_fma_f32 v[8:9], v[86:87], v[106:107], v[8:9] op_sel_hi:[0,1,1]
	v_mov_b32_e32 v106, v10
	v_pk_fma_f32 v[8:9], v[104:105], v[108:109], v[8:9] op_sel_hi:[0,1,1]
	v_mov_b32_e32 v109, v10
	v_pk_fma_f32 v[8:9], v[80:81], v[106:107], v[8:9] op_sel_hi:[0,1,1]
	v_mov_b32_e32 v106, v6
	v_pk_fma_f32 v[8:9], v[80:81], v[108:109], v[8:9] op_sel:[1,0,0]
	;; [unrolled: 16-line block ×3, first 2 shown]
	v_mov_b32_e32 v109, v7
	v_pk_fma_f32 v[6:7], v[82:83], v[106:107], v[10:11] op_sel_hi:[0,1,1]
	v_mov_b32_e32 v106, v60
	v_pk_fma_f32 v[6:7], v[28:29], v[108:109], v[6:7] op_sel_hi:[0,1,1]
	s_waitcnt vmcnt(3)
	v_pk_fma_f32 v[10:11], v[76:77], v[106:107], v[98:99] op_sel_hi:[0,1,1]
	v_mov_b32_e32 v109, v60
	v_mov_b32_e32 v106, v56
	v_pk_fma_f32 v[10:11], v[76:77], v[108:109], v[10:11] op_sel:[1,0,0]
	v_mov_b32_e32 v26, v79
	v_mov_b32_e32 v109, v56
	v_pk_fma_f32 v[10:11], v[78:79], v[106:107], v[10:11] op_sel_hi:[0,1,1]
	v_mov_b32_e32 v106, v52
	v_pk_fma_f32 v[10:11], v[26:27], v[108:109], v[10:11] op_sel_hi:[0,1,1]
	v_mov_b32_e32 v109, v52
	s_waitcnt vmcnt(2)
	v_pk_fma_f32 v[10:11], v[72:73], v[106:107], v[10:11] op_sel_hi:[0,1,1]
	v_mov_b32_e32 v106, v48
	v_pk_fma_f32 v[10:11], v[72:73], v[108:109], v[10:11] op_sel:[1,0,0]
	v_mov_b32_e32 v22, v75
	v_mov_b32_e32 v109, v48
	v_pk_fma_f32 v[10:11], v[74:75], v[106:107], v[10:11] op_sel_hi:[0,1,1]
	v_mov_b32_e32 v106, v61
	v_pk_fma_f32 v[10:11], v[22:23], v[108:109], v[10:11] op_sel_hi:[0,1,1]
	v_pk_fma_f32 v[4:5], v[76:77], v[106:107], v[4:5] op_sel_hi:[0,1,1]
	v_mov_b32_e32 v109, v61
	v_mov_b32_e32 v106, v57
	v_pk_fma_f32 v[4:5], v[76:77], v[108:109], v[4:5] op_sel:[1,0,0]
	v_mov_b32_e32 v109, v57
	v_pk_fma_f32 v[4:5], v[78:79], v[106:107], v[4:5] op_sel_hi:[0,1,1]
	v_mov_b32_e32 v106, v53
	v_pk_fma_f32 v[4:5], v[26:27], v[108:109], v[4:5] op_sel_hi:[0,1,1]
	v_mov_b32_e32 v109, v53
	v_pk_fma_f32 v[4:5], v[72:73], v[106:107], v[4:5] op_sel_hi:[0,1,1]
	v_mov_b32_e32 v106, v49
	v_pk_fma_f32 v[4:5], v[72:73], v[108:109], v[4:5] op_sel:[1,0,0]
	v_mov_b32_e32 v109, v49
	v_pk_fma_f32 v[4:5], v[74:75], v[106:107], v[4:5] op_sel_hi:[0,1,1]
	v_mov_b32_e32 v106, v62
	v_pk_fma_f32 v[4:5], v[22:23], v[108:109], v[4:5] op_sel_hi:[0,1,1]
	v_pk_fma_f32 v[8:9], v[76:77], v[106:107], v[8:9] op_sel_hi:[0,1,1]
	v_mov_b32_e32 v109, v62
	v_mov_b32_e32 v106, v58
	v_pk_fma_f32 v[8:9], v[76:77], v[108:109], v[8:9] op_sel:[1,0,0]
	v_mov_b32_e32 v109, v58
	v_pk_fma_f32 v[8:9], v[78:79], v[106:107], v[8:9] op_sel_hi:[0,1,1]
	v_mov_b32_e32 v106, v54
	v_pk_fma_f32 v[8:9], v[26:27], v[108:109], v[8:9] op_sel_hi:[0,1,1]
	v_mov_b32_e32 v109, v54
	v_pk_fma_f32 v[8:9], v[72:73], v[106:107], v[8:9] op_sel_hi:[0,1,1]
	v_mov_b32_e32 v106, v50
	v_pk_fma_f32 v[8:9], v[72:73], v[108:109], v[8:9] op_sel:[1,0,0]
	;; [unrolled: 16-line block ×3, first 2 shown]
	v_mov_b32_e32 v109, v51
	v_pk_fma_f32 v[6:7], v[74:75], v[106:107], v[6:7] op_sel_hi:[0,1,1]
	v_mov_b32_e32 v106, v44
	v_pk_fma_f32 v[6:7], v[22:23], v[108:109], v[6:7] op_sel_hi:[0,1,1]
	s_waitcnt vmcnt(1)
	v_pk_fma_f32 v[10:11], v[68:69], v[106:107], v[10:11] op_sel_hi:[0,1,1]
	v_mov_b32_e32 v109, v44
	v_mov_b32_e32 v106, v40
	v_pk_fma_f32 v[10:11], v[68:69], v[108:109], v[10:11] op_sel:[1,0,0]
	v_mov_b32_e32 v0, v71
	v_mov_b32_e32 v109, v40
	v_pk_fma_f32 v[10:11], v[70:71], v[106:107], v[10:11] op_sel_hi:[0,1,1]
	v_mov_b32_e32 v106, v36
	v_pk_fma_f32 v[10:11], v[0:1], v[108:109], v[10:11] op_sel_hi:[0,1,1]
	v_mov_b32_e32 v109, v36
	s_waitcnt vmcnt(0)
	v_pk_fma_f32 v[10:11], v[64:65], v[106:107], v[10:11] op_sel_hi:[0,1,1]
	v_mov_b32_e32 v106, v32
	v_pk_fma_f32 v[10:11], v[64:65], v[108:109], v[10:11] op_sel:[1,0,0]
	v_mov_b32_e32 v2, v67
	v_mov_b32_e32 v109, v32
	v_pk_fma_f32 v[10:11], v[66:67], v[106:107], v[10:11] op_sel_hi:[0,1,1]
	v_mov_b32_e32 v106, v45
	v_pk_fma_f32 v[104:105], v[2:3], v[108:109], v[10:11] op_sel_hi:[0,1,1]
	v_pk_fma_f32 v[4:5], v[68:69], v[106:107], v[4:5] op_sel_hi:[0,1,1]
	v_mov_b32_e32 v109, v45
	v_mov_b32_e32 v106, v41
	v_pk_fma_f32 v[4:5], v[68:69], v[108:109], v[4:5] op_sel:[1,0,0]
	v_mov_b32_e32 v109, v41
	v_pk_fma_f32 v[4:5], v[70:71], v[106:107], v[4:5] op_sel_hi:[0,1,1]
	v_mov_b32_e32 v106, v37
	v_pk_fma_f32 v[4:5], v[0:1], v[108:109], v[4:5] op_sel_hi:[0,1,1]
	v_mov_b32_e32 v109, v37
	v_pk_fma_f32 v[4:5], v[64:65], v[106:107], v[4:5] op_sel_hi:[0,1,1]
	v_mov_b32_e32 v106, v33
	v_pk_fma_f32 v[4:5], v[64:65], v[108:109], v[4:5] op_sel:[1,0,0]
	v_mov_b32_e32 v109, v33
	v_pk_fma_f32 v[4:5], v[66:67], v[106:107], v[4:5] op_sel_hi:[0,1,1]
	v_mov_b32_e32 v106, v46
	v_pk_fma_f32 v[102:103], v[2:3], v[108:109], v[4:5] op_sel_hi:[0,1,1]
	v_pk_fma_f32 v[4:5], v[68:69], v[106:107], v[8:9] op_sel_hi:[0,1,1]
	v_mov_b32_e32 v109, v46
	v_mov_b32_e32 v106, v42
	v_pk_fma_f32 v[4:5], v[68:69], v[108:109], v[4:5] op_sel:[1,0,0]
	v_mov_b32_e32 v109, v42
	v_pk_fma_f32 v[4:5], v[70:71], v[106:107], v[4:5] op_sel_hi:[0,1,1]
	v_mov_b32_e32 v106, v38
	v_pk_fma_f32 v[4:5], v[0:1], v[108:109], v[4:5] op_sel_hi:[0,1,1]
	v_mov_b32_e32 v109, v38
	v_pk_fma_f32 v[4:5], v[64:65], v[106:107], v[4:5] op_sel_hi:[0,1,1]
	v_mov_b32_e32 v106, v34
	v_pk_fma_f32 v[4:5], v[64:65], v[108:109], v[4:5] op_sel:[1,0,0]
	;; [unrolled: 16-line block ×3, first 2 shown]
	v_mov_b32_e32 v109, v35
	v_pk_fma_f32 v[0:1], v[66:67], v[106:107], v[0:1] op_sel_hi:[0,1,1]
	v_pk_fma_f32 v[98:99], v[2:3], v[108:109], v[0:1] op_sel_hi:[0,1,1]
	s_andn2_b64 exec, exec, s[8:9]
	s_cbranch_execnz .LBB123_39
; %bb.40:
	s_or_b64 exec, exec, s[8:9]
.LBB123_41:
	s_or_b64 exec, exec, s[0:1]
.LBB123_42:
	s_or_b64 exec, exec, s[2:3]
.LBB123_43:
	v_mov_b32_dpp v6, v103 row_shr:1 row_mask:0xf bank_mask:0xf
	v_add_f32_e32 v6, v103, v6
	v_mov_b32_dpp v0, v104 row_shr:1 row_mask:0xf bank_mask:0xf
	v_mov_b32_dpp v2, v105 row_shr:1 row_mask:0xf bank_mask:0xf
	v_mov_b32_dpp v7, v6 row_shr:2 row_mask:0xf bank_mask:0xf
	v_add_f32_e32 v6, v6, v7
	v_mov_b32_dpp v4, v102 row_shr:1 row_mask:0xf bank_mask:0xf
	v_add_f32_e32 v0, v104, v0
	v_mov_b32_dpp v7, v6 row_shr:4 row_mask:0xf bank_mask:0xe
	v_add_f32_e32 v6, v6, v7
	v_add_f32_e32 v2, v105, v2
	v_add_f32_e32 v4, v102, v4
	v_mov_b32_dpp v7, v6 row_shr:8 row_mask:0xf bank_mask:0xc
	v_add_f32_e32 v7, v6, v7
	v_mov_b32_dpp v6, v100 row_shr:1 row_mask:0xf bank_mask:0xf
	v_add_f32_e32 v6, v100, v6
	v_mov_b32_dpp v1, v0 row_shr:2 row_mask:0xf bank_mask:0xf
	v_mov_b32_dpp v3, v2 row_shr:2 row_mask:0xf bank_mask:0xf
	v_mov_b32_dpp v8, v6 row_shr:2 row_mask:0xf bank_mask:0xf
	v_add_f32_e32 v6, v6, v8
	v_mov_b32_dpp v5, v4 row_shr:2 row_mask:0xf bank_mask:0xf
	v_add_f32_e32 v0, v0, v1
	v_mov_b32_dpp v8, v6 row_shr:4 row_mask:0xf bank_mask:0xe
	v_add_f32_e32 v6, v6, v8
	v_add_f32_e32 v2, v2, v3
	v_add_f32_e32 v4, v4, v5
	v_mov_b32_dpp v8, v6 row_shr:8 row_mask:0xf bank_mask:0xc
	v_add_f32_e32 v10, v6, v8
	;; [unrolled: 14-line block ×4, first 2 shown]
	v_mov_b32_dpp v6, v99 row_shr:1 row_mask:0xf bank_mask:0xf
	v_add_f32_e32 v6, v99, v6
	v_mov_b32_dpp v1, v0 row_bcast:15 row_mask:0xa bank_mask:0xf
	v_mov_b32_dpp v3, v2 row_bcast:15 row_mask:0xa bank_mask:0xf
	v_mov_b32_dpp v8, v6 row_shr:2 row_mask:0xf bank_mask:0xf
	v_add_f32_e32 v6, v6, v8
	v_mov_b32_dpp v5, v4 row_bcast:15 row_mask:0xa bank_mask:0xf
	v_mov_b32_dpp v9, v7 row_bcast:15 row_mask:0xa bank_mask:0xf
	;; [unrolled: 4-line block ×3, first 2 shown]
	v_mov_b32_dpp v8, v6 row_shr:8 row_mask:0xf bank_mask:0xc
	v_add_f32_e32 v18, v6, v8
	v_mov_b32_dpp v17, v16 row_bcast:15 row_mask:0xa bank_mask:0xf
	v_cmp_eq_u32_e32 vcc, 31, v93
	v_mov_b32_dpp v19, v18 row_bcast:15 row_mask:0xa bank_mask:0xf
	s_and_b64 exec, exec, vcc
	s_cbranch_execz .LBB123_14
; %bb.44:
	s_load_dwordx2 s[2:3], s[4:5], 0x50
	v_add_f32_e32 v8, v0, v1
	v_and_b32_e32 v1, 0x7fffffff, v90
	v_cmp_eq_u32_e32 vcc, 0, v1
	v_cmp_eq_f32_e64 s[0:1], 0, v91
	v_add_f32_e32 v14, v2, v3
	v_add_f32_e32 v6, v4, v5
	;; [unrolled: 1-line block ×7, first 2 shown]
	s_and_b64 s[0:1], vcc, s[0:1]
	v_lshlrev_b32_e32 v16, 2, v92
	s_and_saveexec_b64 s[4:5], s[0:1]
	s_xor_b64 s[0:1], exec, s[4:5]
	s_cbranch_execz .LBB123_46
; %bb.45:
	v_xor_b32_e32 v18, 0x80000000, v89
	v_ashrrev_i32_e32 v17, 31, v16
	v_mov_b32_e32 v19, v88
	v_lshlrev_b64 v[16:17], 3, v[16:17]
	v_pk_mul_f32 v[14:15], v[14:15], v[18:19] op_sel_hi:[0,1]
	s_waitcnt lgkmcnt(0)
	v_mov_b32_e32 v1, s3
	v_add_co_u32_e32 v20, vcc, s2, v16
	v_pk_fma_f32 v[14:15], v[88:89], v[8:9], v[14:15] op_sel_hi:[1,0,1]
	v_pk_mul_f32 v[8:9], v[12:13], v[18:19] op_sel_hi:[0,1]
	v_addc_co_u32_e32 v21, vcc, v1, v17, vcc
	v_pk_fma_f32 v[16:17], v[88:89], v[6:7], v[8:9] op_sel_hi:[1,0,1]
	v_pk_mul_f32 v[6:7], v[10:11], v[18:19] op_sel_hi:[0,1]
	v_pk_mul_f32 v[4:5], v[4:5], v[18:19] op_sel_hi:[0,1]
	v_pk_fma_f32 v[2:3], v[88:89], v[2:3], v[6:7] op_sel_hi:[1,0,1]
	v_pk_fma_f32 v[4:5], v[88:89], v[0:1], v[4:5] op_sel_hi:[1,0,1]
	global_store_dwordx4 v[20:21], v[14:17], off
	global_store_dwordx4 v[20:21], v[2:5], off offset:16
                                        ; implicit-def: $vgpr89
                                        ; implicit-def: $vgpr90
                                        ; implicit-def: $vgpr8
                                        ; implicit-def: $vgpr14
                                        ; implicit-def: $vgpr6
                                        ; implicit-def: $vgpr12
                                        ; implicit-def: $vgpr2
                                        ; implicit-def: $vgpr10
                                        ; implicit-def: $vgpr0
                                        ; implicit-def: $vgpr4
                                        ; implicit-def: $vgpr16
.LBB123_46:
	s_andn2_saveexec_b64 s[0:1], s[0:1]
	s_cbranch_execz .LBB123_14
; %bb.47:
	v_ashrrev_i32_e32 v17, 31, v16
	v_lshlrev_b64 v[16:17], 3, v[16:17]
	s_waitcnt lgkmcnt(0)
	v_mov_b32_e32 v1, s3
	v_add_co_u32_e32 v24, vcc, s2, v16
	v_addc_co_u32_e32 v25, vcc, v1, v17, vcc
	global_load_dwordx4 v[16:19], v[24:25], off
	global_load_dwordx4 v[20:23], v[24:25], off offset:16
	v_xor_b32_e32 v26, 0x80000000, v89
	v_mov_b32_e32 v27, v88
	v_pk_mul_f32 v[14:15], v[14:15], v[26:27] op_sel_hi:[0,1]
	v_pk_mul_f32 v[12:13], v[12:13], v[26:27] op_sel_hi:[0,1]
	;; [unrolled: 1-line block ×4, first 2 shown]
	v_pk_fma_f32 v[8:9], v[88:89], v[8:9], v[14:15] op_sel_hi:[1,0,1]
	v_pk_fma_f32 v[6:7], v[88:89], v[6:7], v[12:13] op_sel_hi:[1,0,1]
	v_xor_b32_e32 v28, 0x80000000, v91
	v_mov_b32_e32 v29, v90
	v_pk_fma_f32 v[2:3], v[88:89], v[2:3], v[10:11] op_sel_hi:[1,0,1]
	v_pk_fma_f32 v[0:1], v[88:89], v[0:1], v[4:5] op_sel_hi:[1,0,1]
	s_waitcnt vmcnt(1)
	v_pk_fma_f32 v[4:5], v[90:91], v[16:17], v[8:9] op_sel_hi:[1,0,1]
	v_pk_fma_f32 v[6:7], v[90:91], v[18:19], v[6:7] op_sel_hi:[1,0,1]
	v_mov_b32_e32 v8, v19
	s_waitcnt vmcnt(0)
	v_pk_fma_f32 v[10:11], v[90:91], v[20:21], v[2:3] op_sel_hi:[1,0,1]
	v_pk_fma_f32 v[12:13], v[90:91], v[22:23], v[0:1] op_sel_hi:[1,0,1]
	v_mov_b32_e32 v14, v23
	v_pk_fma_f32 v[0:1], v[28:29], v[16:17], v[4:5] op_sel:[0,1,0]
	v_pk_fma_f32 v[2:3], v[28:29], v[8:9], v[6:7] op_sel_hi:[1,0,1]
	v_pk_fma_f32 v[4:5], v[28:29], v[20:21], v[10:11] op_sel:[0,1,0]
	v_pk_fma_f32 v[6:7], v[28:29], v[14:15], v[12:13] op_sel_hi:[1,0,1]
	global_store_dwordx4 v[24:25], v[0:3], off
	global_store_dwordx4 v[24:25], v[4:7], off offset:16
	s_endpgm
	.section	.rodata,"a",@progbits
	.p2align	6, 0x0
	.amdhsa_kernel _ZN9rocsparseL18bsrxmvn_4x4_kernelILj128ELj32E21rocsparse_complex_numIfEiifS2_S2_EEvT3_20rocsparse_direction_NS_24const_host_device_scalarIT1_EES3_PKS3_PKT2_SC_S9_PKT4_PKT5_S7_PT6_21rocsparse_index_base_b
		.amdhsa_group_segment_fixed_size 0
		.amdhsa_private_segment_fixed_size 0
		.amdhsa_kernarg_size 96
		.amdhsa_user_sgpr_count 6
		.amdhsa_user_sgpr_private_segment_buffer 1
		.amdhsa_user_sgpr_dispatch_ptr 0
		.amdhsa_user_sgpr_queue_ptr 0
		.amdhsa_user_sgpr_kernarg_segment_ptr 1
		.amdhsa_user_sgpr_dispatch_id 0
		.amdhsa_user_sgpr_flat_scratch_init 0
		.amdhsa_user_sgpr_kernarg_preload_length 0
		.amdhsa_user_sgpr_kernarg_preload_offset 0
		.amdhsa_user_sgpr_private_segment_size 0
		.amdhsa_uses_dynamic_stack 0
		.amdhsa_system_sgpr_private_segment_wavefront_offset 0
		.amdhsa_system_sgpr_workgroup_id_x 1
		.amdhsa_system_sgpr_workgroup_id_y 0
		.amdhsa_system_sgpr_workgroup_id_z 0
		.amdhsa_system_sgpr_workgroup_info 0
		.amdhsa_system_vgpr_workitem_id 0
		.amdhsa_next_free_vgpr 130
		.amdhsa_next_free_sgpr 18
		.amdhsa_accum_offset 132
		.amdhsa_reserve_vcc 1
		.amdhsa_reserve_flat_scratch 0
		.amdhsa_float_round_mode_32 0
		.amdhsa_float_round_mode_16_64 0
		.amdhsa_float_denorm_mode_32 3
		.amdhsa_float_denorm_mode_16_64 3
		.amdhsa_dx10_clamp 1
		.amdhsa_ieee_mode 1
		.amdhsa_fp16_overflow 0
		.amdhsa_tg_split 0
		.amdhsa_exception_fp_ieee_invalid_op 0
		.amdhsa_exception_fp_denorm_src 0
		.amdhsa_exception_fp_ieee_div_zero 0
		.amdhsa_exception_fp_ieee_overflow 0
		.amdhsa_exception_fp_ieee_underflow 0
		.amdhsa_exception_fp_ieee_inexact 0
		.amdhsa_exception_int_div_zero 0
	.end_amdhsa_kernel
	.section	.text._ZN9rocsparseL18bsrxmvn_4x4_kernelILj128ELj32E21rocsparse_complex_numIfEiifS2_S2_EEvT3_20rocsparse_direction_NS_24const_host_device_scalarIT1_EES3_PKS3_PKT2_SC_S9_PKT4_PKT5_S7_PT6_21rocsparse_index_base_b,"axG",@progbits,_ZN9rocsparseL18bsrxmvn_4x4_kernelILj128ELj32E21rocsparse_complex_numIfEiifS2_S2_EEvT3_20rocsparse_direction_NS_24const_host_device_scalarIT1_EES3_PKS3_PKT2_SC_S9_PKT4_PKT5_S7_PT6_21rocsparse_index_base_b,comdat
.Lfunc_end123:
	.size	_ZN9rocsparseL18bsrxmvn_4x4_kernelILj128ELj32E21rocsparse_complex_numIfEiifS2_S2_EEvT3_20rocsparse_direction_NS_24const_host_device_scalarIT1_EES3_PKS3_PKT2_SC_S9_PKT4_PKT5_S7_PT6_21rocsparse_index_base_b, .Lfunc_end123-_ZN9rocsparseL18bsrxmvn_4x4_kernelILj128ELj32E21rocsparse_complex_numIfEiifS2_S2_EEvT3_20rocsparse_direction_NS_24const_host_device_scalarIT1_EES3_PKS3_PKT2_SC_S9_PKT4_PKT5_S7_PT6_21rocsparse_index_base_b
                                        ; -- End function
	.section	.AMDGPU.csdata,"",@progbits
; Kernel info:
; codeLenInByte = 7184
; NumSgprs: 22
; NumVgprs: 130
; NumAgprs: 0
; TotalNumVgprs: 130
; ScratchSize: 0
; MemoryBound: 0
; FloatMode: 240
; IeeeMode: 1
; LDSByteSize: 0 bytes/workgroup (compile time only)
; SGPRBlocks: 2
; VGPRBlocks: 16
; NumSGPRsForWavesPerEU: 22
; NumVGPRsForWavesPerEU: 130
; AccumOffset: 132
; Occupancy: 3
; WaveLimiterHint : 1
; COMPUTE_PGM_RSRC2:SCRATCH_EN: 0
; COMPUTE_PGM_RSRC2:USER_SGPR: 6
; COMPUTE_PGM_RSRC2:TRAP_HANDLER: 0
; COMPUTE_PGM_RSRC2:TGID_X_EN: 1
; COMPUTE_PGM_RSRC2:TGID_Y_EN: 0
; COMPUTE_PGM_RSRC2:TGID_Z_EN: 0
; COMPUTE_PGM_RSRC2:TIDIG_COMP_CNT: 0
; COMPUTE_PGM_RSRC3_GFX90A:ACCUM_OFFSET: 32
; COMPUTE_PGM_RSRC3_GFX90A:TG_SPLIT: 0
	.section	.text._ZN9rocsparseL18bsrxmvn_4x4_kernelILj128ELj64E21rocsparse_complex_numIfEiifS2_S2_EEvT3_20rocsparse_direction_NS_24const_host_device_scalarIT1_EES3_PKS3_PKT2_SC_S9_PKT4_PKT5_S7_PT6_21rocsparse_index_base_b,"axG",@progbits,_ZN9rocsparseL18bsrxmvn_4x4_kernelILj128ELj64E21rocsparse_complex_numIfEiifS2_S2_EEvT3_20rocsparse_direction_NS_24const_host_device_scalarIT1_EES3_PKS3_PKT2_SC_S9_PKT4_PKT5_S7_PT6_21rocsparse_index_base_b,comdat
	.globl	_ZN9rocsparseL18bsrxmvn_4x4_kernelILj128ELj64E21rocsparse_complex_numIfEiifS2_S2_EEvT3_20rocsparse_direction_NS_24const_host_device_scalarIT1_EES3_PKS3_PKT2_SC_S9_PKT4_PKT5_S7_PT6_21rocsparse_index_base_b ; -- Begin function _ZN9rocsparseL18bsrxmvn_4x4_kernelILj128ELj64E21rocsparse_complex_numIfEiifS2_S2_EEvT3_20rocsparse_direction_NS_24const_host_device_scalarIT1_EES3_PKS3_PKT2_SC_S9_PKT4_PKT5_S7_PT6_21rocsparse_index_base_b
	.p2align	8
	.type	_ZN9rocsparseL18bsrxmvn_4x4_kernelILj128ELj64E21rocsparse_complex_numIfEiifS2_S2_EEvT3_20rocsparse_direction_NS_24const_host_device_scalarIT1_EES3_PKS3_PKT2_SC_S9_PKT4_PKT5_S7_PT6_21rocsparse_index_base_b,@function
_ZN9rocsparseL18bsrxmvn_4x4_kernelILj128ELj64E21rocsparse_complex_numIfEiifS2_S2_EEvT3_20rocsparse_direction_NS_24const_host_device_scalarIT1_EES3_PKS3_PKT2_SC_S9_PKT4_PKT5_S7_PT6_21rocsparse_index_base_b: ; @_ZN9rocsparseL18bsrxmvn_4x4_kernelILj128ELj64E21rocsparse_complex_numIfEiifS2_S2_EEvT3_20rocsparse_direction_NS_24const_host_device_scalarIT1_EES3_PKS3_PKT2_SC_S9_PKT4_PKT5_S7_PT6_21rocsparse_index_base_b
; %bb.0:
	s_load_dwordx2 s[16:17], s[4:5], 0x58
	s_load_dwordx2 s[8:9], s[4:5], 0x8
	s_load_dwordx2 s[2:3], s[4:5], 0x48
	s_waitcnt lgkmcnt(0)
	s_bitcmp1_b32 s17, 0
	s_cselect_b64 s[0:1], -1, 0
	s_xor_b64 s[10:11], s[0:1], -1
	s_and_b64 vcc, exec, s[0:1]
	v_mov_b32_e32 v72, s8
	s_cbranch_vccnz .LBB124_2
; %bb.1:
	v_pk_mov_b32 v[2:3], s[8:9], s[8:9] op_sel:[0,1]
	flat_load_dword v72, v[2:3]
.LBB124_2:
	v_cndmask_b32_e64 v1, 0, 1, s[10:11]
	v_cmp_ne_u32_e64 s[0:1], 1, v1
	s_andn2_b64 vcc, exec, s[10:11]
	v_mov_b32_e32 v73, s9
	s_cbranch_vccz .LBB124_15
; %bb.3:
	s_and_b64 vcc, exec, s[0:1]
	v_mov_b32_e32 v74, s2
	s_cbranch_vccz .LBB124_16
.LBB124_4:
	s_and_b64 vcc, exec, s[0:1]
	v_mov_b32_e32 v75, s3
	s_cbranch_vccnz .LBB124_6
.LBB124_5:
	v_pk_mov_b32 v[2:3], s[2:3], s[2:3] op_sel:[0,1]
	flat_load_dword v75, v[2:3] offset:4
.LBB124_6:
	s_waitcnt vmcnt(0) lgkmcnt(0)
	v_and_b32_e32 v1, 0x7fffffff, v72
	v_cmp_eq_u32_e32 vcc, 0, v1
	v_cmp_eq_f32_e64 s[0:1], 0, v73
	s_and_b64 s[8:9], vcc, s[0:1]
	s_mov_b64 s[0:1], -1
	s_and_saveexec_b64 s[2:3], s[8:9]
; %bb.7:
	v_and_b32_e32 v1, 0x7fffffff, v75
	v_cmp_neq_f32_e32 vcc, 1.0, v74
	v_cmp_ne_u32_e64 s[0:1], 0, v1
	s_or_b64 s[0:1], vcc, s[0:1]
	s_orn2_b64 s[0:1], s[0:1], exec
; %bb.8:
	s_or_b64 exec, exec, s[2:3]
	s_and_saveexec_b64 s[2:3], s[0:1]
	s_cbranch_execz .LBB124_14
; %bb.9:
	s_load_dwordx2 s[8:9], s[4:5], 0x18
	s_load_dwordx2 s[0:1], s[4:5], 0x0
	v_lshrrev_b32_e32 v1, 6, v0
	v_lshl_or_b32 v76, s6, 1, v1
	s_mov_b64 s[2:3], 0
	s_waitcnt lgkmcnt(0)
	s_cmp_lg_u64 s[8:9], 0
	s_cbranch_scc0 .LBB124_17
; %bb.10:
	s_load_dword s6, s[4:5], 0x10
                                        ; implicit-def: $vgpr1
	s_waitcnt lgkmcnt(0)
	v_cmp_gt_i32_e32 vcc, s6, v76
	s_and_saveexec_b64 s[6:7], vcc
	s_xor_b64 s[6:7], exec, s[6:7]
	s_cbranch_execz .LBB124_12
; %bb.11:
	v_ashrrev_i32_e32 v77, 31, v76
	v_lshlrev_b64 v[2:3], 2, v[76:77]
	v_mov_b32_e32 v1, s9
	v_add_co_u32_e32 v2, vcc, s8, v2
	v_addc_co_u32_e32 v3, vcc, v1, v3, vcc
	global_load_dword v1, v[2:3], off
	s_mov_b64 s[2:3], exec
	s_waitcnt vmcnt(0)
	v_subrev_u32_e32 v1, s16, v1
.LBB124_12:
	s_or_b64 exec, exec, s[6:7]
	s_branch .LBB124_18
.LBB124_13:
	v_cmp_gt_i32_e32 vcc, s0, v76
	s_andn2_b64 s[2:3], s[2:3], exec
	s_and_b64 s[6:7], vcc, exec
	s_or_b64 s[2:3], s[2:3], s[6:7]
	s_and_b64 exec, exec, s[2:3]
	s_cbranch_execnz .LBB124_19
.LBB124_14:
	s_endpgm
.LBB124_15:
	v_pk_mov_b32 v[2:3], s[8:9], s[8:9] op_sel:[0,1]
	flat_load_dword v73, v[2:3] offset:4
	s_and_b64 vcc, exec, s[0:1]
	v_mov_b32_e32 v74, s2
	s_cbranch_vccnz .LBB124_4
.LBB124_16:
	v_pk_mov_b32 v[2:3], s[2:3], s[2:3] op_sel:[0,1]
	flat_load_dword v74, v[2:3]
	s_and_b64 vcc, exec, s[0:1]
	v_mov_b32_e32 v75, s3
	s_cbranch_vccz .LBB124_5
	s_branch .LBB124_6
.LBB124_17:
                                        ; implicit-def: $vgpr1
	s_cbranch_execnz .LBB124_13
.LBB124_18:
	v_mov_b32_e32 v76, v1
	s_and_b64 exec, exec, s[2:3]
	s_cbranch_execz .LBB124_14
.LBB124_19:
	s_load_dwordx8 s[8:15], s[4:5], 0x20
	v_ashrrev_i32_e32 v77, 31, v76
	v_lshlrev_b64 v[2:3], 2, v[76:77]
	v_and_b32_e32 v77, 63, v0
	s_load_dwordx2 s[6:7], s[4:5], 0x40
	s_waitcnt lgkmcnt(0)
	v_mov_b32_e32 v1, s9
	v_add_co_u32_e32 v4, vcc, s8, v2
	v_addc_co_u32_e32 v5, vcc, v1, v3, vcc
	v_add_co_u32_e32 v1, vcc, 4, v4
	global_load_dword v18, v[4:5], off
	v_addc_co_u32_e32 v4, vcc, 0, v5, vcc
	v_mov_b32_e32 v5, s11
	v_add_co_u32_e32 v2, vcc, s10, v2
	s_cmp_eq_u64 s[10:11], 0
	v_addc_co_u32_e32 v3, vcc, v5, v3, vcc
	s_cselect_b64 vcc, -1, 0
	v_cndmask_b32_e32 v3, v3, v4, vcc
	v_cndmask_b32_e32 v2, v2, v1, vcc
	global_load_dword v1, v[2:3], off
	v_mov_b32_e32 v2, s15
	s_cmp_eq_u32 s1, 1
	s_waitcnt vmcnt(1)
	v_subrev_u32_e32 v0, s16, v18
	v_add_u32_e32 v78, v0, v77
	v_ashrrev_i32_e32 v79, 31, v78
	s_waitcnt vmcnt(0)
	v_subrev_u32_e32 v95, s16, v1
	v_lshlrev_b64 v[0:1], 6, v[78:79]
	v_add_co_u32_e32 v80, vcc, s14, v0
	v_addc_co_u32_e32 v81, vcc, v2, v1, vcc
	v_cmp_lt_i32_e64 s[0:1], v78, v95
	s_cbranch_scc1 .LBB124_31
; %bb.20:
	s_mov_b32 s2, 0
	v_mov_b32_e32 v89, 0
	v_mov_b32_e32 v88, 0
	;; [unrolled: 1-line block ×8, first 2 shown]
	s_and_saveexec_b64 s[8:9], s[0:1]
	s_cbranch_execz .LBB124_30
; %bb.21:
	v_add_u32_e32 v0, v18, v77
	v_subrev_u32_e32 v0, s16, v0
	v_add_u32_e32 v0, 64, v0
	v_max_i32_e32 v0, v0, v95
	v_not_b32_e32 v1, v18
	v_add3_u32 v0, v0, s16, v1
	v_sub_u32_e32 v8, v0, v77
	v_lshrrev_b32_e32 v0, 6, v8
	v_add_u32_e32 v0, 1, v0
	v_and_b32_e32 v1, 3, v0
	s_mov_b32 s3, s2
	v_cmp_ne_u32_e32 vcc, 0, v1
	v_pk_mov_b32 v[88:89], s[2:3], s[2:3] op_sel:[0,1]
	v_pk_mov_b32 v[86:87], s[2:3], s[2:3] op_sel:[0,1]
	;; [unrolled: 1-line block ×5, first 2 shown]
	v_mov_b32_e32 v0, v78
	s_and_saveexec_b64 s[2:3], vcc
	s_cbranch_execz .LBB124_25
; %bb.22:
	v_mov_b32_e32 v5, 0
	v_lshlrev_b32_e32 v9, 6, v1
	s_mov_b64 s[10:11], 0
	v_mov_b32_e32 v10, s13
	v_mov_b32_e32 v11, s7
	s_movk_i32 s14, 0x1000
	v_bfrev_b32_e32 v6, 1
	v_mov_b32_e32 v0, v78
	v_pk_mov_b32 v[2:3], v[80:81], v[80:81] op_sel:[0,1]
	v_mov_b32_e32 v82, v5
	v_mov_b32_e32 v83, v5
	;; [unrolled: 1-line block ×8, first 2 shown]
.LBB124_23:                             ; =>This Inner Loop Header: Depth=1
	v_ashrrev_i32_e32 v1, 31, v0
	v_lshlrev_b64 v[12:13], 2, v[0:1]
	v_add_co_u32_e32 v16, vcc, s12, v12
	v_addc_co_u32_e32 v17, vcc, v10, v13, vcc
	global_load_dword v1, v[16:17], off
	global_load_dwordx4 v[12:15], v[2:3], off offset:16
	global_load_dwordx4 v[20:23], v[2:3], off
	v_subrev_u32_e32 v9, 64, v9
	v_add_u32_e32 v0, 64, v0
	s_waitcnt vmcnt(2)
	v_subrev_u32_e32 v1, s16, v1
	v_lshlrev_b32_e32 v16, 2, v1
	v_ashrrev_i32_e32 v17, 31, v16
	v_lshlrev_b64 v[16:17], 3, v[16:17]
	v_add_co_u32_e32 v16, vcc, s6, v16
	v_addc_co_u32_e32 v17, vcc, v11, v17, vcc
	global_load_dwordx4 v[24:27], v[16:17], off
	global_load_dwordx4 v[28:31], v[16:17], off offset:16
	global_load_dwordx4 v[32:35], v[2:3], off offset:32
	;; [unrolled: 1-line block ×3, first 2 shown]
	s_waitcnt vmcnt(4)
	v_mov_b32_e32 v4, v20
	v_mov_b32_e32 v7, v20
	v_add_co_u32_e32 v2, vcc, s14, v2
	v_addc_co_u32_e32 v3, vcc, 0, v3, vcc
	v_cmp_eq_u32_e32 vcc, 0, v9
	s_or_b64 s[10:11], vcc, s[10:11]
	s_waitcnt vmcnt(3)
	v_pk_fma_f32 v[16:17], v[24:25], v[4:5], v[88:89] op_sel_hi:[0,1,1]
	v_mov_b32_e32 v4, v21
	v_pk_fma_f32 v[16:17], v[24:25], v[6:7], v[16:17] op_sel:[1,0,0]
	v_mov_b32_e32 v20, v27
	v_mov_b32_e32 v7, v21
	v_pk_fma_f32 v[16:17], v[26:27], v[4:5], v[16:17] op_sel_hi:[0,1,1]
	v_mov_b32_e32 v4, v22
	v_pk_fma_f32 v[16:17], v[20:21], v[6:7], v[16:17] op_sel_hi:[0,1,1]
	v_mov_b32_e32 v7, v22
	s_waitcnt vmcnt(2)
	v_pk_fma_f32 v[16:17], v[28:29], v[4:5], v[16:17] op_sel_hi:[0,1,1]
	v_mov_b32_e32 v4, v23
	v_pk_fma_f32 v[16:17], v[28:29], v[6:7], v[16:17] op_sel:[1,0,0]
	v_mov_b32_e32 v40, v31
	v_mov_b32_e32 v7, v23
	v_pk_fma_f32 v[16:17], v[30:31], v[4:5], v[16:17] op_sel_hi:[0,1,1]
	v_mov_b32_e32 v4, v12
	v_pk_fma_f32 v[88:89], v[40:41], v[6:7], v[16:17] op_sel_hi:[0,1,1]
	v_pk_fma_f32 v[16:17], v[24:25], v[4:5], v[86:87] op_sel_hi:[0,1,1]
	v_mov_b32_e32 v7, v12
	v_mov_b32_e32 v4, v13
	v_pk_fma_f32 v[16:17], v[24:25], v[6:7], v[16:17] op_sel:[1,0,0]
	v_mov_b32_e32 v7, v13
	v_pk_fma_f32 v[12:13], v[26:27], v[4:5], v[16:17] op_sel_hi:[0,1,1]
	v_mov_b32_e32 v4, v14
	v_pk_fma_f32 v[12:13], v[20:21], v[6:7], v[12:13] op_sel_hi:[0,1,1]
	;; [unrolled: 2-line block ×3, first 2 shown]
	v_mov_b32_e32 v4, v15
	v_pk_fma_f32 v[12:13], v[28:29], v[6:7], v[12:13] op_sel:[1,0,0]
	v_mov_b32_e32 v7, v15
	v_pk_fma_f32 v[12:13], v[30:31], v[4:5], v[12:13] op_sel_hi:[0,1,1]
	s_waitcnt vmcnt(1)
	v_mov_b32_e32 v4, v32
	v_pk_fma_f32 v[86:87], v[40:41], v[6:7], v[12:13] op_sel_hi:[0,1,1]
	v_pk_fma_f32 v[12:13], v[24:25], v[4:5], v[84:85] op_sel_hi:[0,1,1]
	v_mov_b32_e32 v7, v32
	v_mov_b32_e32 v4, v33
	v_pk_fma_f32 v[12:13], v[24:25], v[6:7], v[12:13] op_sel:[1,0,0]
	v_mov_b32_e32 v7, v33
	v_pk_fma_f32 v[12:13], v[26:27], v[4:5], v[12:13] op_sel_hi:[0,1,1]
	v_mov_b32_e32 v4, v34
	v_pk_fma_f32 v[12:13], v[20:21], v[6:7], v[12:13] op_sel_hi:[0,1,1]
	;; [unrolled: 2-line block ×3, first 2 shown]
	v_mov_b32_e32 v4, v35
	v_pk_fma_f32 v[12:13], v[28:29], v[6:7], v[12:13] op_sel:[1,0,0]
	v_mov_b32_e32 v7, v35
	v_pk_fma_f32 v[12:13], v[30:31], v[4:5], v[12:13] op_sel_hi:[0,1,1]
	s_waitcnt vmcnt(0)
	v_mov_b32_e32 v4, v36
	v_pk_fma_f32 v[84:85], v[40:41], v[6:7], v[12:13] op_sel_hi:[0,1,1]
	v_pk_fma_f32 v[12:13], v[24:25], v[4:5], v[82:83] op_sel_hi:[0,1,1]
	v_mov_b32_e32 v7, v36
	v_mov_b32_e32 v4, v37
	v_pk_fma_f32 v[12:13], v[24:25], v[6:7], v[12:13] op_sel:[1,0,0]
	v_mov_b32_e32 v7, v37
	v_pk_fma_f32 v[12:13], v[26:27], v[4:5], v[12:13] op_sel_hi:[0,1,1]
	v_mov_b32_e32 v4, v38
	v_pk_fma_f32 v[12:13], v[20:21], v[6:7], v[12:13] op_sel_hi:[0,1,1]
	;; [unrolled: 2-line block ×3, first 2 shown]
	v_mov_b32_e32 v4, v39
	v_pk_fma_f32 v[12:13], v[28:29], v[6:7], v[12:13] op_sel:[1,0,0]
	v_mov_b32_e32 v7, v39
	v_pk_fma_f32 v[12:13], v[30:31], v[4:5], v[12:13] op_sel_hi:[0,1,1]
	v_pk_fma_f32 v[82:83], v[40:41], v[6:7], v[12:13] op_sel_hi:[0,1,1]
	s_andn2_b64 exec, exec, s[10:11]
	s_cbranch_execnz .LBB124_23
; %bb.24:
	s_or_b64 exec, exec, s[10:11]
.LBB124_25:
	s_or_b64 exec, exec, s[2:3]
	s_movk_i32 s2, 0xbf
	v_cmp_lt_u32_e32 vcc, s2, v8
	s_and_saveexec_b64 s[10:11], vcc
	s_cbranch_execz .LBB124_29
; %bb.26:
	s_mov_b64 s[14:15], 0
	v_mov_b32_e32 v19, s13
	v_mov_b32_e32 v20, s7
	s_movk_i32 s17, 0x1000
	s_movk_i32 s18, 0x2000
	;; [unrolled: 1-line block ×3, first 2 shown]
	v_mov_b32_e32 v5, 0
	v_bfrev_b32_e32 v6, 1
.LBB124_27:                             ; =>This Inner Loop Header: Depth=1
	v_ashrrev_i32_e32 v1, 31, v0
	v_lshlrev_b64 v[8:9], 2, v[0:1]
	v_add_co_u32_e32 v8, vcc, s12, v8
	v_addc_co_u32_e32 v9, vcc, v19, v9, vcc
	global_load_dword v1, v[8:9], off
	global_load_dwordx4 v[10:13], v[2:3], off offset:48
	global_load_dwordx4 v[14:17], v[2:3], off offset:32
	;; [unrolled: 1-line block ×3, first 2 shown]
	global_load_dwordx4 v[26:29], v[2:3], off
	v_add_u32_e32 v0, 0x100, v0
	v_cmp_ge_i32_e64 s[2:3], v0, v95
	s_or_b64 s[14:15], s[2:3], s[14:15]
	s_waitcnt vmcnt(4)
	v_subrev_u32_e32 v1, s16, v1
	v_lshlrev_b32_e32 v30, 2, v1
	v_ashrrev_i32_e32 v31, 31, v30
	v_lshlrev_b64 v[30:31], 3, v[30:31]
	v_add_co_u32_e32 v38, vcc, s6, v30
	v_addc_co_u32_e32 v39, vcc, v20, v31, vcc
	global_load_dwordx4 v[30:33], v[38:39], off offset:16
	global_load_dwordx4 v[34:37], v[38:39], off
	global_load_dword v1, v[8:9], off offset:256
	s_waitcnt vmcnt(3)
	v_mov_b32_e32 v4, v26
	v_mov_b32_e32 v7, v26
	s_waitcnt vmcnt(1)
	v_pk_fma_f32 v[38:39], v[34:35], v[4:5], v[88:89] op_sel_hi:[0,1,1]
	v_pk_fma_f32 v[38:39], v[34:35], v[6:7], v[38:39] op_sel:[1,0,0]
	v_mov_b32_e32 v4, v27
	v_pk_fma_f32 v[38:39], v[36:37], v[4:5], v[38:39] op_sel_hi:[0,1,1]
	v_mov_b32_e32 v26, v37
	v_mov_b32_e32 v7, v27
	v_pk_fma_f32 v[38:39], v[26:27], v[6:7], v[38:39] op_sel_hi:[0,1,1]
	v_mov_b32_e32 v4, v28
	v_pk_fma_f32 v[38:39], v[30:31], v[4:5], v[38:39] op_sel_hi:[0,1,1]
	v_mov_b32_e32 v7, v28
	v_pk_fma_f32 v[38:39], v[30:31], v[6:7], v[38:39] op_sel:[1,0,0]
	v_mov_b32_e32 v4, v29
	v_pk_fma_f32 v[38:39], v[32:33], v[4:5], v[38:39] op_sel_hi:[0,1,1]
	v_mov_b32_e32 v28, v33
	v_mov_b32_e32 v7, v29
	;; [unrolled: 1-line block ×3, first 2 shown]
	v_pk_fma_f32 v[38:39], v[28:29], v[6:7], v[38:39] op_sel_hi:[0,1,1]
	v_pk_fma_f32 v[40:41], v[34:35], v[4:5], v[86:87] op_sel_hi:[0,1,1]
	v_mov_b32_e32 v7, v22
	v_pk_fma_f32 v[40:41], v[34:35], v[6:7], v[40:41] op_sel:[1,0,0]
	v_mov_b32_e32 v4, v23
	v_pk_fma_f32 v[40:41], v[36:37], v[4:5], v[40:41] op_sel_hi:[0,1,1]
	v_mov_b32_e32 v7, v23
	v_pk_fma_f32 v[22:23], v[26:27], v[6:7], v[40:41] op_sel_hi:[0,1,1]
	;; [unrolled: 2-line block ×3, first 2 shown]
	v_mov_b32_e32 v7, v24
	v_pk_fma_f32 v[22:23], v[30:31], v[6:7], v[22:23] op_sel:[1,0,0]
	v_mov_b32_e32 v4, v25
	v_pk_fma_f32 v[22:23], v[32:33], v[4:5], v[22:23] op_sel_hi:[0,1,1]
	v_mov_b32_e32 v7, v25
	v_mov_b32_e32 v4, v14
	v_pk_fma_f32 v[40:41], v[28:29], v[6:7], v[22:23] op_sel_hi:[0,1,1]
	v_pk_fma_f32 v[22:23], v[34:35], v[4:5], v[84:85] op_sel_hi:[0,1,1]
	v_mov_b32_e32 v7, v14
	v_pk_fma_f32 v[22:23], v[34:35], v[6:7], v[22:23] op_sel:[1,0,0]
	v_mov_b32_e32 v4, v15
	v_pk_fma_f32 v[22:23], v[36:37], v[4:5], v[22:23] op_sel_hi:[0,1,1]
	v_mov_b32_e32 v7, v15
	v_pk_fma_f32 v[14:15], v[26:27], v[6:7], v[22:23] op_sel_hi:[0,1,1]
	;; [unrolled: 2-line block ×3, first 2 shown]
	v_mov_b32_e32 v7, v16
	v_pk_fma_f32 v[14:15], v[30:31], v[6:7], v[14:15] op_sel:[1,0,0]
	v_mov_b32_e32 v4, v17
	v_pk_fma_f32 v[14:15], v[32:33], v[4:5], v[14:15] op_sel_hi:[0,1,1]
	v_mov_b32_e32 v7, v17
	v_mov_b32_e32 v4, v10
	v_pk_fma_f32 v[42:43], v[28:29], v[6:7], v[14:15] op_sel_hi:[0,1,1]
	v_pk_fma_f32 v[14:15], v[34:35], v[4:5], v[82:83] op_sel_hi:[0,1,1]
	v_mov_b32_e32 v7, v10
	v_pk_fma_f32 v[14:15], v[34:35], v[6:7], v[14:15] op_sel:[1,0,0]
	v_mov_b32_e32 v4, v11
	v_pk_fma_f32 v[14:15], v[36:37], v[4:5], v[14:15] op_sel_hi:[0,1,1]
	v_mov_b32_e32 v7, v11
	v_pk_fma_f32 v[10:11], v[26:27], v[6:7], v[14:15] op_sel_hi:[0,1,1]
	;; [unrolled: 2-line block ×3, first 2 shown]
	v_mov_b32_e32 v7, v12
	v_pk_fma_f32 v[10:11], v[30:31], v[6:7], v[10:11] op_sel:[1,0,0]
	v_add_co_u32_e32 v30, vcc, s17, v2
	v_mov_b32_e32 v4, v13
	v_addc_co_u32_e32 v31, vcc, 0, v3, vcc
	s_waitcnt vmcnt(0)
	v_subrev_u32_e32 v1, s16, v1
	v_pk_fma_f32 v[10:11], v[32:33], v[4:5], v[10:11] op_sel_hi:[0,1,1]
	v_lshlrev_b32_e32 v32, 2, v1
	v_add_co_u32_e32 v46, vcc, s18, v2
	v_mov_b32_e32 v7, v13
	v_addc_co_u32_e32 v47, vcc, 0, v3, vcc
	v_ashrrev_i32_e32 v33, 31, v32
	v_pk_fma_f32 v[44:45], v[28:29], v[6:7], v[10:11] op_sel_hi:[0,1,1]
	global_load_dwordx4 v[10:13], v[46:47], off offset:-4096
	global_load_dwordx4 v[14:17], v[30:31], off offset:48
	global_load_dwordx4 v[22:25], v[30:31], off offset:32
	;; [unrolled: 1-line block ×3, first 2 shown]
	v_lshlrev_b64 v[30:31], 3, v[32:33]
	v_add_co_u32_e32 v48, vcc, s6, v30
	v_addc_co_u32_e32 v49, vcc, v20, v31, vcc
	global_load_dwordx4 v[30:33], v[48:49], off offset:16
	global_load_dwordx4 v[34:37], v[48:49], off
	global_load_dword v1, v[8:9], off offset:512
	s_waitcnt vmcnt(6)
	v_mov_b32_e32 v4, v10
	v_mov_b32_e32 v7, v10
	s_waitcnt vmcnt(1)
	v_pk_fma_f32 v[38:39], v[34:35], v[4:5], v[38:39] op_sel_hi:[0,1,1]
	v_pk_fma_f32 v[38:39], v[34:35], v[6:7], v[38:39] op_sel:[1,0,0]
	v_mov_b32_e32 v4, v11
	v_pk_fma_f32 v[38:39], v[36:37], v[4:5], v[38:39] op_sel_hi:[0,1,1]
	v_mov_b32_e32 v10, v37
	v_mov_b32_e32 v7, v11
	v_pk_fma_f32 v[38:39], v[10:11], v[6:7], v[38:39] op_sel_hi:[0,1,1]
	v_mov_b32_e32 v4, v12
	v_pk_fma_f32 v[38:39], v[30:31], v[4:5], v[38:39] op_sel_hi:[0,1,1]
	v_mov_b32_e32 v7, v12
	v_pk_fma_f32 v[38:39], v[30:31], v[6:7], v[38:39] op_sel:[1,0,0]
	v_mov_b32_e32 v4, v13
	v_pk_fma_f32 v[38:39], v[32:33], v[4:5], v[38:39] op_sel_hi:[0,1,1]
	v_mov_b32_e32 v12, v33
	v_mov_b32_e32 v7, v13
	;; [unrolled: 1-line block ×3, first 2 shown]
	v_pk_fma_f32 v[48:49], v[12:13], v[6:7], v[38:39] op_sel_hi:[0,1,1]
	v_pk_fma_f32 v[38:39], v[34:35], v[4:5], v[40:41] op_sel_hi:[0,1,1]
	v_mov_b32_e32 v7, v26
	v_pk_fma_f32 v[38:39], v[34:35], v[6:7], v[38:39] op_sel:[1,0,0]
	v_mov_b32_e32 v4, v27
	v_pk_fma_f32 v[38:39], v[36:37], v[4:5], v[38:39] op_sel_hi:[0,1,1]
	v_mov_b32_e32 v7, v27
	v_pk_fma_f32 v[26:27], v[10:11], v[6:7], v[38:39] op_sel_hi:[0,1,1]
	;; [unrolled: 2-line block ×3, first 2 shown]
	v_mov_b32_e32 v7, v28
	v_pk_fma_f32 v[26:27], v[30:31], v[6:7], v[26:27] op_sel:[1,0,0]
	v_mov_b32_e32 v4, v29
	v_pk_fma_f32 v[26:27], v[32:33], v[4:5], v[26:27] op_sel_hi:[0,1,1]
	v_mov_b32_e32 v7, v29
	v_mov_b32_e32 v4, v22
	v_pk_fma_f32 v[50:51], v[12:13], v[6:7], v[26:27] op_sel_hi:[0,1,1]
	v_pk_fma_f32 v[26:27], v[34:35], v[4:5], v[42:43] op_sel_hi:[0,1,1]
	v_mov_b32_e32 v7, v22
	v_pk_fma_f32 v[26:27], v[34:35], v[6:7], v[26:27] op_sel:[1,0,0]
	v_mov_b32_e32 v4, v23
	v_pk_fma_f32 v[26:27], v[36:37], v[4:5], v[26:27] op_sel_hi:[0,1,1]
	v_mov_b32_e32 v7, v23
	v_pk_fma_f32 v[22:23], v[10:11], v[6:7], v[26:27] op_sel_hi:[0,1,1]
	;; [unrolled: 2-line block ×3, first 2 shown]
	v_mov_b32_e32 v7, v24
	v_pk_fma_f32 v[22:23], v[30:31], v[6:7], v[22:23] op_sel:[1,0,0]
	v_mov_b32_e32 v4, v25
	v_pk_fma_f32 v[22:23], v[32:33], v[4:5], v[22:23] op_sel_hi:[0,1,1]
	v_mov_b32_e32 v7, v25
	v_mov_b32_e32 v4, v14
	v_pk_fma_f32 v[42:43], v[12:13], v[6:7], v[22:23] op_sel_hi:[0,1,1]
	v_pk_fma_f32 v[22:23], v[34:35], v[4:5], v[44:45] op_sel_hi:[0,1,1]
	v_mov_b32_e32 v7, v14
	v_pk_fma_f32 v[22:23], v[34:35], v[6:7], v[22:23] op_sel:[1,0,0]
	v_mov_b32_e32 v4, v15
	v_pk_fma_f32 v[22:23], v[36:37], v[4:5], v[22:23] op_sel_hi:[0,1,1]
	v_mov_b32_e32 v7, v15
	v_pk_fma_f32 v[10:11], v[10:11], v[6:7], v[22:23] op_sel_hi:[0,1,1]
	v_mov_b32_e32 v4, v16
	s_waitcnt vmcnt(0)
	v_subrev_u32_e32 v1, s16, v1
	v_pk_fma_f32 v[10:11], v[30:31], v[4:5], v[10:11] op_sel_hi:[0,1,1]
	v_mov_b32_e32 v7, v16
	v_lshlrev_b32_e32 v16, 2, v1
	v_pk_fma_f32 v[10:11], v[30:31], v[6:7], v[10:11] op_sel:[1,0,0]
	v_mov_b32_e32 v4, v17
	v_mov_b32_e32 v7, v17
	v_ashrrev_i32_e32 v17, 31, v16
	v_lshlrev_b64 v[16:17], 3, v[16:17]
	v_add_co_u32_e32 v16, vcc, s6, v16
	v_pk_fma_f32 v[10:11], v[32:33], v[4:5], v[10:11] op_sel_hi:[0,1,1]
	v_addc_co_u32_e32 v17, vcc, v20, v17, vcc
	v_pk_fma_f32 v[14:15], v[12:13], v[6:7], v[10:11] op_sel_hi:[0,1,1]
	global_load_dwordx4 v[10:13], v[46:47], off
	global_load_dwordx4 v[22:25], v[46:47], off offset:48
	global_load_dwordx4 v[26:29], v[46:47], off offset:32
	;; [unrolled: 1-line block ×4, first 2 shown]
	global_load_dwordx4 v[38:41], v[16:17], off
	global_load_dword v1, v[8:9], off offset:768
	s_waitcnt vmcnt(6)
	v_mov_b32_e32 v4, v10
	v_mov_b32_e32 v7, v10
	s_waitcnt vmcnt(2)
	v_mov_b32_e32 v46, v37
	s_waitcnt vmcnt(1)
	v_pk_fma_f32 v[16:17], v[38:39], v[4:5], v[48:49] op_sel_hi:[0,1,1]
	v_pk_fma_f32 v[16:17], v[38:39], v[6:7], v[16:17] op_sel:[1,0,0]
	v_mov_b32_e32 v4, v11
	v_pk_fma_f32 v[16:17], v[40:41], v[4:5], v[16:17] op_sel_hi:[0,1,1]
	v_mov_b32_e32 v44, v41
	v_mov_b32_e32 v7, v11
	v_pk_fma_f32 v[10:11], v[44:45], v[6:7], v[16:17] op_sel_hi:[0,1,1]
	v_mov_b32_e32 v4, v12
	v_pk_fma_f32 v[10:11], v[34:35], v[4:5], v[10:11] op_sel_hi:[0,1,1]
	v_mov_b32_e32 v7, v12
	v_pk_fma_f32 v[10:11], v[34:35], v[6:7], v[10:11] op_sel:[1,0,0]
	v_mov_b32_e32 v4, v13
	v_pk_fma_f32 v[10:11], v[36:37], v[4:5], v[10:11] op_sel_hi:[0,1,1]
	v_mov_b32_e32 v7, v13
	v_mov_b32_e32 v4, v30
	v_pk_fma_f32 v[16:17], v[46:47], v[6:7], v[10:11] op_sel_hi:[0,1,1]
	v_pk_fma_f32 v[10:11], v[38:39], v[4:5], v[50:51] op_sel_hi:[0,1,1]
	v_mov_b32_e32 v7, v30
	v_pk_fma_f32 v[10:11], v[38:39], v[6:7], v[10:11] op_sel:[1,0,0]
	v_mov_b32_e32 v4, v31
	v_pk_fma_f32 v[10:11], v[40:41], v[4:5], v[10:11] op_sel_hi:[0,1,1]
	v_mov_b32_e32 v7, v31
	v_pk_fma_f32 v[10:11], v[44:45], v[6:7], v[10:11] op_sel_hi:[0,1,1]
	;; [unrolled: 2-line block ×3, first 2 shown]
	v_mov_b32_e32 v7, v32
	v_pk_fma_f32 v[10:11], v[34:35], v[6:7], v[10:11] op_sel:[1,0,0]
	v_mov_b32_e32 v4, v33
	v_pk_fma_f32 v[10:11], v[36:37], v[4:5], v[10:11] op_sel_hi:[0,1,1]
	v_mov_b32_e32 v7, v33
	v_mov_b32_e32 v4, v26
	v_pk_fma_f32 v[10:11], v[46:47], v[6:7], v[10:11] op_sel_hi:[0,1,1]
	v_pk_fma_f32 v[12:13], v[38:39], v[4:5], v[42:43] op_sel_hi:[0,1,1]
	v_mov_b32_e32 v7, v26
	v_pk_fma_f32 v[12:13], v[38:39], v[6:7], v[12:13] op_sel:[1,0,0]
	v_mov_b32_e32 v4, v27
	v_pk_fma_f32 v[12:13], v[40:41], v[4:5], v[12:13] op_sel_hi:[0,1,1]
	v_mov_b32_e32 v7, v27
	v_pk_fma_f32 v[12:13], v[44:45], v[6:7], v[12:13] op_sel_hi:[0,1,1]
	;; [unrolled: 2-line block ×3, first 2 shown]
	v_mov_b32_e32 v7, v28
	v_pk_fma_f32 v[12:13], v[34:35], v[6:7], v[12:13] op_sel:[1,0,0]
	v_mov_b32_e32 v4, v29
	v_pk_fma_f32 v[12:13], v[36:37], v[4:5], v[12:13] op_sel_hi:[0,1,1]
	v_mov_b32_e32 v7, v29
	v_mov_b32_e32 v4, v22
	v_pk_fma_f32 v[12:13], v[46:47], v[6:7], v[12:13] op_sel_hi:[0,1,1]
	v_pk_fma_f32 v[14:15], v[38:39], v[4:5], v[14:15] op_sel_hi:[0,1,1]
	v_mov_b32_e32 v7, v22
	s_waitcnt vmcnt(0)
	v_subrev_u32_e32 v1, s16, v1
	v_pk_fma_f32 v[14:15], v[38:39], v[6:7], v[14:15] op_sel:[1,0,0]
	v_mov_b32_e32 v4, v23
	v_lshlrev_b32_e32 v8, 2, v1
	v_pk_fma_f32 v[14:15], v[40:41], v[4:5], v[14:15] op_sel_hi:[0,1,1]
	v_mov_b32_e32 v7, v23
	v_add_co_u32_e32 v38, vcc, s19, v2
	v_ashrrev_i32_e32 v9, 31, v8
	v_pk_fma_f32 v[14:15], v[44:45], v[6:7], v[14:15] op_sel_hi:[0,1,1]
	v_mov_b32_e32 v4, v24
	v_addc_co_u32_e32 v39, vcc, 0, v3, vcc
	v_lshlrev_b64 v[8:9], 3, v[8:9]
	v_pk_fma_f32 v[14:15], v[34:35], v[4:5], v[14:15] op_sel_hi:[0,1,1]
	v_mov_b32_e32 v7, v24
	v_add_co_u32_e32 v8, vcc, s6, v8
	v_pk_fma_f32 v[14:15], v[34:35], v[6:7], v[14:15] op_sel:[1,0,0]
	v_mov_b32_e32 v4, v25
	v_addc_co_u32_e32 v9, vcc, v20, v9, vcc
	v_pk_fma_f32 v[14:15], v[36:37], v[4:5], v[14:15] op_sel_hi:[0,1,1]
	v_mov_b32_e32 v7, v25
	global_load_dwordx4 v[22:25], v[38:39], off
	global_load_dwordx4 v[26:29], v[38:39], off offset:48
	global_load_dwordx4 v[30:33], v[38:39], off offset:32
	;; [unrolled: 1-line block ×3, first 2 shown]
	s_nop 0
	global_load_dwordx4 v[38:41], v[8:9], off offset:16
	global_load_dwordx4 v[42:45], v[8:9], off
	v_pk_fma_f32 v[14:15], v[46:47], v[6:7], v[14:15] op_sel_hi:[0,1,1]
	v_add_co_u32_e32 v2, vcc, 0x4000, v2
	v_addc_co_u32_e32 v3, vcc, 0, v3, vcc
	s_waitcnt vmcnt(5)
	v_mov_b32_e32 v4, v22
	v_mov_b32_e32 v7, v22
	s_waitcnt vmcnt(1)
	v_mov_b32_e32 v22, v41
	s_waitcnt vmcnt(0)
	v_pk_fma_f32 v[8:9], v[42:43], v[4:5], v[16:17] op_sel_hi:[0,1,1]
	v_pk_fma_f32 v[8:9], v[42:43], v[6:7], v[8:9] op_sel:[1,0,0]
	v_mov_b32_e32 v4, v23
	v_pk_fma_f32 v[8:9], v[44:45], v[4:5], v[8:9] op_sel_hi:[0,1,1]
	v_mov_b32_e32 v16, v45
	v_mov_b32_e32 v7, v23
	v_pk_fma_f32 v[8:9], v[16:17], v[6:7], v[8:9] op_sel_hi:[0,1,1]
	v_mov_b32_e32 v4, v24
	v_pk_fma_f32 v[8:9], v[38:39], v[4:5], v[8:9] op_sel_hi:[0,1,1]
	v_mov_b32_e32 v7, v24
	v_pk_fma_f32 v[8:9], v[38:39], v[6:7], v[8:9] op_sel:[1,0,0]
	v_mov_b32_e32 v4, v25
	v_pk_fma_f32 v[8:9], v[40:41], v[4:5], v[8:9] op_sel_hi:[0,1,1]
	v_mov_b32_e32 v7, v25
	v_mov_b32_e32 v4, v34
	v_pk_fma_f32 v[88:89], v[22:23], v[6:7], v[8:9] op_sel_hi:[0,1,1]
	v_pk_fma_f32 v[8:9], v[42:43], v[4:5], v[10:11] op_sel_hi:[0,1,1]
	v_mov_b32_e32 v7, v34
	v_pk_fma_f32 v[8:9], v[42:43], v[6:7], v[8:9] op_sel:[1,0,0]
	v_mov_b32_e32 v4, v35
	v_pk_fma_f32 v[8:9], v[44:45], v[4:5], v[8:9] op_sel_hi:[0,1,1]
	v_mov_b32_e32 v7, v35
	v_pk_fma_f32 v[8:9], v[16:17], v[6:7], v[8:9] op_sel_hi:[0,1,1]
	v_mov_b32_e32 v4, v36
	v_pk_fma_f32 v[8:9], v[38:39], v[4:5], v[8:9] op_sel_hi:[0,1,1]
	v_mov_b32_e32 v7, v36
	v_pk_fma_f32 v[8:9], v[38:39], v[6:7], v[8:9] op_sel:[1,0,0]
	v_mov_b32_e32 v4, v37
	v_pk_fma_f32 v[8:9], v[40:41], v[4:5], v[8:9] op_sel_hi:[0,1,1]
	v_mov_b32_e32 v7, v37
	v_mov_b32_e32 v4, v30
	v_pk_fma_f32 v[86:87], v[22:23], v[6:7], v[8:9] op_sel_hi:[0,1,1]
	v_pk_fma_f32 v[8:9], v[42:43], v[4:5], v[12:13] op_sel_hi:[0,1,1]
	v_mov_b32_e32 v7, v30
	v_pk_fma_f32 v[8:9], v[42:43], v[6:7], v[8:9] op_sel:[1,0,0]
	v_mov_b32_e32 v4, v31
	v_pk_fma_f32 v[8:9], v[44:45], v[4:5], v[8:9] op_sel_hi:[0,1,1]
	v_mov_b32_e32 v7, v31
	v_pk_fma_f32 v[8:9], v[16:17], v[6:7], v[8:9] op_sel_hi:[0,1,1]
	v_mov_b32_e32 v4, v32
	v_pk_fma_f32 v[8:9], v[38:39], v[4:5], v[8:9] op_sel_hi:[0,1,1]
	v_mov_b32_e32 v7, v32
	v_pk_fma_f32 v[8:9], v[38:39], v[6:7], v[8:9] op_sel:[1,0,0]
	v_mov_b32_e32 v4, v33
	v_pk_fma_f32 v[8:9], v[40:41], v[4:5], v[8:9] op_sel_hi:[0,1,1]
	v_mov_b32_e32 v7, v33
	v_mov_b32_e32 v4, v26
	v_pk_fma_f32 v[84:85], v[22:23], v[6:7], v[8:9] op_sel_hi:[0,1,1]
	v_pk_fma_f32 v[8:9], v[42:43], v[4:5], v[14:15] op_sel_hi:[0,1,1]
	v_mov_b32_e32 v7, v26
	v_pk_fma_f32 v[8:9], v[42:43], v[6:7], v[8:9] op_sel:[1,0,0]
	v_mov_b32_e32 v4, v27
	v_pk_fma_f32 v[8:9], v[44:45], v[4:5], v[8:9] op_sel_hi:[0,1,1]
	v_mov_b32_e32 v7, v27
	v_pk_fma_f32 v[8:9], v[16:17], v[6:7], v[8:9] op_sel_hi:[0,1,1]
	v_mov_b32_e32 v4, v28
	v_pk_fma_f32 v[8:9], v[38:39], v[4:5], v[8:9] op_sel_hi:[0,1,1]
	v_mov_b32_e32 v7, v28
	v_pk_fma_f32 v[8:9], v[38:39], v[6:7], v[8:9] op_sel:[1,0,0]
	v_mov_b32_e32 v4, v29
	v_pk_fma_f32 v[8:9], v[40:41], v[4:5], v[8:9] op_sel_hi:[0,1,1]
	v_mov_b32_e32 v7, v29
	v_pk_fma_f32 v[82:83], v[22:23], v[6:7], v[8:9] op_sel_hi:[0,1,1]
	s_andn2_b64 exec, exec, s[14:15]
	s_cbranch_execnz .LBB124_27
; %bb.28:
	s_or_b64 exec, exec, s[14:15]
.LBB124_29:
	s_or_b64 exec, exec, s[10:11]
.LBB124_30:
	s_or_b64 exec, exec, s[8:9]
	s_cbranch_execz .LBB124_32
	s_branch .LBB124_43
.LBB124_31:
                                        ; implicit-def: $vgpr89
                                        ; implicit-def: $vgpr87
                                        ; implicit-def: $vgpr85
                                        ; implicit-def: $vgpr83
.LBB124_32:
	s_mov_b32 s8, 0
	v_mov_b32_e32 v89, 0
	v_mov_b32_e32 v88, 0
	;; [unrolled: 1-line block ×8, first 2 shown]
	s_and_saveexec_b64 s[2:3], s[0:1]
	s_cbranch_execz .LBB124_42
; %bb.33:
	v_add_u32_e32 v0, v18, v77
	v_subrev_u32_e32 v0, s16, v0
	v_add_u32_e32 v0, 64, v0
	v_max_i32_e32 v0, v0, v95
	v_not_b32_e32 v1, v18
	v_add3_u32 v0, v0, s16, v1
	v_sub_u32_e32 v4, v0, v77
	v_lshrrev_b32_e32 v0, 6, v4
	v_add_u32_e32 v0, 1, v0
	v_and_b32_e32 v0, 3, v0
	s_mov_b32 s9, s8
	v_cmp_ne_u32_e32 vcc, 0, v0
	v_pk_mov_b32 v[88:89], s[8:9], s[8:9] op_sel:[0,1]
	v_pk_mov_b32 v[86:87], s[8:9], s[8:9] op_sel:[0,1]
	;; [unrolled: 1-line block ×4, first 2 shown]
	s_and_saveexec_b64 s[0:1], vcc
	s_cbranch_execz .LBB124_37
; %bb.34:
	v_mov_b32_e32 v1, 0
	v_lshlrev_b32_e32 v5, 6, v0
	s_mov_b64 s[8:9], 0
	v_mov_b32_e32 v6, s13
	v_mov_b32_e32 v7, s7
	s_movk_i32 s10, 0x1000
	v_bfrev_b32_e32 v2, 1
	v_mov_b32_e32 v82, v1
	v_mov_b32_e32 v83, v1
	;; [unrolled: 1-line block ×8, first 2 shown]
.LBB124_35:                             ; =>This Inner Loop Header: Depth=1
	v_ashrrev_i32_e32 v79, 31, v78
	v_lshlrev_b64 v[8:9], 2, v[78:79]
	v_add_co_u32_e32 v20, vcc, s12, v8
	v_addc_co_u32_e32 v21, vcc, v6, v9, vcc
	global_load_dword v0, v[20:21], off
	global_load_dwordx4 v[8:11], v[80:81], off offset:32
	global_load_dwordx4 v[12:15], v[80:81], off offset:16
	global_load_dwordx4 v[16:19], v[80:81], off
	v_subrev_u32_e32 v5, 64, v5
	v_add_u32_e32 v78, 64, v78
	s_waitcnt vmcnt(3)
	v_subrev_u32_e32 v0, s16, v0
	v_lshlrev_b32_e32 v20, 2, v0
	v_ashrrev_i32_e32 v21, 31, v20
	v_lshlrev_b64 v[20:21], 3, v[20:21]
	v_add_co_u32_e32 v32, vcc, s6, v20
	v_addc_co_u32_e32 v33, vcc, v7, v21, vcc
	global_load_dwordx4 v[20:23], v[32:33], off
	global_load_dwordx4 v[24:27], v[32:33], off offset:16
	global_load_dwordx4 v[28:31], v[80:81], off offset:48
	s_waitcnt vmcnt(3)
	v_mov_b32_e32 v0, v16
	v_mov_b32_e32 v3, v16
	v_add_co_u32_e32 v80, vcc, s10, v80
	v_addc_co_u32_e32 v81, vcc, 0, v81, vcc
	v_cmp_eq_u32_e32 vcc, 0, v5
	s_or_b64 s[8:9], vcc, s[8:9]
	s_waitcnt vmcnt(2)
	v_pk_fma_f32 v[32:33], v[20:21], v[0:1], v[88:89] op_sel_hi:[0,1,1]
	v_mov_b32_e32 v0, v12
	v_pk_fma_f32 v[32:33], v[20:21], v[2:3], v[32:33] op_sel:[1,0,0]
	v_mov_b32_e32 v16, v23
	v_mov_b32_e32 v3, v12
	v_pk_fma_f32 v[32:33], v[22:23], v[0:1], v[32:33] op_sel_hi:[0,1,1]
	v_mov_b32_e32 v0, v8
	v_pk_fma_f32 v[32:33], v[16:17], v[2:3], v[32:33] op_sel_hi:[0,1,1]
	v_mov_b32_e32 v3, v8
	s_waitcnt vmcnt(1)
	v_pk_fma_f32 v[32:33], v[24:25], v[0:1], v[32:33] op_sel_hi:[0,1,1]
	s_waitcnt vmcnt(0)
	v_mov_b32_e32 v0, v28
	v_pk_fma_f32 v[32:33], v[24:25], v[2:3], v[32:33] op_sel:[1,0,0]
	v_mov_b32_e32 v34, v27
	v_mov_b32_e32 v3, v28
	v_pk_fma_f32 v[32:33], v[26:27], v[0:1], v[32:33] op_sel_hi:[0,1,1]
	v_mov_b32_e32 v0, v17
	v_pk_fma_f32 v[88:89], v[34:35], v[2:3], v[32:33] op_sel_hi:[0,1,1]
	v_pk_fma_f32 v[32:33], v[20:21], v[0:1], v[86:87] op_sel_hi:[0,1,1]
	v_mov_b32_e32 v3, v17
	v_mov_b32_e32 v0, v13
	v_pk_fma_f32 v[32:33], v[20:21], v[2:3], v[32:33] op_sel:[1,0,0]
	v_mov_b32_e32 v3, v13
	v_pk_fma_f32 v[12:13], v[22:23], v[0:1], v[32:33] op_sel_hi:[0,1,1]
	v_mov_b32_e32 v0, v9
	v_pk_fma_f32 v[12:13], v[16:17], v[2:3], v[12:13] op_sel_hi:[0,1,1]
	v_mov_b32_e32 v3, v9
	v_pk_fma_f32 v[8:9], v[24:25], v[0:1], v[12:13] op_sel_hi:[0,1,1]
	v_mov_b32_e32 v0, v29
	v_pk_fma_f32 v[8:9], v[24:25], v[2:3], v[8:9] op_sel:[1,0,0]
	v_mov_b32_e32 v3, v29
	v_pk_fma_f32 v[8:9], v[26:27], v[0:1], v[8:9] op_sel_hi:[0,1,1]
	v_mov_b32_e32 v0, v18
	v_pk_fma_f32 v[86:87], v[34:35], v[2:3], v[8:9] op_sel_hi:[0,1,1]
	v_pk_fma_f32 v[8:9], v[20:21], v[0:1], v[84:85] op_sel_hi:[0,1,1]
	v_mov_b32_e32 v3, v18
	v_mov_b32_e32 v0, v14
	v_pk_fma_f32 v[8:9], v[20:21], v[2:3], v[8:9] op_sel:[1,0,0]
	v_mov_b32_e32 v3, v14
	v_pk_fma_f32 v[8:9], v[22:23], v[0:1], v[8:9] op_sel_hi:[0,1,1]
	v_mov_b32_e32 v0, v10
	v_pk_fma_f32 v[8:9], v[16:17], v[2:3], v[8:9] op_sel_hi:[0,1,1]
	v_mov_b32_e32 v3, v10
	v_pk_fma_f32 v[8:9], v[24:25], v[0:1], v[8:9] op_sel_hi:[0,1,1]
	v_mov_b32_e32 v0, v30
	v_pk_fma_f32 v[8:9], v[24:25], v[2:3], v[8:9] op_sel:[1,0,0]
	;; [unrolled: 16-line block ×3, first 2 shown]
	v_mov_b32_e32 v3, v31
	v_pk_fma_f32 v[8:9], v[26:27], v[0:1], v[8:9] op_sel_hi:[0,1,1]
	v_pk_fma_f32 v[82:83], v[34:35], v[2:3], v[8:9] op_sel_hi:[0,1,1]
	s_andn2_b64 exec, exec, s[8:9]
	s_cbranch_execnz .LBB124_35
; %bb.36:
	s_or_b64 exec, exec, s[8:9]
.LBB124_37:
	s_or_b64 exec, exec, s[0:1]
	s_movk_i32 s0, 0xbf
	v_cmp_lt_u32_e32 vcc, s0, v4
	s_and_saveexec_b64 s[0:1], vcc
	s_cbranch_execz .LBB124_41
; %bb.38:
	s_mov_b64 s[8:9], 0
	v_mov_b32_e32 v98, s13
	v_mov_b32_e32 v99, s7
	s_movk_i32 s7, 0x1000
	s_movk_i32 s10, 0x2000
	;; [unrolled: 1-line block ×3, first 2 shown]
	v_mov_b32_e32 v91, 0
	v_bfrev_b32_e32 v92, 1
.LBB124_39:                             ; =>This Inner Loop Header: Depth=1
	v_add_co_u32_e32 v48, vcc, s7, v80
	v_addc_co_u32_e32 v49, vcc, 0, v81, vcc
	v_add_co_u32_e32 v50, vcc, s10, v80
	v_addc_co_u32_e32 v51, vcc, 0, v81, vcc
	;; [unrolled: 2-line block ×3, first 2 shown]
	v_ashrrev_i32_e32 v79, 31, v78
	global_load_dwordx4 v[0:3], v[80:81], off offset:48
	global_load_dwordx4 v[4:7], v[80:81], off offset:32
	;; [unrolled: 1-line block ×3, first 2 shown]
	global_load_dwordx4 v[12:15], v[80:81], off
	v_add_co_u32_e32 v80, vcc, 0x4000, v80
	v_lshlrev_b64 v[54:55], 2, v[78:79]
	v_addc_co_u32_e32 v81, vcc, 0, v81, vcc
	global_load_dwordx4 v[100:103], v[48:49], off offset:48
	global_load_dwordx4 v[104:107], v[48:49], off offset:32
	;; [unrolled: 1-line block ×3, first 2 shown]
	global_load_dwordx4 v[112:115], v[50:51], off offset:-4096
	global_load_dwordx4 v[40:43], v[50:51], off
	global_load_dwordx4 v[32:35], v[50:51], off offset:48
	global_load_dwordx4 v[36:39], v[50:51], off offset:32
	;; [unrolled: 1-line block ×5, first 2 shown]
	global_load_dwordx4 v[28:31], v[52:53], off
	global_load_dwordx4 v[24:27], v[52:53], off offset:16
	v_add_co_u32_e32 v48, vcc, s12, v54
	v_addc_co_u32_e32 v49, vcc, v98, v55, vcc
	global_load_dword v50, v[48:49], off
	global_load_dword v51, v[48:49], off offset:256
	global_load_dword v52, v[48:49], off offset:512
	;; [unrolled: 1-line block ×3, first 2 shown]
	v_add_u32_e32 v78, 0x100, v78
	v_cmp_ge_i32_e32 vcc, v78, v95
	s_or_b64 s[8:9], vcc, s[8:9]
	s_waitcnt vmcnt(16)
	v_mov_b32_e32 v90, v12
	v_mov_b32_e32 v93, v12
	s_waitcnt vmcnt(3)
	v_subrev_u32_e32 v12, s16, v50
	s_waitcnt vmcnt(2)
	v_subrev_u32_e32 v49, s16, v51
	v_lshlrev_b32_e32 v48, 2, v12
	v_lshlrev_b32_e32 v50, 2, v49
	v_ashrrev_i32_e32 v49, 31, v48
	s_waitcnt vmcnt(1)
	v_subrev_u32_e32 v51, s16, v52
	v_lshlrev_b64 v[48:49], 3, v[48:49]
	v_lshlrev_b32_e32 v52, 2, v51
	v_ashrrev_i32_e32 v51, 31, v50
	v_add_co_u32_e32 v96, vcc, s6, v48
	s_waitcnt vmcnt(0)
	v_subrev_u32_e32 v53, s16, v53
	v_lshlrev_b64 v[50:51], 3, v[50:51]
	v_addc_co_u32_e32 v97, vcc, v99, v49, vcc
	v_lshlrev_b32_e32 v54, 2, v53
	v_ashrrev_i32_e32 v53, 31, v52
	v_add_co_u32_e32 v124, vcc, s6, v50
	v_lshlrev_b64 v[52:53], 3, v[52:53]
	v_addc_co_u32_e32 v125, vcc, v99, v51, vcc
	v_ashrrev_i32_e32 v55, 31, v54
	v_add_co_u32_e32 v126, vcc, s6, v52
	v_lshlrev_b64 v[54:55], 3, v[54:55]
	v_addc_co_u32_e32 v127, vcc, v99, v53, vcc
	v_add_co_u32_e32 v128, vcc, s6, v54
	v_addc_co_u32_e32 v129, vcc, v99, v55, vcc
	global_load_dwordx4 v[116:119], v[96:97], off
	global_load_dwordx4 v[120:123], v[96:97], off offset:16
	global_load_dwordx4 v[68:71], v[124:125], off
	global_load_dwordx4 v[64:67], v[124:125], off offset:16
	;; [unrolled: 2-line block ×4, first 2 shown]
	s_waitcnt vmcnt(7)
	v_pk_fma_f32 v[96:97], v[116:117], v[90:91], v[88:89] op_sel_hi:[0,1,1]
	v_mov_b32_e32 v90, v8
	v_pk_fma_f32 v[96:97], v[116:117], v[92:93], v[96:97] op_sel:[1,0,0]
	v_mov_b32_e32 v124, v119
	v_mov_b32_e32 v93, v8
	v_pk_fma_f32 v[96:97], v[118:119], v[90:91], v[96:97] op_sel_hi:[0,1,1]
	v_mov_b32_e32 v90, v4
	v_pk_fma_f32 v[96:97], v[124:125], v[92:93], v[96:97] op_sel_hi:[0,1,1]
	v_mov_b32_e32 v93, v4
	s_waitcnt vmcnt(6)
	v_pk_fma_f32 v[96:97], v[120:121], v[90:91], v[96:97] op_sel_hi:[0,1,1]
	v_mov_b32_e32 v90, v0
	v_pk_fma_f32 v[96:97], v[120:121], v[92:93], v[96:97] op_sel:[1,0,0]
	v_mov_b32_e32 v94, v123
	v_mov_b32_e32 v93, v0
	v_pk_fma_f32 v[96:97], v[122:123], v[90:91], v[96:97] op_sel_hi:[0,1,1]
	v_mov_b32_e32 v90, v13
	v_pk_fma_f32 v[96:97], v[94:95], v[92:93], v[96:97] op_sel_hi:[0,1,1]
	v_pk_fma_f32 v[86:87], v[116:117], v[90:91], v[86:87] op_sel_hi:[0,1,1]
	v_mov_b32_e32 v93, v13
	v_mov_b32_e32 v90, v9
	v_pk_fma_f32 v[86:87], v[116:117], v[92:93], v[86:87] op_sel:[1,0,0]
	v_mov_b32_e32 v93, v9
	v_pk_fma_f32 v[8:9], v[118:119], v[90:91], v[86:87] op_sel_hi:[0,1,1]
	v_mov_b32_e32 v90, v5
	v_pk_fma_f32 v[8:9], v[124:125], v[92:93], v[8:9] op_sel_hi:[0,1,1]
	;; [unrolled: 2-line block ×3, first 2 shown]
	v_mov_b32_e32 v90, v1
	v_pk_fma_f32 v[4:5], v[120:121], v[92:93], v[4:5] op_sel:[1,0,0]
	v_mov_b32_e32 v93, v1
	v_pk_fma_f32 v[0:1], v[122:123], v[90:91], v[4:5] op_sel_hi:[0,1,1]
	v_mov_b32_e32 v90, v14
	v_pk_fma_f32 v[4:5], v[94:95], v[92:93], v[0:1] op_sel_hi:[0,1,1]
	v_pk_fma_f32 v[0:1], v[116:117], v[90:91], v[84:85] op_sel_hi:[0,1,1]
	v_mov_b32_e32 v93, v14
	v_mov_b32_e32 v90, v10
	v_pk_fma_f32 v[0:1], v[116:117], v[92:93], v[0:1] op_sel:[1,0,0]
	v_mov_b32_e32 v93, v10
	v_pk_fma_f32 v[0:1], v[118:119], v[90:91], v[0:1] op_sel_hi:[0,1,1]
	v_mov_b32_e32 v90, v6
	v_pk_fma_f32 v[0:1], v[124:125], v[92:93], v[0:1] op_sel_hi:[0,1,1]
	;; [unrolled: 2-line block ×3, first 2 shown]
	v_mov_b32_e32 v90, v2
	v_pk_fma_f32 v[0:1], v[120:121], v[92:93], v[0:1] op_sel:[1,0,0]
	v_mov_b32_e32 v93, v2
	v_pk_fma_f32 v[0:1], v[122:123], v[90:91], v[0:1] op_sel_hi:[0,1,1]
	v_mov_b32_e32 v90, v15
	v_pk_fma_f32 v[8:9], v[94:95], v[92:93], v[0:1] op_sel_hi:[0,1,1]
	v_pk_fma_f32 v[0:1], v[116:117], v[90:91], v[82:83] op_sel_hi:[0,1,1]
	v_mov_b32_e32 v93, v15
	v_mov_b32_e32 v90, v11
	v_pk_fma_f32 v[0:1], v[116:117], v[92:93], v[0:1] op_sel:[1,0,0]
	v_pk_fma_f32 v[0:1], v[118:119], v[90:91], v[0:1] op_sel_hi:[0,1,1]
	v_mov_b32_e32 v93, v11
	v_pk_fma_f32 v[14:15], v[124:125], v[92:93], v[0:1] op_sel_hi:[0,1,1]
	v_mov_b32_e32 v90, v7
	v_mov_b32_e32 v93, v7
	v_pk_fma_f32 v[14:15], v[120:121], v[90:91], v[14:15] op_sel_hi:[0,1,1]
	v_mov_b32_e32 v90, v3
	v_pk_fma_f32 v[14:15], v[120:121], v[92:93], v[14:15] op_sel:[1,0,0]
	v_pk_fma_f32 v[14:15], v[122:123], v[90:91], v[14:15] op_sel_hi:[0,1,1]
	v_mov_b32_e32 v93, v3
	v_mov_b32_e32 v90, v112
	v_pk_fma_f32 v[14:15], v[94:95], v[92:93], v[14:15] op_sel_hi:[0,1,1]
	s_waitcnt vmcnt(5)
	v_pk_fma_f32 v[82:83], v[68:69], v[90:91], v[96:97] op_sel_hi:[0,1,1]
	v_mov_b32_e32 v93, v112
	v_mov_b32_e32 v90, v108
	v_pk_fma_f32 v[82:83], v[68:69], v[92:93], v[82:83] op_sel:[1,0,0]
	v_mov_b32_e32 v88, v71
	v_mov_b32_e32 v93, v108
	v_pk_fma_f32 v[82:83], v[70:71], v[90:91], v[82:83] op_sel_hi:[0,1,1]
	v_mov_b32_e32 v90, v104
	v_pk_fma_f32 v[82:83], v[88:89], v[92:93], v[82:83] op_sel_hi:[0,1,1]
	v_mov_b32_e32 v93, v104
	s_waitcnt vmcnt(4)
	v_pk_fma_f32 v[82:83], v[64:65], v[90:91], v[82:83] op_sel_hi:[0,1,1]
	v_mov_b32_e32 v90, v100
	v_pk_fma_f32 v[82:83], v[64:65], v[92:93], v[82:83] op_sel:[1,0,0]
	v_mov_b32_e32 v12, v67
	v_mov_b32_e32 v93, v100
	v_pk_fma_f32 v[82:83], v[66:67], v[90:91], v[82:83] op_sel_hi:[0,1,1]
	v_mov_b32_e32 v90, v113
	v_pk_fma_f32 v[82:83], v[12:13], v[92:93], v[82:83] op_sel_hi:[0,1,1]
	v_pk_fma_f32 v[4:5], v[68:69], v[90:91], v[4:5] op_sel_hi:[0,1,1]
	v_mov_b32_e32 v93, v113
	v_mov_b32_e32 v90, v109
	v_pk_fma_f32 v[4:5], v[68:69], v[92:93], v[4:5] op_sel:[1,0,0]
	v_mov_b32_e32 v93, v109
	v_pk_fma_f32 v[4:5], v[70:71], v[90:91], v[4:5] op_sel_hi:[0,1,1]
	v_mov_b32_e32 v90, v105
	v_pk_fma_f32 v[4:5], v[88:89], v[92:93], v[4:5] op_sel_hi:[0,1,1]
	v_mov_b32_e32 v93, v105
	v_pk_fma_f32 v[4:5], v[64:65], v[90:91], v[4:5] op_sel_hi:[0,1,1]
	v_mov_b32_e32 v90, v101
	v_pk_fma_f32 v[4:5], v[64:65], v[92:93], v[4:5] op_sel:[1,0,0]
	v_mov_b32_e32 v93, v101
	v_pk_fma_f32 v[4:5], v[66:67], v[90:91], v[4:5] op_sel_hi:[0,1,1]
	v_mov_b32_e32 v90, v114
	v_pk_fma_f32 v[4:5], v[12:13], v[92:93], v[4:5] op_sel_hi:[0,1,1]
	v_pk_fma_f32 v[8:9], v[68:69], v[90:91], v[8:9] op_sel_hi:[0,1,1]
	v_mov_b32_e32 v93, v114
	v_mov_b32_e32 v90, v110
	v_pk_fma_f32 v[8:9], v[68:69], v[92:93], v[8:9] op_sel:[1,0,0]
	v_mov_b32_e32 v93, v110
	v_pk_fma_f32 v[8:9], v[70:71], v[90:91], v[8:9] op_sel_hi:[0,1,1]
	v_mov_b32_e32 v90, v106
	v_pk_fma_f32 v[8:9], v[88:89], v[92:93], v[8:9] op_sel_hi:[0,1,1]
	v_mov_b32_e32 v93, v106
	v_pk_fma_f32 v[8:9], v[64:65], v[90:91], v[8:9] op_sel_hi:[0,1,1]
	v_mov_b32_e32 v90, v102
	v_pk_fma_f32 v[8:9], v[64:65], v[92:93], v[8:9] op_sel:[1,0,0]
	;; [unrolled: 16-line block ×3, first 2 shown]
	v_mov_b32_e32 v93, v103
	v_pk_fma_f32 v[14:15], v[66:67], v[90:91], v[14:15] op_sel_hi:[0,1,1]
	v_mov_b32_e32 v90, v40
	v_pk_fma_f32 v[12:13], v[12:13], v[92:93], v[14:15] op_sel_hi:[0,1,1]
	s_waitcnt vmcnt(3)
	v_pk_fma_f32 v[14:15], v[60:61], v[90:91], v[82:83] op_sel_hi:[0,1,1]
	v_mov_b32_e32 v93, v40
	v_mov_b32_e32 v90, v44
	v_pk_fma_f32 v[14:15], v[60:61], v[92:93], v[14:15] op_sel:[1,0,0]
	v_mov_b32_e32 v10, v63
	v_mov_b32_e32 v93, v44
	v_pk_fma_f32 v[14:15], v[62:63], v[90:91], v[14:15] op_sel_hi:[0,1,1]
	v_mov_b32_e32 v90, v36
	v_pk_fma_f32 v[14:15], v[10:11], v[92:93], v[14:15] op_sel_hi:[0,1,1]
	v_mov_b32_e32 v93, v36
	s_waitcnt vmcnt(2)
	v_pk_fma_f32 v[14:15], v[56:57], v[90:91], v[14:15] op_sel_hi:[0,1,1]
	v_mov_b32_e32 v90, v32
	v_pk_fma_f32 v[14:15], v[56:57], v[92:93], v[14:15] op_sel:[1,0,0]
	v_mov_b32_e32 v6, v59
	v_mov_b32_e32 v93, v32
	v_pk_fma_f32 v[14:15], v[58:59], v[90:91], v[14:15] op_sel_hi:[0,1,1]
	v_mov_b32_e32 v90, v41
	v_pk_fma_f32 v[14:15], v[6:7], v[92:93], v[14:15] op_sel_hi:[0,1,1]
	v_pk_fma_f32 v[4:5], v[60:61], v[90:91], v[4:5] op_sel_hi:[0,1,1]
	v_mov_b32_e32 v93, v41
	v_mov_b32_e32 v90, v45
	v_pk_fma_f32 v[4:5], v[60:61], v[92:93], v[4:5] op_sel:[1,0,0]
	v_mov_b32_e32 v93, v45
	v_pk_fma_f32 v[4:5], v[62:63], v[90:91], v[4:5] op_sel_hi:[0,1,1]
	v_mov_b32_e32 v90, v37
	v_pk_fma_f32 v[4:5], v[10:11], v[92:93], v[4:5] op_sel_hi:[0,1,1]
	v_mov_b32_e32 v93, v37
	v_pk_fma_f32 v[4:5], v[56:57], v[90:91], v[4:5] op_sel_hi:[0,1,1]
	v_mov_b32_e32 v90, v33
	v_pk_fma_f32 v[4:5], v[56:57], v[92:93], v[4:5] op_sel:[1,0,0]
	v_mov_b32_e32 v93, v33
	v_pk_fma_f32 v[4:5], v[58:59], v[90:91], v[4:5] op_sel_hi:[0,1,1]
	v_mov_b32_e32 v90, v42
	v_pk_fma_f32 v[4:5], v[6:7], v[92:93], v[4:5] op_sel_hi:[0,1,1]
	v_pk_fma_f32 v[8:9], v[60:61], v[90:91], v[8:9] op_sel_hi:[0,1,1]
	v_mov_b32_e32 v93, v42
	v_mov_b32_e32 v90, v46
	v_pk_fma_f32 v[8:9], v[60:61], v[92:93], v[8:9] op_sel:[1,0,0]
	v_mov_b32_e32 v93, v46
	v_pk_fma_f32 v[8:9], v[62:63], v[90:91], v[8:9] op_sel_hi:[0,1,1]
	v_mov_b32_e32 v90, v38
	v_pk_fma_f32 v[8:9], v[10:11], v[92:93], v[8:9] op_sel_hi:[0,1,1]
	v_mov_b32_e32 v93, v38
	v_pk_fma_f32 v[8:9], v[56:57], v[90:91], v[8:9] op_sel_hi:[0,1,1]
	v_mov_b32_e32 v90, v34
	v_pk_fma_f32 v[8:9], v[56:57], v[92:93], v[8:9] op_sel:[1,0,0]
	;; [unrolled: 16-line block ×3, first 2 shown]
	v_mov_b32_e32 v93, v35
	v_pk_fma_f32 v[10:11], v[58:59], v[90:91], v[10:11] op_sel_hi:[0,1,1]
	v_mov_b32_e32 v90, v28
	v_pk_fma_f32 v[6:7], v[6:7], v[92:93], v[10:11] op_sel_hi:[0,1,1]
	s_waitcnt vmcnt(1)
	v_pk_fma_f32 v[10:11], v[52:53], v[90:91], v[14:15] op_sel_hi:[0,1,1]
	v_mov_b32_e32 v93, v28
	v_mov_b32_e32 v90, v24
	v_pk_fma_f32 v[10:11], v[52:53], v[92:93], v[10:11] op_sel:[1,0,0]
	v_mov_b32_e32 v0, v55
	v_mov_b32_e32 v93, v24
	v_pk_fma_f32 v[10:11], v[54:55], v[90:91], v[10:11] op_sel_hi:[0,1,1]
	v_mov_b32_e32 v90, v20
	v_pk_fma_f32 v[10:11], v[0:1], v[92:93], v[10:11] op_sel_hi:[0,1,1]
	v_mov_b32_e32 v93, v20
	s_waitcnt vmcnt(0)
	v_pk_fma_f32 v[10:11], v[48:49], v[90:91], v[10:11] op_sel_hi:[0,1,1]
	v_mov_b32_e32 v90, v16
	v_pk_fma_f32 v[10:11], v[48:49], v[92:93], v[10:11] op_sel:[1,0,0]
	v_mov_b32_e32 v2, v51
	v_mov_b32_e32 v93, v16
	v_pk_fma_f32 v[10:11], v[50:51], v[90:91], v[10:11] op_sel_hi:[0,1,1]
	v_mov_b32_e32 v90, v29
	v_pk_fma_f32 v[88:89], v[2:3], v[92:93], v[10:11] op_sel_hi:[0,1,1]
	v_pk_fma_f32 v[4:5], v[52:53], v[90:91], v[4:5] op_sel_hi:[0,1,1]
	v_mov_b32_e32 v93, v29
	v_mov_b32_e32 v90, v25
	v_pk_fma_f32 v[4:5], v[52:53], v[92:93], v[4:5] op_sel:[1,0,0]
	v_mov_b32_e32 v93, v25
	v_pk_fma_f32 v[4:5], v[54:55], v[90:91], v[4:5] op_sel_hi:[0,1,1]
	v_mov_b32_e32 v90, v21
	v_pk_fma_f32 v[4:5], v[0:1], v[92:93], v[4:5] op_sel_hi:[0,1,1]
	v_mov_b32_e32 v93, v21
	v_pk_fma_f32 v[4:5], v[48:49], v[90:91], v[4:5] op_sel_hi:[0,1,1]
	v_mov_b32_e32 v90, v17
	v_pk_fma_f32 v[4:5], v[48:49], v[92:93], v[4:5] op_sel:[1,0,0]
	v_mov_b32_e32 v93, v17
	v_pk_fma_f32 v[4:5], v[50:51], v[90:91], v[4:5] op_sel_hi:[0,1,1]
	v_mov_b32_e32 v90, v30
	v_pk_fma_f32 v[86:87], v[2:3], v[92:93], v[4:5] op_sel_hi:[0,1,1]
	v_pk_fma_f32 v[4:5], v[52:53], v[90:91], v[8:9] op_sel_hi:[0,1,1]
	v_mov_b32_e32 v93, v30
	v_mov_b32_e32 v90, v26
	v_pk_fma_f32 v[4:5], v[52:53], v[92:93], v[4:5] op_sel:[1,0,0]
	v_mov_b32_e32 v93, v26
	v_pk_fma_f32 v[4:5], v[54:55], v[90:91], v[4:5] op_sel_hi:[0,1,1]
	v_mov_b32_e32 v90, v22
	v_pk_fma_f32 v[4:5], v[0:1], v[92:93], v[4:5] op_sel_hi:[0,1,1]
	v_mov_b32_e32 v93, v22
	v_pk_fma_f32 v[4:5], v[48:49], v[90:91], v[4:5] op_sel_hi:[0,1,1]
	v_mov_b32_e32 v90, v18
	v_pk_fma_f32 v[4:5], v[48:49], v[92:93], v[4:5] op_sel:[1,0,0]
	;; [unrolled: 16-line block ×3, first 2 shown]
	v_mov_b32_e32 v93, v19
	v_pk_fma_f32 v[0:1], v[50:51], v[90:91], v[0:1] op_sel_hi:[0,1,1]
	v_pk_fma_f32 v[82:83], v[2:3], v[92:93], v[0:1] op_sel_hi:[0,1,1]
	s_andn2_b64 exec, exec, s[8:9]
	s_cbranch_execnz .LBB124_39
; %bb.40:
	s_or_b64 exec, exec, s[8:9]
.LBB124_41:
	s_or_b64 exec, exec, s[0:1]
.LBB124_42:
	s_or_b64 exec, exec, s[2:3]
.LBB124_43:
	v_mov_b32_dpp v6, v87 row_shr:1 row_mask:0xf bank_mask:0xf
	v_add_f32_e32 v6, v87, v6
	v_mov_b32_dpp v0, v88 row_shr:1 row_mask:0xf bank_mask:0xf
	v_mov_b32_dpp v2, v89 row_shr:1 row_mask:0xf bank_mask:0xf
	;; [unrolled: 1-line block ×3, first 2 shown]
	v_add_f32_e32 v6, v6, v7
	v_mov_b32_dpp v4, v86 row_shr:1 row_mask:0xf bank_mask:0xf
	v_add_f32_e32 v0, v88, v0
	v_mov_b32_dpp v7, v6 row_shr:4 row_mask:0xf bank_mask:0xe
	v_add_f32_e32 v6, v6, v7
	v_add_f32_e32 v2, v89, v2
	;; [unrolled: 1-line block ×3, first 2 shown]
	v_mov_b32_dpp v7, v6 row_shr:8 row_mask:0xf bank_mask:0xc
	v_add_f32_e32 v6, v6, v7
	v_mov_b32_dpp v1, v0 row_shr:2 row_mask:0xf bank_mask:0xf
	v_mov_b32_dpp v3, v2 row_shr:2 row_mask:0xf bank_mask:0xf
	v_mov_b32_dpp v7, v6 row_bcast:15 row_mask:0xa bank_mask:0xf
	v_add_f32_e32 v7, v6, v7
	v_mov_b32_dpp v6, v84 row_shr:1 row_mask:0xf bank_mask:0xf
	v_add_f32_e32 v6, v84, v6
	v_mov_b32_dpp v5, v4 row_shr:2 row_mask:0xf bank_mask:0xf
	v_add_f32_e32 v0, v0, v1
	v_mov_b32_dpp v8, v6 row_shr:2 row_mask:0xf bank_mask:0xf
	v_add_f32_e32 v6, v6, v8
	v_add_f32_e32 v2, v2, v3
	;; [unrolled: 1-line block ×3, first 2 shown]
	v_mov_b32_dpp v8, v6 row_shr:4 row_mask:0xf bank_mask:0xe
	v_add_f32_e32 v6, v6, v8
	v_mov_b32_dpp v1, v0 row_shr:4 row_mask:0xf bank_mask:0xe
	v_mov_b32_dpp v3, v2 row_shr:4 row_mask:0xf bank_mask:0xe
	;; [unrolled: 1-line block ×3, first 2 shown]
	v_add_f32_e32 v6, v6, v8
	v_mov_b32_dpp v5, v4 row_shr:4 row_mask:0xf bank_mask:0xe
	v_add_f32_e32 v0, v0, v1
	v_mov_b32_dpp v8, v6 row_bcast:15 row_mask:0xa bank_mask:0xf
	v_add_f32_e32 v10, v6, v8
	v_mov_b32_dpp v6, v85 row_shr:1 row_mask:0xf bank_mask:0xf
	v_add_f32_e32 v6, v85, v6
	v_add_f32_e32 v2, v2, v3
	;; [unrolled: 1-line block ×3, first 2 shown]
	v_mov_b32_dpp v8, v6 row_shr:2 row_mask:0xf bank_mask:0xf
	v_add_f32_e32 v6, v6, v8
	v_mov_b32_dpp v1, v0 row_shr:8 row_mask:0xf bank_mask:0xc
	v_mov_b32_dpp v3, v2 row_shr:8 row_mask:0xf bank_mask:0xc
	;; [unrolled: 1-line block ×3, first 2 shown]
	v_add_f32_e32 v6, v6, v8
	v_mov_b32_dpp v5, v4 row_shr:8 row_mask:0xf bank_mask:0xc
	v_add_f32_e32 v0, v0, v1
	v_mov_b32_dpp v8, v6 row_shr:8 row_mask:0xf bank_mask:0xc
	v_add_f32_e32 v6, v6, v8
	v_add_f32_e32 v2, v2, v3
	;; [unrolled: 1-line block ×3, first 2 shown]
	v_mov_b32_dpp v8, v6 row_bcast:15 row_mask:0xa bank_mask:0xf
	v_add_f32_e32 v13, v6, v8
	v_mov_b32_dpp v6, v82 row_shr:1 row_mask:0xf bank_mask:0xf
	v_add_f32_e32 v6, v82, v6
	v_mov_b32_dpp v1, v0 row_bcast:15 row_mask:0xa bank_mask:0xf
	v_mov_b32_dpp v3, v2 row_bcast:15 row_mask:0xa bank_mask:0xf
	v_mov_b32_dpp v8, v6 row_shr:2 row_mask:0xf bank_mask:0xf
	v_add_f32_e32 v6, v6, v8
	v_mov_b32_dpp v5, v4 row_bcast:15 row_mask:0xa bank_mask:0xf
	v_add_f32_e32 v0, v0, v1
	v_mov_b32_dpp v8, v6 row_shr:4 row_mask:0xf bank_mask:0xe
	v_add_f32_e32 v6, v6, v8
	v_add_f32_e32 v2, v2, v3
	;; [unrolled: 1-line block ×3, first 2 shown]
	v_mov_b32_dpp v8, v6 row_shr:8 row_mask:0xf bank_mask:0xc
	v_add_f32_e32 v6, v6, v8
	v_mov_b32_dpp v1, v0 row_bcast:31 row_mask:0xc bank_mask:0xf
	v_mov_b32_dpp v3, v2 row_bcast:31 row_mask:0xc bank_mask:0xf
	;; [unrolled: 1-line block ×3, first 2 shown]
	v_add_f32_e32 v16, v6, v8
	v_mov_b32_dpp v6, v83 row_shr:1 row_mask:0xf bank_mask:0xf
	v_add_f32_e32 v6, v83, v6
	v_mov_b32_dpp v5, v4 row_bcast:31 row_mask:0xc bank_mask:0xf
	v_mov_b32_dpp v9, v7 row_bcast:31 row_mask:0xc bank_mask:0xf
	v_mov_b32_dpp v8, v6 row_shr:2 row_mask:0xf bank_mask:0xf
	v_add_f32_e32 v6, v6, v8
	v_mov_b32_dpp v11, v10 row_bcast:31 row_mask:0xc bank_mask:0xf
	v_mov_b32_dpp v15, v13 row_bcast:31 row_mask:0xc bank_mask:0xf
	v_mov_b32_dpp v8, v6 row_shr:4 row_mask:0xf bank_mask:0xe
	v_add_f32_e32 v6, v6, v8
	v_mov_b32_dpp v17, v16 row_bcast:31 row_mask:0xc bank_mask:0xf
	v_cmp_eq_u32_e32 vcc, 63, v77
	v_mov_b32_dpp v8, v6 row_shr:8 row_mask:0xf bank_mask:0xc
	v_add_f32_e32 v6, v6, v8
	s_nop 1
	v_mov_b32_dpp v8, v6 row_bcast:15 row_mask:0xa bank_mask:0xf
	v_add_f32_e32 v18, v6, v8
	s_nop 1
	v_mov_b32_dpp v19, v18 row_bcast:31 row_mask:0xc bank_mask:0xf
	s_and_b64 exec, exec, vcc
	s_cbranch_execz .LBB124_14
; %bb.44:
	s_load_dwordx2 s[2:3], s[4:5], 0x50
	v_add_f32_e32 v8, v0, v1
	v_and_b32_e32 v1, 0x7fffffff, v74
	v_cmp_eq_u32_e32 vcc, 0, v1
	v_cmp_eq_f32_e64 s[0:1], 0, v75
	v_add_f32_e32 v14, v2, v3
	v_add_f32_e32 v6, v4, v5
	;; [unrolled: 1-line block ×7, first 2 shown]
	s_and_b64 s[0:1], vcc, s[0:1]
	v_lshlrev_b32_e32 v16, 2, v76
	s_and_saveexec_b64 s[4:5], s[0:1]
	s_xor_b64 s[0:1], exec, s[4:5]
	s_cbranch_execz .LBB124_46
; %bb.45:
	v_xor_b32_e32 v18, 0x80000000, v73
	v_ashrrev_i32_e32 v17, 31, v16
	v_mov_b32_e32 v19, v72
	v_lshlrev_b64 v[16:17], 3, v[16:17]
	v_pk_mul_f32 v[14:15], v[14:15], v[18:19] op_sel_hi:[0,1]
	s_waitcnt lgkmcnt(0)
	v_mov_b32_e32 v1, s3
	v_add_co_u32_e32 v20, vcc, s2, v16
	v_pk_fma_f32 v[14:15], v[72:73], v[8:9], v[14:15] op_sel_hi:[1,0,1]
	v_pk_mul_f32 v[8:9], v[12:13], v[18:19] op_sel_hi:[0,1]
	v_addc_co_u32_e32 v21, vcc, v1, v17, vcc
	v_pk_fma_f32 v[16:17], v[72:73], v[6:7], v[8:9] op_sel_hi:[1,0,1]
	v_pk_mul_f32 v[6:7], v[10:11], v[18:19] op_sel_hi:[0,1]
	v_pk_mul_f32 v[4:5], v[4:5], v[18:19] op_sel_hi:[0,1]
	v_pk_fma_f32 v[2:3], v[72:73], v[2:3], v[6:7] op_sel_hi:[1,0,1]
	v_pk_fma_f32 v[4:5], v[72:73], v[0:1], v[4:5] op_sel_hi:[1,0,1]
	global_store_dwordx4 v[20:21], v[14:17], off
	global_store_dwordx4 v[20:21], v[2:5], off offset:16
                                        ; implicit-def: $vgpr73
                                        ; implicit-def: $vgpr74
                                        ; implicit-def: $vgpr8
                                        ; implicit-def: $vgpr14
                                        ; implicit-def: $vgpr6
                                        ; implicit-def: $vgpr12
                                        ; implicit-def: $vgpr2
                                        ; implicit-def: $vgpr10
                                        ; implicit-def: $vgpr0
                                        ; implicit-def: $vgpr4
                                        ; implicit-def: $vgpr16
.LBB124_46:
	s_andn2_saveexec_b64 s[0:1], s[0:1]
	s_cbranch_execz .LBB124_14
; %bb.47:
	v_ashrrev_i32_e32 v17, 31, v16
	v_lshlrev_b64 v[16:17], 3, v[16:17]
	s_waitcnt lgkmcnt(0)
	v_mov_b32_e32 v1, s3
	v_add_co_u32_e32 v24, vcc, s2, v16
	v_addc_co_u32_e32 v25, vcc, v1, v17, vcc
	global_load_dwordx4 v[16:19], v[24:25], off
	global_load_dwordx4 v[20:23], v[24:25], off offset:16
	v_xor_b32_e32 v26, 0x80000000, v73
	v_mov_b32_e32 v27, v72
	v_pk_mul_f32 v[14:15], v[14:15], v[26:27] op_sel_hi:[0,1]
	v_pk_mul_f32 v[12:13], v[12:13], v[26:27] op_sel_hi:[0,1]
	;; [unrolled: 1-line block ×4, first 2 shown]
	v_pk_fma_f32 v[8:9], v[72:73], v[8:9], v[14:15] op_sel_hi:[1,0,1]
	v_pk_fma_f32 v[6:7], v[72:73], v[6:7], v[12:13] op_sel_hi:[1,0,1]
	v_xor_b32_e32 v28, 0x80000000, v75
	v_mov_b32_e32 v29, v74
	v_pk_fma_f32 v[2:3], v[72:73], v[2:3], v[10:11] op_sel_hi:[1,0,1]
	v_pk_fma_f32 v[0:1], v[72:73], v[0:1], v[4:5] op_sel_hi:[1,0,1]
	s_waitcnt vmcnt(1)
	v_pk_fma_f32 v[4:5], v[74:75], v[16:17], v[8:9] op_sel_hi:[1,0,1]
	v_pk_fma_f32 v[6:7], v[74:75], v[18:19], v[6:7] op_sel_hi:[1,0,1]
	v_mov_b32_e32 v8, v19
	s_waitcnt vmcnt(0)
	v_pk_fma_f32 v[10:11], v[74:75], v[20:21], v[2:3] op_sel_hi:[1,0,1]
	v_pk_fma_f32 v[12:13], v[74:75], v[22:23], v[0:1] op_sel_hi:[1,0,1]
	v_mov_b32_e32 v14, v23
	v_pk_fma_f32 v[0:1], v[28:29], v[16:17], v[4:5] op_sel:[0,1,0]
	v_pk_fma_f32 v[2:3], v[28:29], v[8:9], v[6:7] op_sel_hi:[1,0,1]
	v_pk_fma_f32 v[4:5], v[28:29], v[20:21], v[10:11] op_sel:[0,1,0]
	v_pk_fma_f32 v[6:7], v[28:29], v[14:15], v[12:13] op_sel_hi:[1,0,1]
	global_store_dwordx4 v[24:25], v[0:3], off
	global_store_dwordx4 v[24:25], v[4:7], off offset:16
	s_endpgm
	.section	.rodata,"a",@progbits
	.p2align	6, 0x0
	.amdhsa_kernel _ZN9rocsparseL18bsrxmvn_4x4_kernelILj128ELj64E21rocsparse_complex_numIfEiifS2_S2_EEvT3_20rocsparse_direction_NS_24const_host_device_scalarIT1_EES3_PKS3_PKT2_SC_S9_PKT4_PKT5_S7_PT6_21rocsparse_index_base_b
		.amdhsa_group_segment_fixed_size 0
		.amdhsa_private_segment_fixed_size 0
		.amdhsa_kernarg_size 96
		.amdhsa_user_sgpr_count 6
		.amdhsa_user_sgpr_private_segment_buffer 1
		.amdhsa_user_sgpr_dispatch_ptr 0
		.amdhsa_user_sgpr_queue_ptr 0
		.amdhsa_user_sgpr_kernarg_segment_ptr 1
		.amdhsa_user_sgpr_dispatch_id 0
		.amdhsa_user_sgpr_flat_scratch_init 0
		.amdhsa_user_sgpr_kernarg_preload_length 0
		.amdhsa_user_sgpr_kernarg_preload_offset 0
		.amdhsa_user_sgpr_private_segment_size 0
		.amdhsa_uses_dynamic_stack 0
		.amdhsa_system_sgpr_private_segment_wavefront_offset 0
		.amdhsa_system_sgpr_workgroup_id_x 1
		.amdhsa_system_sgpr_workgroup_id_y 0
		.amdhsa_system_sgpr_workgroup_id_z 0
		.amdhsa_system_sgpr_workgroup_info 0
		.amdhsa_system_vgpr_workitem_id 0
		.amdhsa_next_free_vgpr 130
		.amdhsa_next_free_sgpr 20
		.amdhsa_accum_offset 132
		.amdhsa_reserve_vcc 1
		.amdhsa_reserve_flat_scratch 0
		.amdhsa_float_round_mode_32 0
		.amdhsa_float_round_mode_16_64 0
		.amdhsa_float_denorm_mode_32 3
		.amdhsa_float_denorm_mode_16_64 3
		.amdhsa_dx10_clamp 1
		.amdhsa_ieee_mode 1
		.amdhsa_fp16_overflow 0
		.amdhsa_tg_split 0
		.amdhsa_exception_fp_ieee_invalid_op 0
		.amdhsa_exception_fp_denorm_src 0
		.amdhsa_exception_fp_ieee_div_zero 0
		.amdhsa_exception_fp_ieee_overflow 0
		.amdhsa_exception_fp_ieee_underflow 0
		.amdhsa_exception_fp_ieee_inexact 0
		.amdhsa_exception_int_div_zero 0
	.end_amdhsa_kernel
	.section	.text._ZN9rocsparseL18bsrxmvn_4x4_kernelILj128ELj64E21rocsparse_complex_numIfEiifS2_S2_EEvT3_20rocsparse_direction_NS_24const_host_device_scalarIT1_EES3_PKS3_PKT2_SC_S9_PKT4_PKT5_S7_PT6_21rocsparse_index_base_b,"axG",@progbits,_ZN9rocsparseL18bsrxmvn_4x4_kernelILj128ELj64E21rocsparse_complex_numIfEiifS2_S2_EEvT3_20rocsparse_direction_NS_24const_host_device_scalarIT1_EES3_PKS3_PKT2_SC_S9_PKT4_PKT5_S7_PT6_21rocsparse_index_base_b,comdat
.Lfunc_end124:
	.size	_ZN9rocsparseL18bsrxmvn_4x4_kernelILj128ELj64E21rocsparse_complex_numIfEiifS2_S2_EEvT3_20rocsparse_direction_NS_24const_host_device_scalarIT1_EES3_PKS3_PKT2_SC_S9_PKT4_PKT5_S7_PT6_21rocsparse_index_base_b, .Lfunc_end124-_ZN9rocsparseL18bsrxmvn_4x4_kernelILj128ELj64E21rocsparse_complex_numIfEiifS2_S2_EEvT3_20rocsparse_direction_NS_24const_host_device_scalarIT1_EES3_PKS3_PKT2_SC_S9_PKT4_PKT5_S7_PT6_21rocsparse_index_base_b
                                        ; -- End function
	.section	.AMDGPU.csdata,"",@progbits
; Kernel info:
; codeLenInByte = 7348
; NumSgprs: 24
; NumVgprs: 130
; NumAgprs: 0
; TotalNumVgprs: 130
; ScratchSize: 0
; MemoryBound: 0
; FloatMode: 240
; IeeeMode: 1
; LDSByteSize: 0 bytes/workgroup (compile time only)
; SGPRBlocks: 2
; VGPRBlocks: 16
; NumSGPRsForWavesPerEU: 24
; NumVGPRsForWavesPerEU: 130
; AccumOffset: 132
; Occupancy: 3
; WaveLimiterHint : 1
; COMPUTE_PGM_RSRC2:SCRATCH_EN: 0
; COMPUTE_PGM_RSRC2:USER_SGPR: 6
; COMPUTE_PGM_RSRC2:TRAP_HANDLER: 0
; COMPUTE_PGM_RSRC2:TGID_X_EN: 1
; COMPUTE_PGM_RSRC2:TGID_Y_EN: 0
; COMPUTE_PGM_RSRC2:TGID_Z_EN: 0
; COMPUTE_PGM_RSRC2:TIDIG_COMP_CNT: 0
; COMPUTE_PGM_RSRC3_GFX90A:ACCUM_OFFSET: 32
; COMPUTE_PGM_RSRC3_GFX90A:TG_SPLIT: 0
	.section	.text._ZN9rocsparseL18bsrxmvn_4x4_kernelILj128ELj4E21rocsparse_complex_numIfElifS2_S2_EEvT3_20rocsparse_direction_NS_24const_host_device_scalarIT1_EES3_PKS3_PKT2_SC_S9_PKT4_PKT5_S7_PT6_21rocsparse_index_base_b,"axG",@progbits,_ZN9rocsparseL18bsrxmvn_4x4_kernelILj128ELj4E21rocsparse_complex_numIfElifS2_S2_EEvT3_20rocsparse_direction_NS_24const_host_device_scalarIT1_EES3_PKS3_PKT2_SC_S9_PKT4_PKT5_S7_PT6_21rocsparse_index_base_b,comdat
	.globl	_ZN9rocsparseL18bsrxmvn_4x4_kernelILj128ELj4E21rocsparse_complex_numIfElifS2_S2_EEvT3_20rocsparse_direction_NS_24const_host_device_scalarIT1_EES3_PKS3_PKT2_SC_S9_PKT4_PKT5_S7_PT6_21rocsparse_index_base_b ; -- Begin function _ZN9rocsparseL18bsrxmvn_4x4_kernelILj128ELj4E21rocsparse_complex_numIfElifS2_S2_EEvT3_20rocsparse_direction_NS_24const_host_device_scalarIT1_EES3_PKS3_PKT2_SC_S9_PKT4_PKT5_S7_PT6_21rocsparse_index_base_b
	.p2align	8
	.type	_ZN9rocsparseL18bsrxmvn_4x4_kernelILj128ELj4E21rocsparse_complex_numIfElifS2_S2_EEvT3_20rocsparse_direction_NS_24const_host_device_scalarIT1_EES3_PKS3_PKT2_SC_S9_PKT4_PKT5_S7_PT6_21rocsparse_index_base_b,@function
_ZN9rocsparseL18bsrxmvn_4x4_kernelILj128ELj4E21rocsparse_complex_numIfElifS2_S2_EEvT3_20rocsparse_direction_NS_24const_host_device_scalarIT1_EES3_PKS3_PKT2_SC_S9_PKT4_PKT5_S7_PT6_21rocsparse_index_base_b: ; @_ZN9rocsparseL18bsrxmvn_4x4_kernelILj128ELj4E21rocsparse_complex_numIfElifS2_S2_EEvT3_20rocsparse_direction_NS_24const_host_device_scalarIT1_EES3_PKS3_PKT2_SC_S9_PKT4_PKT5_S7_PT6_21rocsparse_index_base_b
; %bb.0:
	s_load_dwordx2 s[16:17], s[4:5], 0x58
	s_load_dwordx2 s[8:9], s[4:5], 0x8
	s_load_dwordx2 s[2:3], s[4:5], 0x48
	s_waitcnt lgkmcnt(0)
	s_bitcmp1_b32 s17, 0
	s_cselect_b64 s[0:1], -1, 0
	s_xor_b64 s[10:11], s[0:1], -1
	s_and_b64 vcc, exec, s[0:1]
	v_mov_b32_e32 v80, s8
	s_cbranch_vccnz .LBB125_2
; %bb.1:
	v_pk_mov_b32 v[2:3], s[8:9], s[8:9] op_sel:[0,1]
	flat_load_dword v80, v[2:3]
.LBB125_2:
	v_cndmask_b32_e64 v1, 0, 1, s[10:11]
	v_cmp_ne_u32_e64 s[0:1], 1, v1
	s_andn2_b64 vcc, exec, s[10:11]
	v_mov_b32_e32 v81, s9
	s_cbranch_vccz .LBB125_15
; %bb.3:
	s_and_b64 vcc, exec, s[0:1]
	v_mov_b32_e32 v82, s2
	s_cbranch_vccz .LBB125_16
.LBB125_4:
	s_and_b64 vcc, exec, s[0:1]
	v_mov_b32_e32 v83, s3
	s_cbranch_vccnz .LBB125_6
.LBB125_5:
	v_pk_mov_b32 v[2:3], s[2:3], s[2:3] op_sel:[0,1]
	flat_load_dword v83, v[2:3] offset:4
.LBB125_6:
	s_waitcnt vmcnt(0) lgkmcnt(0)
	v_and_b32_e32 v1, 0x7fffffff, v80
	v_cmp_eq_u32_e32 vcc, 0, v1
	v_cmp_eq_f32_e64 s[0:1], 0, v81
	s_and_b64 s[8:9], vcc, s[0:1]
	s_mov_b64 s[0:1], -1
	s_and_saveexec_b64 s[2:3], s[8:9]
; %bb.7:
	v_and_b32_e32 v1, 0x7fffffff, v83
	v_cmp_neq_f32_e32 vcc, 1.0, v82
	v_cmp_ne_u32_e64 s[0:1], 0, v1
	s_or_b64 s[0:1], vcc, s[0:1]
	s_orn2_b64 s[0:1], s[0:1], exec
; %bb.8:
	s_or_b64 exec, exec, s[2:3]
	s_and_saveexec_b64 s[2:3], s[0:1]
	s_cbranch_execz .LBB125_14
; %bb.9:
	s_load_dwordx2 s[8:9], s[4:5], 0x18
	s_load_dwordx2 s[0:1], s[4:5], 0x0
	v_lshrrev_b32_e32 v1, 2, v0
	v_lshl_or_b32 v84, s6, 5, v1
	s_mov_b64 s[2:3], 0
	s_waitcnt lgkmcnt(0)
	s_cmp_lg_u64 s[8:9], 0
	s_cbranch_scc0 .LBB125_17
; %bb.10:
	s_load_dword s6, s[4:5], 0x10
                                        ; implicit-def: $vgpr1
	s_waitcnt lgkmcnt(0)
	v_cmp_gt_i32_e32 vcc, s6, v84
	s_and_saveexec_b64 s[6:7], vcc
	s_xor_b64 s[6:7], exec, s[6:7]
	s_cbranch_execz .LBB125_12
; %bb.11:
	v_ashrrev_i32_e32 v85, 31, v84
	v_lshlrev_b64 v[2:3], 2, v[84:85]
	v_mov_b32_e32 v1, s9
	v_add_co_u32_e32 v2, vcc, s8, v2
	v_addc_co_u32_e32 v3, vcc, v1, v3, vcc
	global_load_dword v1, v[2:3], off
	s_mov_b64 s[2:3], exec
	s_waitcnt vmcnt(0)
	v_subrev_u32_e32 v1, s16, v1
.LBB125_12:
	s_or_b64 exec, exec, s[6:7]
	s_branch .LBB125_18
.LBB125_13:
	v_cmp_gt_i32_e32 vcc, s0, v84
	s_andn2_b64 s[2:3], s[2:3], exec
	s_and_b64 s[6:7], vcc, exec
	s_or_b64 s[2:3], s[2:3], s[6:7]
	s_and_b64 exec, exec, s[2:3]
	s_cbranch_execnz .LBB125_19
.LBB125_14:
	s_endpgm
.LBB125_15:
	v_pk_mov_b32 v[2:3], s[8:9], s[8:9] op_sel:[0,1]
	flat_load_dword v81, v[2:3] offset:4
	s_and_b64 vcc, exec, s[0:1]
	v_mov_b32_e32 v82, s2
	s_cbranch_vccnz .LBB125_4
.LBB125_16:
	v_pk_mov_b32 v[2:3], s[2:3], s[2:3] op_sel:[0,1]
	flat_load_dword v82, v[2:3]
	s_and_b64 vcc, exec, s[0:1]
	v_mov_b32_e32 v83, s3
	s_cbranch_vccz .LBB125_5
	s_branch .LBB125_6
.LBB125_17:
                                        ; implicit-def: $vgpr1
	s_cbranch_execnz .LBB125_13
.LBB125_18:
	v_mov_b32_e32 v84, v1
	s_and_b64 exec, exec, s[2:3]
	s_cbranch_execz .LBB125_14
.LBB125_19:
	s_load_dwordx8 s[8:15], s[4:5], 0x20
	v_ashrrev_i32_e32 v85, 31, v84
	v_lshlrev_b64 v[2:3], 3, v[84:85]
	v_and_b32_e32 v86, 3, v0
	s_load_dwordx2 s[6:7], s[4:5], 0x40
	s_waitcnt lgkmcnt(0)
	v_mov_b32_e32 v1, s9
	v_add_co_u32_e32 v4, vcc, s8, v2
	v_addc_co_u32_e32 v5, vcc, v1, v3, vcc
	v_add_co_u32_e32 v1, vcc, 8, v4
	global_load_dwordx2 v[12:13], v[4:5], off
	v_addc_co_u32_e32 v4, vcc, 0, v5, vcc
	v_mov_b32_e32 v5, s11
	v_add_co_u32_e32 v2, vcc, s10, v2
	s_cmp_eq_u64 s[10:11], 0
	v_addc_co_u32_e32 v3, vcc, v5, v3, vcc
	s_cselect_b64 vcc, -1, 0
	v_cndmask_b32_e32 v3, v3, v4, vcc
	v_cndmask_b32_e32 v2, v2, v1, vcc
	global_load_dwordx2 v[2:3], v[2:3], off
	v_mov_b32_e32 v4, s15
	s_mov_b32 s17, 0
	v_mov_b32_e32 v97, 0
	s_cmp_eq_u32 s1, 1
	s_waitcnt vmcnt(1)
	v_subrev_co_u32_e32 v0, vcc, s16, v12
	v_subbrev_co_u32_e32 v1, vcc, 0, v13, vcc
	v_add_co_u32_e32 v88, vcc, v0, v86
	v_addc_co_u32_e32 v89, vcc, 0, v1, vcc
	v_lshlrev_b64 v[0:1], 6, v[88:89]
	s_waitcnt vmcnt(0)
	v_subrev_co_u32_e32 v90, vcc, s16, v2
	v_subbrev_co_u32_e32 v91, vcc, 0, v3, vcc
	v_add_co_u32_e32 v92, vcc, s14, v0
	v_addc_co_u32_e32 v93, vcc, v4, v1, vcc
	v_cmp_lt_i64_e64 s[0:1], v[88:89], v[90:91]
	s_cbranch_scc1 .LBB125_31
; %bb.20:
	v_mov_b32_e32 v96, 0
	v_mov_b32_e32 v101, 0
	v_mov_b32_e32 v100, 0
	v_mov_b32_e32 v99, 0
	v_mov_b32_e32 v98, 0
	v_mov_b32_e32 v95, 0
	v_mov_b32_e32 v94, 0
	s_and_saveexec_b64 s[8:9], s[0:1]
	s_cbranch_execz .LBB125_30
; %bb.21:
	v_or_b32_e32 v0, 4, v86
	v_mov_b32_e32 v1, s17
	v_subrev_co_u32_e32 v0, vcc, s16, v0
	v_subb_co_u32_e32 v1, vcc, 0, v1, vcc
	v_add_co_u32_e32 v0, vcc, v0, v12
	v_addc_co_u32_e32 v1, vcc, v1, v13, vcc
	v_cmp_gt_i64_e32 vcc, v[0:1], v[90:91]
	v_cndmask_b32_e32 v1, v91, v1, vcc
	v_cndmask_b32_e32 v0, v90, v0, vcc
	v_mov_b32_e32 v4, s17
	v_sub_co_u32_e32 v5, vcc, s16, v86
	v_not_b32_e32 v3, v12
	v_subbrev_co_u32_e32 v4, vcc, 0, v4, vcc
	v_not_b32_e32 v2, v13
	v_add_co_u32_e32 v3, vcc, v5, v3
	v_addc_co_u32_e32 v2, vcc, v4, v2, vcc
	v_add_co_u32_e32 v0, vcc, v3, v0
	v_addc_co_u32_e32 v1, vcc, v2, v1, vcc
	v_lshrrev_b32_e32 v2, 2, v0
	v_add_u32_e32 v2, 1, v2
	v_and_b32_e32 v2, 3, v2
	v_mov_b32_e32 v94, 0
	v_cmp_ne_u32_e32 vcc, 0, v2
	v_mov_b32_e32 v95, v94
	v_mov_b32_e32 v98, v94
	;; [unrolled: 1-line block ×7, first 2 shown]
	v_pk_mov_b32 v[14:15], v[92:93], v[92:93] op_sel:[0,1]
	v_pk_mov_b32 v[16:17], v[88:89], v[88:89] op_sel:[0,1]
	s_and_saveexec_b64 s[2:3], vcc
	s_cbranch_execz .LBB125_25
; %bb.22:
	v_lshlrev_b64 v[4:5], 2, v[88:89]
	v_mov_b32_e32 v3, 0
	v_mov_b32_e32 v6, s13
	v_add_co_u32_e32 v4, vcc, s12, v4
	v_lshlrev_b32_e32 v2, 2, v2
	v_addc_co_u32_e32 v5, vcc, v6, v5, vcc
	s_mov_b64 s[10:11], 0
	s_movk_i32 s14, 0x100
	v_mov_b32_e32 v10, s7
	v_bfrev_b32_e32 v6, 1
	v_pk_mov_b32 v[8:9], v[2:3], v[2:3] op_sel:[0,1]
	v_pk_mov_b32 v[16:17], v[88:89], v[88:89] op_sel:[0,1]
	;; [unrolled: 1-line block ×3, first 2 shown]
	v_mov_b32_e32 v94, v3
	v_mov_b32_e32 v95, v3
	;; [unrolled: 1-line block ×8, first 2 shown]
.LBB125_23:                             ; =>This Inner Loop Header: Depth=1
	global_load_dword v2, v[4:5], off
	global_load_dwordx4 v[18:21], v[14:15], off offset:16
	global_load_dwordx4 v[22:25], v[14:15], off
	s_waitcnt vmcnt(2)
	v_subrev_u32_e32 v2, s16, v2
	v_lshlrev_b32_e32 v26, 2, v2
	v_ashrrev_i32_e32 v27, 31, v26
	v_lshlrev_b64 v[26:27], 3, v[26:27]
	v_add_co_u32_e32 v42, vcc, s6, v26
	v_addc_co_u32_e32 v43, vcc, v10, v27, vcc
	global_load_dwordx4 v[26:29], v[42:43], off
	global_load_dwordx4 v[30:33], v[42:43], off offset:16
	global_load_dwordx4 v[34:37], v[14:15], off offset:32
	;; [unrolled: 1-line block ×3, first 2 shown]
	s_waitcnt vmcnt(4)
	v_mov_b32_e32 v2, v22
	v_mov_b32_e32 v7, v22
	v_add_co_u32_e32 v14, vcc, s14, v14
	v_addc_co_u32_e32 v15, vcc, 0, v15, vcc
	v_add_co_u32_e32 v16, vcc, 4, v16
	v_addc_co_u32_e32 v17, vcc, 0, v17, vcc
	;; [unrolled: 2-line block ×3, first 2 shown]
	v_add_co_u32_e32 v8, vcc, -4, v8
	v_addc_co_u32_e32 v9, vcc, -1, v9, vcc
	v_cmp_eq_u64_e32 vcc, 0, v[8:9]
	s_or_b64 s[10:11], vcc, s[10:11]
	s_waitcnt vmcnt(3)
	v_pk_fma_f32 v[42:43], v[26:27], v[2:3], v[96:97] op_sel_hi:[0,1,1]
	v_mov_b32_e32 v2, v23
	v_pk_fma_f32 v[42:43], v[26:27], v[6:7], v[42:43] op_sel:[1,0,0]
	v_mov_b32_e32 v22, v29
	v_mov_b32_e32 v7, v23
	v_pk_fma_f32 v[42:43], v[28:29], v[2:3], v[42:43] op_sel_hi:[0,1,1]
	v_mov_b32_e32 v2, v24
	v_pk_fma_f32 v[42:43], v[22:23], v[6:7], v[42:43] op_sel_hi:[0,1,1]
	v_mov_b32_e32 v7, v24
	s_waitcnt vmcnt(2)
	v_pk_fma_f32 v[42:43], v[30:31], v[2:3], v[42:43] op_sel_hi:[0,1,1]
	v_mov_b32_e32 v2, v25
	v_pk_fma_f32 v[42:43], v[30:31], v[6:7], v[42:43] op_sel:[1,0,0]
	v_mov_b32_e32 v44, v33
	v_mov_b32_e32 v7, v25
	v_pk_fma_f32 v[24:25], v[32:33], v[2:3], v[42:43] op_sel_hi:[0,1,1]
	v_mov_b32_e32 v2, v18
	v_pk_fma_f32 v[96:97], v[44:45], v[6:7], v[24:25] op_sel_hi:[0,1,1]
	v_pk_fma_f32 v[24:25], v[26:27], v[2:3], v[100:101] op_sel_hi:[0,1,1]
	v_mov_b32_e32 v7, v18
	v_mov_b32_e32 v2, v19
	v_pk_fma_f32 v[24:25], v[26:27], v[6:7], v[24:25] op_sel:[1,0,0]
	v_mov_b32_e32 v7, v19
	v_pk_fma_f32 v[18:19], v[28:29], v[2:3], v[24:25] op_sel_hi:[0,1,1]
	v_mov_b32_e32 v2, v20
	v_pk_fma_f32 v[18:19], v[22:23], v[6:7], v[18:19] op_sel_hi:[0,1,1]
	;; [unrolled: 2-line block ×3, first 2 shown]
	v_mov_b32_e32 v2, v21
	v_pk_fma_f32 v[18:19], v[30:31], v[6:7], v[18:19] op_sel:[1,0,0]
	v_mov_b32_e32 v7, v21
	v_pk_fma_f32 v[18:19], v[32:33], v[2:3], v[18:19] op_sel_hi:[0,1,1]
	s_waitcnt vmcnt(1)
	v_mov_b32_e32 v2, v34
	v_pk_fma_f32 v[100:101], v[44:45], v[6:7], v[18:19] op_sel_hi:[0,1,1]
	v_pk_fma_f32 v[18:19], v[26:27], v[2:3], v[98:99] op_sel_hi:[0,1,1]
	v_mov_b32_e32 v7, v34
	v_mov_b32_e32 v2, v35
	v_pk_fma_f32 v[18:19], v[26:27], v[6:7], v[18:19] op_sel:[1,0,0]
	v_mov_b32_e32 v7, v35
	v_pk_fma_f32 v[18:19], v[28:29], v[2:3], v[18:19] op_sel_hi:[0,1,1]
	v_mov_b32_e32 v2, v36
	v_pk_fma_f32 v[18:19], v[22:23], v[6:7], v[18:19] op_sel_hi:[0,1,1]
	;; [unrolled: 2-line block ×3, first 2 shown]
	v_mov_b32_e32 v2, v37
	v_pk_fma_f32 v[18:19], v[30:31], v[6:7], v[18:19] op_sel:[1,0,0]
	v_mov_b32_e32 v7, v37
	v_pk_fma_f32 v[18:19], v[32:33], v[2:3], v[18:19] op_sel_hi:[0,1,1]
	s_waitcnt vmcnt(0)
	v_mov_b32_e32 v2, v38
	v_pk_fma_f32 v[98:99], v[44:45], v[6:7], v[18:19] op_sel_hi:[0,1,1]
	v_pk_fma_f32 v[18:19], v[26:27], v[2:3], v[94:95] op_sel_hi:[0,1,1]
	v_mov_b32_e32 v7, v38
	v_mov_b32_e32 v2, v39
	v_pk_fma_f32 v[18:19], v[26:27], v[6:7], v[18:19] op_sel:[1,0,0]
	v_mov_b32_e32 v7, v39
	v_pk_fma_f32 v[18:19], v[28:29], v[2:3], v[18:19] op_sel_hi:[0,1,1]
	v_mov_b32_e32 v2, v40
	v_pk_fma_f32 v[18:19], v[22:23], v[6:7], v[18:19] op_sel_hi:[0,1,1]
	;; [unrolled: 2-line block ×3, first 2 shown]
	v_mov_b32_e32 v2, v41
	v_pk_fma_f32 v[18:19], v[30:31], v[6:7], v[18:19] op_sel:[1,0,0]
	v_mov_b32_e32 v7, v41
	v_pk_fma_f32 v[18:19], v[32:33], v[2:3], v[18:19] op_sel_hi:[0,1,1]
	v_pk_fma_f32 v[94:95], v[44:45], v[6:7], v[18:19] op_sel_hi:[0,1,1]
	s_andn2_b64 exec, exec, s[10:11]
	s_cbranch_execnz .LBB125_23
; %bb.24:
	s_or_b64 exec, exec, s[10:11]
.LBB125_25:
	s_or_b64 exec, exec, s[2:3]
	v_cmp_lt_u64_e32 vcc, 11, v[0:1]
	s_and_saveexec_b64 s[10:11], vcc
	s_cbranch_execz .LBB125_29
; %bb.26:
	v_lshlrev_b64 v[0:1], 2, v[16:17]
	v_mov_b32_e32 v2, s13
	v_add_co_u32_e32 v0, vcc, s12, v0
	v_addc_co_u32_e32 v1, vcc, v1, v2, vcc
	v_add_co_u32_e32 v18, vcc, 32, v0
	v_addc_co_u32_e32 v19, vcc, 0, v1, vcc
	s_mov_b64 s[14:15], 0
	v_mov_b32_e32 v28, s7
	v_mov_b32_e32 v21, 0
	v_bfrev_b32_e32 v22, 1
.LBB125_27:                             ; =>This Inner Loop Header: Depth=1
	global_load_dword v0, v[18:19], off offset:-32
	s_waitcnt vmcnt(0)
	v_subrev_u32_e32 v0, s16, v0
	v_lshlrev_b32_e32 v4, 2, v0
	v_ashrrev_i32_e32 v5, 31, v4
	v_lshlrev_b64 v[4:5], 3, v[4:5]
	v_add_co_u32_e32 v4, vcc, s6, v4
	v_addc_co_u32_e32 v5, vcc, v28, v5, vcc
	global_load_dwordx4 v[0:3], v[14:15], off offset:48
	global_load_dwordx4 v[24:27], v[14:15], off offset:32
	;; [unrolled: 1-line block ×3, first 2 shown]
	global_load_dwordx4 v[34:37], v[14:15], off
	global_load_dwordx4 v[38:41], v[4:5], off offset:16
	global_load_dwordx4 v[42:45], v[4:5], off
	global_load_dword v6, v[18:19], off offset:-16
	global_load_dwordx4 v[46:49], v[14:15], off offset:304
	global_load_dwordx4 v[50:53], v[14:15], off offset:288
	;; [unrolled: 1-line block ×4, first 2 shown]
	s_waitcnt vmcnt(7)
	v_mov_b32_e32 v20, v34
	s_waitcnt vmcnt(4)
	v_subrev_u32_e32 v4, s16, v6
	v_lshlrev_b32_e32 v4, 2, v4
	v_ashrrev_i32_e32 v5, 31, v4
	v_lshlrev_b64 v[4:5], 3, v[4:5]
	v_add_co_u32_e32 v62, vcc, s6, v4
	v_addc_co_u32_e32 v63, vcc, v28, v5, vcc
	global_load_dwordx4 v[4:7], v[62:63], off offset:16
	global_load_dwordx4 v[8:11], v[62:63], off
	v_pk_fma_f32 v[62:63], v[42:43], v[20:21], v[96:97] op_sel_hi:[0,1,1]
	v_mov_b32_e32 v23, v34
	v_pk_fma_f32 v[62:63], v[42:43], v[22:23], v[62:63] op_sel:[1,0,0]
	v_mov_b32_e32 v20, v35
	v_pk_fma_f32 v[62:63], v[44:45], v[20:21], v[62:63] op_sel_hi:[0,1,1]
	v_mov_b32_e32 v34, v45
	v_mov_b32_e32 v23, v35
	v_pk_fma_f32 v[62:63], v[34:35], v[22:23], v[62:63] op_sel_hi:[0,1,1]
	v_mov_b32_e32 v20, v36
	v_pk_fma_f32 v[62:63], v[38:39], v[20:21], v[62:63] op_sel_hi:[0,1,1]
	v_mov_b32_e32 v23, v36
	v_pk_fma_f32 v[62:63], v[38:39], v[22:23], v[62:63] op_sel:[1,0,0]
	v_mov_b32_e32 v20, v37
	v_pk_fma_f32 v[62:63], v[40:41], v[20:21], v[62:63] op_sel_hi:[0,1,1]
	v_mov_b32_e32 v36, v41
	v_mov_b32_e32 v23, v37
	v_pk_fma_f32 v[62:63], v[36:37], v[22:23], v[62:63] op_sel_hi:[0,1,1]
	s_waitcnt vmcnt(2)
	v_mov_b32_e32 v20, v58
	v_mov_b32_e32 v23, v58
	s_waitcnt vmcnt(0)
	v_pk_fma_f32 v[62:63], v[8:9], v[20:21], v[62:63] op_sel_hi:[0,1,1]
	v_mov_b32_e32 v20, v30
	v_pk_fma_f32 v[66:67], v[8:9], v[22:23], v[62:63] op_sel:[1,0,0]
	v_pk_fma_f32 v[62:63], v[42:43], v[20:21], v[100:101] op_sel_hi:[0,1,1]
	v_mov_b32_e32 v23, v30
	v_pk_fma_f32 v[62:63], v[42:43], v[22:23], v[62:63] op_sel:[1,0,0]
	v_mov_b32_e32 v20, v31
	v_pk_fma_f32 v[62:63], v[44:45], v[20:21], v[62:63] op_sel_hi:[0,1,1]
	v_mov_b32_e32 v23, v31
	v_pk_fma_f32 v[30:31], v[34:35], v[22:23], v[62:63] op_sel_hi:[0,1,1]
	v_mov_b32_e32 v20, v32
	v_pk_fma_f32 v[30:31], v[38:39], v[20:21], v[30:31] op_sel_hi:[0,1,1]
	v_mov_b32_e32 v23, v32
	v_pk_fma_f32 v[30:31], v[38:39], v[22:23], v[30:31] op_sel:[1,0,0]
	v_mov_b32_e32 v20, v33
	v_pk_fma_f32 v[30:31], v[40:41], v[20:21], v[30:31] op_sel_hi:[0,1,1]
	v_mov_b32_e32 v23, v33
	v_pk_fma_f32 v[30:31], v[36:37], v[22:23], v[30:31] op_sel_hi:[0,1,1]
	v_mov_b32_e32 v20, v54
	v_pk_fma_f32 v[30:31], v[8:9], v[20:21], v[30:31] op_sel_hi:[0,1,1]
	v_mov_b32_e32 v23, v54
	v_mov_b32_e32 v20, v24
	v_pk_fma_f32 v[68:69], v[8:9], v[22:23], v[30:31] op_sel:[1,0,0]
	v_pk_fma_f32 v[30:31], v[42:43], v[20:21], v[98:99] op_sel_hi:[0,1,1]
	v_mov_b32_e32 v23, v24
	v_pk_fma_f32 v[30:31], v[42:43], v[22:23], v[30:31] op_sel:[1,0,0]
	v_mov_b32_e32 v20, v25
	v_pk_fma_f32 v[30:31], v[44:45], v[20:21], v[30:31] op_sel_hi:[0,1,1]
	v_mov_b32_e32 v23, v25
	v_pk_fma_f32 v[24:25], v[34:35], v[22:23], v[30:31] op_sel_hi:[0,1,1]
	v_mov_b32_e32 v20, v26
	v_pk_fma_f32 v[24:25], v[38:39], v[20:21], v[24:25] op_sel_hi:[0,1,1]
	v_mov_b32_e32 v23, v26
	v_pk_fma_f32 v[24:25], v[38:39], v[22:23], v[24:25] op_sel:[1,0,0]
	v_mov_b32_e32 v20, v27
	v_pk_fma_f32 v[24:25], v[40:41], v[20:21], v[24:25] op_sel_hi:[0,1,1]
	v_mov_b32_e32 v23, v27
	v_pk_fma_f32 v[24:25], v[36:37], v[22:23], v[24:25] op_sel_hi:[0,1,1]
	v_mov_b32_e32 v20, v50
	v_pk_fma_f32 v[24:25], v[8:9], v[20:21], v[24:25] op_sel_hi:[0,1,1]
	v_mov_b32_e32 v23, v50
	;; [unrolled: 20-line block ×3, first 2 shown]
	v_pk_fma_f32 v[70:71], v[8:9], v[22:23], v[0:1] op_sel:[1,0,0]
	global_load_dword v0, v[18:19], off
	global_load_dwordx4 v[30:33], v[14:15], off offset:560
	global_load_dwordx4 v[34:37], v[14:15], off offset:544
	;; [unrolled: 1-line block ×4, first 2 shown]
	v_mov_b32_e32 v20, v59
	v_mov_b32_e32 v46, v11
	v_mov_b32_e32 v23, v59
	v_mov_b32_e32 v50, v7
	s_waitcnt vmcnt(4)
	v_subrev_u32_e32 v0, s16, v0
	v_lshlrev_b32_e32 v0, 2, v0
	v_ashrrev_i32_e32 v1, 31, v0
	v_lshlrev_b64 v[0:1], 3, v[0:1]
	v_add_co_u32_e32 v8, vcc, s6, v0
	v_addc_co_u32_e32 v9, vcc, v28, v1, vcc
	global_load_dwordx4 v[0:3], v[8:9], off offset:16
	global_load_dwordx4 v[62:65], v[8:9], off
	v_pk_fma_f32 v[8:9], v[10:11], v[20:21], v[66:67] op_sel_hi:[0,1,1]
	v_pk_fma_f32 v[8:9], v[46:47], v[22:23], v[8:9] op_sel_hi:[0,1,1]
	v_mov_b32_e32 v20, v60
	v_pk_fma_f32 v[8:9], v[4:5], v[20:21], v[8:9] op_sel_hi:[0,1,1]
	v_mov_b32_e32 v23, v60
	v_pk_fma_f32 v[8:9], v[4:5], v[22:23], v[8:9] op_sel:[1,0,0]
	v_mov_b32_e32 v20, v61
	v_pk_fma_f32 v[8:9], v[6:7], v[20:21], v[8:9] op_sel_hi:[0,1,1]
	v_mov_b32_e32 v23, v61
	v_pk_fma_f32 v[8:9], v[50:51], v[22:23], v[8:9] op_sel_hi:[0,1,1]
	s_waitcnt vmcnt(2)
	v_mov_b32_e32 v20, v42
	v_mov_b32_e32 v23, v42
	s_waitcnt vmcnt(0)
	v_pk_fma_f32 v[8:9], v[62:63], v[20:21], v[8:9] op_sel_hi:[0,1,1]
	v_pk_fma_f32 v[8:9], v[62:63], v[22:23], v[8:9] op_sel:[1,0,0]
	v_mov_b32_e32 v20, v43
	v_pk_fma_f32 v[8:9], v[64:65], v[20:21], v[8:9] op_sel_hi:[0,1,1]
	v_mov_b32_e32 v42, v65
	v_mov_b32_e32 v23, v43
	v_pk_fma_f32 v[8:9], v[42:43], v[22:23], v[8:9] op_sel_hi:[0,1,1]
	v_mov_b32_e32 v20, v44
	v_pk_fma_f32 v[26:27], v[0:1], v[20:21], v[8:9] op_sel_hi:[0,1,1]
	;; [unrolled: 2-line block ×5, first 2 shown]
	v_mov_b32_e32 v23, v56
	v_pk_fma_f32 v[8:9], v[4:5], v[22:23], v[8:9] op_sel:[1,0,0]
	v_mov_b32_e32 v20, v57
	v_pk_fma_f32 v[8:9], v[6:7], v[20:21], v[8:9] op_sel_hi:[0,1,1]
	v_mov_b32_e32 v23, v57
	v_pk_fma_f32 v[8:9], v[50:51], v[22:23], v[8:9] op_sel_hi:[0,1,1]
	;; [unrolled: 2-line block ×3, first 2 shown]
	v_mov_b32_e32 v23, v38
	v_pk_fma_f32 v[8:9], v[62:63], v[22:23], v[8:9] op_sel:[1,0,0]
	v_mov_b32_e32 v20, v39
	v_pk_fma_f32 v[8:9], v[64:65], v[20:21], v[8:9] op_sel_hi:[0,1,1]
	v_mov_b32_e32 v23, v39
	v_pk_fma_f32 v[8:9], v[42:43], v[22:23], v[8:9] op_sel_hi:[0,1,1]
	;; [unrolled: 2-line block ×6, first 2 shown]
	v_mov_b32_e32 v23, v52
	v_pk_fma_f32 v[24:25], v[4:5], v[22:23], v[24:25] op_sel:[1,0,0]
	v_mov_b32_e32 v20, v53
	v_pk_fma_f32 v[24:25], v[6:7], v[20:21], v[24:25] op_sel_hi:[0,1,1]
	v_mov_b32_e32 v23, v53
	v_pk_fma_f32 v[24:25], v[50:51], v[22:23], v[24:25] op_sel_hi:[0,1,1]
	;; [unrolled: 2-line block ×3, first 2 shown]
	v_mov_b32_e32 v23, v34
	v_pk_fma_f32 v[24:25], v[62:63], v[22:23], v[24:25] op_sel:[1,0,0]
	v_mov_b32_e32 v20, v35
	v_pk_fma_f32 v[24:25], v[64:65], v[20:21], v[24:25] op_sel_hi:[0,1,1]
	v_mov_b32_e32 v23, v35
	v_pk_fma_f32 v[24:25], v[42:43], v[22:23], v[24:25] op_sel_hi:[0,1,1]
	;; [unrolled: 2-line block ×6, first 2 shown]
	v_mov_b32_e32 v23, v48
	v_pk_fma_f32 v[4:5], v[4:5], v[22:23], v[10:11] op_sel:[1,0,0]
	v_mov_b32_e32 v20, v49
	v_pk_fma_f32 v[4:5], v[6:7], v[20:21], v[4:5] op_sel_hi:[0,1,1]
	global_load_dword v6, v[18:19], off offset:16
	v_mov_b32_e32 v23, v49
	v_pk_fma_f32 v[4:5], v[50:51], v[22:23], v[4:5] op_sel_hi:[0,1,1]
	v_mov_b32_e32 v20, v30
	v_pk_fma_f32 v[4:5], v[62:63], v[20:21], v[4:5] op_sel_hi:[0,1,1]
	v_mov_b32_e32 v23, v30
	v_pk_fma_f32 v[4:5], v[62:63], v[22:23], v[4:5] op_sel:[1,0,0]
	v_mov_b32_e32 v20, v31
	global_load_dwordx4 v[46:49], v[14:15], off offset:816
	global_load_dwordx4 v[50:53], v[14:15], off offset:800
	;; [unrolled: 1-line block ×4, first 2 shown]
	v_pk_fma_f32 v[4:5], v[64:65], v[20:21], v[4:5] op_sel_hi:[0,1,1]
	v_mov_b32_e32 v23, v31
	v_pk_fma_f32 v[4:5], v[42:43], v[22:23], v[4:5] op_sel_hi:[0,1,1]
	v_mov_b32_e32 v20, v32
	v_mov_b32_e32 v23, v44
	v_pk_fma_f32 v[4:5], v[0:1], v[20:21], v[4:5] op_sel_hi:[0,1,1]
	v_mov_b32_e32 v20, v45
	v_mov_b32_e32 v10, v3
	s_waitcnt vmcnt(4)
	v_subrev_u32_e32 v6, s16, v6
	v_lshlrev_b32_e32 v6, 2, v6
	v_ashrrev_i32_e32 v7, 31, v6
	v_lshlrev_b64 v[6:7], 3, v[6:7]
	v_add_co_u32_e32 v6, vcc, s6, v6
	v_addc_co_u32_e32 v7, vcc, v28, v7, vcc
	global_load_dwordx4 v[62:65], v[6:7], off offset:16
	global_load_dwordx4 v[66:69], v[6:7], off
	v_pk_fma_f32 v[6:7], v[0:1], v[22:23], v[26:27] op_sel:[1,0,0]
	v_pk_fma_f32 v[6:7], v[2:3], v[20:21], v[6:7] op_sel_hi:[0,1,1]
	v_mov_b32_e32 v23, v45
	v_pk_fma_f32 v[6:7], v[10:11], v[22:23], v[6:7] op_sel_hi:[0,1,1]
	s_waitcnt vmcnt(2)
	v_mov_b32_e32 v20, v58
	v_mov_b32_e32 v23, v58
	v_add_co_u32_e32 v16, vcc, 16, v16
	v_addc_co_u32_e32 v17, vcc, 0, v17, vcc
	v_add_co_u32_e32 v18, vcc, 64, v18
	v_addc_co_u32_e32 v19, vcc, 0, v19, vcc
	v_cmp_ge_i64_e64 s[2:3], v[16:17], v[90:91]
	v_add_co_u32_e32 v14, vcc, 0x400, v14
	v_addc_co_u32_e32 v15, vcc, 0, v15, vcc
	s_or_b64 s[14:15], s[2:3], s[14:15]
	s_waitcnt vmcnt(1)
	v_mov_b32_e32 v30, v65
	s_waitcnt vmcnt(0)
	v_pk_fma_f32 v[6:7], v[66:67], v[20:21], v[6:7] op_sel_hi:[0,1,1]
	v_pk_fma_f32 v[6:7], v[66:67], v[22:23], v[6:7] op_sel:[1,0,0]
	v_mov_b32_e32 v20, v59
	v_pk_fma_f32 v[6:7], v[68:69], v[20:21], v[6:7] op_sel_hi:[0,1,1]
	v_mov_b32_e32 v26, v69
	v_mov_b32_e32 v23, v59
	v_pk_fma_f32 v[6:7], v[26:27], v[22:23], v[6:7] op_sel_hi:[0,1,1]
	v_mov_b32_e32 v20, v60
	v_pk_fma_f32 v[6:7], v[62:63], v[20:21], v[6:7] op_sel_hi:[0,1,1]
	v_mov_b32_e32 v23, v60
	v_pk_fma_f32 v[6:7], v[62:63], v[22:23], v[6:7] op_sel:[1,0,0]
	v_mov_b32_e32 v20, v61
	v_pk_fma_f32 v[6:7], v[64:65], v[20:21], v[6:7] op_sel_hi:[0,1,1]
	v_mov_b32_e32 v23, v61
	v_pk_fma_f32 v[96:97], v[30:31], v[22:23], v[6:7] op_sel_hi:[0,1,1]
	v_mov_b32_e32 v23, v40
	v_pk_fma_f32 v[6:7], v[0:1], v[22:23], v[8:9] op_sel:[1,0,0]
	v_mov_b32_e32 v20, v41
	v_pk_fma_f32 v[6:7], v[2:3], v[20:21], v[6:7] op_sel_hi:[0,1,1]
	v_mov_b32_e32 v23, v41
	v_pk_fma_f32 v[6:7], v[10:11], v[22:23], v[6:7] op_sel_hi:[0,1,1]
	v_mov_b32_e32 v20, v54
	v_pk_fma_f32 v[6:7], v[66:67], v[20:21], v[6:7] op_sel_hi:[0,1,1]
	v_mov_b32_e32 v23, v54
	v_pk_fma_f32 v[6:7], v[66:67], v[22:23], v[6:7] op_sel:[1,0,0]
	v_mov_b32_e32 v20, v55
	v_pk_fma_f32 v[6:7], v[68:69], v[20:21], v[6:7] op_sel_hi:[0,1,1]
	v_mov_b32_e32 v23, v55
	v_pk_fma_f32 v[6:7], v[26:27], v[22:23], v[6:7] op_sel_hi:[0,1,1]
	v_mov_b32_e32 v20, v56
	v_pk_fma_f32 v[6:7], v[62:63], v[20:21], v[6:7] op_sel_hi:[0,1,1]
	v_mov_b32_e32 v23, v56
	v_pk_fma_f32 v[6:7], v[62:63], v[22:23], v[6:7] op_sel:[1,0,0]
	v_mov_b32_e32 v20, v57
	v_pk_fma_f32 v[6:7], v[64:65], v[20:21], v[6:7] op_sel_hi:[0,1,1]
	v_mov_b32_e32 v23, v57
	v_pk_fma_f32 v[100:101], v[30:31], v[22:23], v[6:7] op_sel_hi:[0,1,1]
	v_mov_b32_e32 v23, v36
	v_pk_fma_f32 v[6:7], v[0:1], v[22:23], v[24:25] op_sel:[1,0,0]
	v_mov_b32_e32 v20, v37
	v_pk_fma_f32 v[6:7], v[2:3], v[20:21], v[6:7] op_sel_hi:[0,1,1]
	v_mov_b32_e32 v23, v37
	v_pk_fma_f32 v[6:7], v[10:11], v[22:23], v[6:7] op_sel_hi:[0,1,1]
	v_mov_b32_e32 v20, v50
	v_pk_fma_f32 v[6:7], v[66:67], v[20:21], v[6:7] op_sel_hi:[0,1,1]
	v_mov_b32_e32 v23, v50
	v_pk_fma_f32 v[6:7], v[66:67], v[22:23], v[6:7] op_sel:[1,0,0]
	v_mov_b32_e32 v20, v51
	v_pk_fma_f32 v[6:7], v[68:69], v[20:21], v[6:7] op_sel_hi:[0,1,1]
	;; [unrolled: 22-line block ×3, first 2 shown]
	v_mov_b32_e32 v23, v47
	v_pk_fma_f32 v[0:1], v[26:27], v[22:23], v[0:1] op_sel_hi:[0,1,1]
	v_mov_b32_e32 v20, v48
	v_pk_fma_f32 v[0:1], v[62:63], v[20:21], v[0:1] op_sel_hi:[0,1,1]
	v_mov_b32_e32 v23, v48
	v_pk_fma_f32 v[0:1], v[62:63], v[22:23], v[0:1] op_sel:[1,0,0]
	v_mov_b32_e32 v20, v49
	v_pk_fma_f32 v[0:1], v[64:65], v[20:21], v[0:1] op_sel_hi:[0,1,1]
	v_mov_b32_e32 v23, v49
	v_pk_fma_f32 v[94:95], v[30:31], v[22:23], v[0:1] op_sel_hi:[0,1,1]
	s_andn2_b64 exec, exec, s[14:15]
	s_cbranch_execnz .LBB125_27
; %bb.28:
	s_or_b64 exec, exec, s[14:15]
.LBB125_29:
	s_or_b64 exec, exec, s[10:11]
.LBB125_30:
	s_or_b64 exec, exec, s[8:9]
	s_cbranch_execz .LBB125_32
	s_branch .LBB125_43
.LBB125_31:
                                        ; implicit-def: $vgpr97
                                        ; implicit-def: $vgpr101
                                        ; implicit-def: $vgpr99
                                        ; implicit-def: $vgpr95
.LBB125_32:
	v_mov_b32_e32 v97, 0
	v_mov_b32_e32 v96, 0
	;; [unrolled: 1-line block ×8, first 2 shown]
	s_and_saveexec_b64 s[2:3], s[0:1]
	s_cbranch_execz .LBB125_42
; %bb.33:
	v_or_b32_e32 v0, 4, v86
	v_mov_b32_e32 v1, s17
	v_subrev_co_u32_e32 v0, vcc, s16, v0
	v_subb_co_u32_e32 v1, vcc, 0, v1, vcc
	v_add_co_u32_e32 v0, vcc, v0, v12
	v_addc_co_u32_e32 v1, vcc, v1, v13, vcc
	v_cmp_gt_i64_e32 vcc, v[0:1], v[90:91]
	v_cndmask_b32_e32 v1, v91, v1, vcc
	v_cndmask_b32_e32 v0, v90, v0, vcc
	v_mov_b32_e32 v4, s17
	v_sub_co_u32_e32 v5, vcc, s16, v86
	v_not_b32_e32 v3, v12
	v_subbrev_co_u32_e32 v4, vcc, 0, v4, vcc
	v_not_b32_e32 v2, v13
	v_add_co_u32_e32 v3, vcc, v5, v3
	v_addc_co_u32_e32 v2, vcc, v4, v2, vcc
	v_add_co_u32_e32 v0, vcc, v3, v0
	v_addc_co_u32_e32 v1, vcc, v2, v1, vcc
	v_lshrrev_b32_e32 v2, 2, v0
	v_add_u32_e32 v2, 1, v2
	v_and_b32_e32 v2, 3, v2
	v_mov_b32_e32 v94, 0
	v_cmp_ne_u32_e32 vcc, 0, v2
	v_mov_b32_e32 v95, v94
	v_mov_b32_e32 v98, v94
	;; [unrolled: 1-line block ×7, first 2 shown]
	s_and_saveexec_b64 s[0:1], vcc
	s_cbranch_execz .LBB125_37
; %bb.34:
	v_lshlrev_b64 v[4:5], 2, v[88:89]
	v_mov_b32_e32 v3, 0
	v_mov_b32_e32 v6, s13
	v_add_co_u32_e32 v4, vcc, s12, v4
	v_lshlrev_b32_e32 v2, 2, v2
	v_addc_co_u32_e32 v5, vcc, v6, v5, vcc
	s_mov_b64 s[8:9], 0
	s_movk_i32 s10, 0x100
	v_mov_b32_e32 v10, s7
	v_bfrev_b32_e32 v6, 1
	v_pk_mov_b32 v[8:9], v[2:3], v[2:3] op_sel:[0,1]
	v_mov_b32_e32 v94, v3
	v_mov_b32_e32 v95, v3
	;; [unrolled: 1-line block ×8, first 2 shown]
.LBB125_35:                             ; =>This Inner Loop Header: Depth=1
	global_load_dword v2, v[4:5], off
	global_load_dwordx4 v[12:15], v[92:93], off offset:32
	global_load_dwordx4 v[16:19], v[92:93], off offset:16
	global_load_dwordx4 v[20:23], v[92:93], off
	s_waitcnt vmcnt(3)
	v_subrev_u32_e32 v2, s16, v2
	v_lshlrev_b32_e32 v24, 2, v2
	v_ashrrev_i32_e32 v25, 31, v24
	v_lshlrev_b64 v[24:25], 3, v[24:25]
	v_add_co_u32_e32 v36, vcc, s6, v24
	v_addc_co_u32_e32 v37, vcc, v10, v25, vcc
	global_load_dwordx4 v[24:27], v[36:37], off
	global_load_dwordx4 v[28:31], v[36:37], off offset:16
	global_load_dwordx4 v[32:35], v[92:93], off offset:48
	s_waitcnt vmcnt(3)
	v_mov_b32_e32 v2, v20
	v_mov_b32_e32 v7, v20
	v_add_co_u32_e32 v92, vcc, s10, v92
	v_addc_co_u32_e32 v93, vcc, 0, v93, vcc
	v_add_co_u32_e32 v88, vcc, 4, v88
	v_addc_co_u32_e32 v89, vcc, 0, v89, vcc
	;; [unrolled: 2-line block ×3, first 2 shown]
	v_add_co_u32_e32 v8, vcc, -4, v8
	v_addc_co_u32_e32 v9, vcc, -1, v9, vcc
	v_cmp_eq_u64_e32 vcc, 0, v[8:9]
	s_or_b64 s[8:9], vcc, s[8:9]
	s_waitcnt vmcnt(2)
	v_pk_fma_f32 v[36:37], v[24:25], v[2:3], v[96:97] op_sel_hi:[0,1,1]
	v_mov_b32_e32 v2, v16
	v_pk_fma_f32 v[36:37], v[24:25], v[6:7], v[36:37] op_sel:[1,0,0]
	v_mov_b32_e32 v20, v27
	v_mov_b32_e32 v7, v16
	v_pk_fma_f32 v[36:37], v[26:27], v[2:3], v[36:37] op_sel_hi:[0,1,1]
	v_mov_b32_e32 v2, v12
	v_pk_fma_f32 v[36:37], v[20:21], v[6:7], v[36:37] op_sel_hi:[0,1,1]
	v_mov_b32_e32 v7, v12
	s_waitcnt vmcnt(1)
	v_pk_fma_f32 v[36:37], v[28:29], v[2:3], v[36:37] op_sel_hi:[0,1,1]
	s_waitcnt vmcnt(0)
	v_mov_b32_e32 v2, v32
	v_pk_fma_f32 v[36:37], v[28:29], v[6:7], v[36:37] op_sel:[1,0,0]
	v_mov_b32_e32 v38, v31
	v_mov_b32_e32 v7, v32
	v_pk_fma_f32 v[36:37], v[30:31], v[2:3], v[36:37] op_sel_hi:[0,1,1]
	v_mov_b32_e32 v2, v21
	v_pk_fma_f32 v[96:97], v[38:39], v[6:7], v[36:37] op_sel_hi:[0,1,1]
	v_pk_fma_f32 v[36:37], v[24:25], v[2:3], v[100:101] op_sel_hi:[0,1,1]
	v_mov_b32_e32 v7, v21
	v_mov_b32_e32 v2, v17
	v_pk_fma_f32 v[36:37], v[24:25], v[6:7], v[36:37] op_sel:[1,0,0]
	v_mov_b32_e32 v7, v17
	v_pk_fma_f32 v[16:17], v[26:27], v[2:3], v[36:37] op_sel_hi:[0,1,1]
	v_mov_b32_e32 v2, v13
	v_pk_fma_f32 v[16:17], v[20:21], v[6:7], v[16:17] op_sel_hi:[0,1,1]
	v_mov_b32_e32 v7, v13
	v_pk_fma_f32 v[12:13], v[28:29], v[2:3], v[16:17] op_sel_hi:[0,1,1]
	v_mov_b32_e32 v2, v33
	v_pk_fma_f32 v[12:13], v[28:29], v[6:7], v[12:13] op_sel:[1,0,0]
	v_mov_b32_e32 v7, v33
	v_pk_fma_f32 v[12:13], v[30:31], v[2:3], v[12:13] op_sel_hi:[0,1,1]
	v_mov_b32_e32 v2, v22
	v_pk_fma_f32 v[100:101], v[38:39], v[6:7], v[12:13] op_sel_hi:[0,1,1]
	v_pk_fma_f32 v[12:13], v[24:25], v[2:3], v[98:99] op_sel_hi:[0,1,1]
	v_mov_b32_e32 v7, v22
	v_mov_b32_e32 v2, v18
	v_pk_fma_f32 v[12:13], v[24:25], v[6:7], v[12:13] op_sel:[1,0,0]
	v_mov_b32_e32 v7, v18
	v_pk_fma_f32 v[12:13], v[26:27], v[2:3], v[12:13] op_sel_hi:[0,1,1]
	v_mov_b32_e32 v2, v14
	v_pk_fma_f32 v[12:13], v[20:21], v[6:7], v[12:13] op_sel_hi:[0,1,1]
	v_mov_b32_e32 v7, v14
	v_pk_fma_f32 v[12:13], v[28:29], v[2:3], v[12:13] op_sel_hi:[0,1,1]
	v_mov_b32_e32 v2, v34
	v_pk_fma_f32 v[12:13], v[28:29], v[6:7], v[12:13] op_sel:[1,0,0]
	;; [unrolled: 16-line block ×3, first 2 shown]
	v_mov_b32_e32 v7, v35
	v_pk_fma_f32 v[12:13], v[30:31], v[2:3], v[12:13] op_sel_hi:[0,1,1]
	v_pk_fma_f32 v[94:95], v[38:39], v[6:7], v[12:13] op_sel_hi:[0,1,1]
	s_andn2_b64 exec, exec, s[8:9]
	s_cbranch_execnz .LBB125_35
; %bb.36:
	s_or_b64 exec, exec, s[8:9]
.LBB125_37:
	s_or_b64 exec, exec, s[0:1]
	v_cmp_lt_u64_e32 vcc, 11, v[0:1]
	s_and_saveexec_b64 s[8:9], vcc
	s_cbranch_execz .LBB125_41
; %bb.38:
	v_lshlrev_b64 v[0:1], 2, v[88:89]
	v_mov_b32_e32 v2, s13
	v_add_co_u32_e32 v0, vcc, s12, v0
	v_addc_co_u32_e32 v1, vcc, v1, v2, vcc
	v_add_co_u32_e32 v102, vcc, 32, v0
	v_addc_co_u32_e32 v103, vcc, 0, v1, vcc
	s_mov_b64 s[10:11], 0
	v_mov_b32_e32 v85, s7
	v_mov_b32_e32 v105, 0
	v_bfrev_b32_e32 v106, 1
.LBB125_39:                             ; =>This Inner Loop Header: Depth=1
	global_load_dword v56, v[102:103], off offset:-32
	global_load_dword v57, v[102:103], off offset:-16
	global_load_dwordx4 v[44:47], v[92:93], off
	global_load_dword v58, v[102:103], off
	global_load_dword v59, v[102:103], off offset:16
	global_load_dwordx4 v[110:113], v[92:93], off offset:16
	global_load_dwordx4 v[48:51], v[92:93], off offset:48
	;; [unrolled: 1-line block ×15, first 2 shown]
	v_add_co_u32_e32 v88, vcc, 16, v88
	v_addc_co_u32_e32 v89, vcc, 0, v89, vcc
	v_add_co_u32_e32 v102, vcc, 64, v102
	v_addc_co_u32_e32 v103, vcc, 0, v103, vcc
	v_add_co_u32_e32 v92, vcc, 0x400, v92
	v_addc_co_u32_e32 v93, vcc, 0, v93, vcc
	v_cmp_ge_i64_e64 s[0:1], v[88:89], v[90:91]
	s_or_b64 s[10:11], s[0:1], s[10:11]
	s_waitcnt vmcnt(19)
	v_subrev_u32_e32 v56, s16, v56
	s_waitcnt vmcnt(18)
	v_subrev_u32_e32 v57, s16, v57
	v_lshlrev_b32_e32 v56, 2, v56
	s_waitcnt vmcnt(17)
	v_mov_b32_e32 v104, v44
	v_mov_b32_e32 v107, v44
	s_waitcnt vmcnt(16)
	v_subrev_u32_e32 v44, s16, v58
	v_lshlrev_b32_e32 v58, 2, v57
	v_ashrrev_i32_e32 v57, 31, v56
	s_waitcnt vmcnt(15)
	v_subrev_u32_e32 v59, s16, v59
	v_lshlrev_b64 v[56:57], 3, v[56:57]
	v_lshlrev_b32_e32 v62, 2, v59
	v_ashrrev_i32_e32 v59, 31, v58
	v_add_co_u32_e32 v56, vcc, s6, v56
	v_lshlrev_b32_e32 v60, 2, v44
	v_lshlrev_b64 v[58:59], 3, v[58:59]
	v_addc_co_u32_e32 v57, vcc, v85, v57, vcc
	v_ashrrev_i32_e32 v61, 31, v60
	v_add_co_u32_e32 v58, vcc, s6, v58
	v_lshlrev_b64 v[60:61], 3, v[60:61]
	v_addc_co_u32_e32 v59, vcc, v85, v59, vcc
	v_ashrrev_i32_e32 v63, 31, v62
	v_add_co_u32_e32 v108, vcc, s6, v60
	v_lshlrev_b64 v[62:63], 3, v[62:63]
	v_addc_co_u32_e32 v109, vcc, v85, v61, vcc
	v_add_co_u32_e32 v126, vcc, s6, v62
	v_addc_co_u32_e32 v127, vcc, v85, v63, vcc
	global_load_dwordx4 v[118:121], v[56:57], off
	global_load_dwordx4 v[122:125], v[56:57], off offset:16
	global_load_dwordx4 v[76:79], v[58:59], off
	global_load_dwordx4 v[72:75], v[58:59], off offset:16
	;; [unrolled: 2-line block ×3, first 2 shown]
	global_load_dwordx4 v[60:63], v[126:127], off
                                        ; kill: killed $vgpr108 killed $vgpr109
                                        ; kill: killed $vgpr56 killed $vgpr57
                                        ; kill: killed $vgpr58 killed $vgpr59
	s_nop 0
	global_load_dwordx4 v[56:59], v[126:127], off offset:16
	s_waitcnt vmcnt(7)
	v_pk_fma_f32 v[108:109], v[118:119], v[104:105], v[96:97] op_sel_hi:[0,1,1]
	v_mov_b32_e32 v104, v110
	v_pk_fma_f32 v[108:109], v[118:119], v[106:107], v[108:109] op_sel:[1,0,0]
	v_mov_b32_e32 v126, v121
	v_mov_b32_e32 v107, v110
	v_pk_fma_f32 v[108:109], v[120:121], v[104:105], v[108:109] op_sel_hi:[0,1,1]
	v_mov_b32_e32 v104, v114
	v_pk_fma_f32 v[108:109], v[126:127], v[106:107], v[108:109] op_sel_hi:[0,1,1]
	v_mov_b32_e32 v107, v114
	s_waitcnt vmcnt(6)
	v_pk_fma_f32 v[108:109], v[122:123], v[104:105], v[108:109] op_sel_hi:[0,1,1]
	v_mov_b32_e32 v104, v48
	v_pk_fma_f32 v[108:109], v[122:123], v[106:107], v[108:109] op_sel:[1,0,0]
	v_mov_b32_e32 v96, v125
	v_mov_b32_e32 v107, v48
	v_pk_fma_f32 v[108:109], v[124:125], v[104:105], v[108:109] op_sel_hi:[0,1,1]
	v_mov_b32_e32 v104, v52
	v_pk_fma_f32 v[108:109], v[96:97], v[106:107], v[108:109] op_sel_hi:[0,1,1]
	v_mov_b32_e32 v107, v52
	s_waitcnt vmcnt(5)
	v_pk_fma_f32 v[108:109], v[76:77], v[104:105], v[108:109] op_sel_hi:[0,1,1]
	v_mov_b32_e32 v104, v45
	v_pk_fma_f32 v[108:109], v[76:77], v[106:107], v[108:109] op_sel:[1,0,0]
	v_pk_fma_f32 v[100:101], v[118:119], v[104:105], v[100:101] op_sel_hi:[0,1,1]
	v_mov_b32_e32 v107, v45
	v_mov_b32_e32 v104, v111
	v_pk_fma_f32 v[100:101], v[118:119], v[106:107], v[100:101] op_sel:[1,0,0]
	v_mov_b32_e32 v107, v111
	v_pk_fma_f32 v[100:101], v[120:121], v[104:105], v[100:101] op_sel_hi:[0,1,1]
	v_mov_b32_e32 v104, v115
	v_pk_fma_f32 v[100:101], v[126:127], v[106:107], v[100:101] op_sel_hi:[0,1,1]
	;; [unrolled: 2-line block ×3, first 2 shown]
	v_mov_b32_e32 v104, v49
	v_pk_fma_f32 v[100:101], v[122:123], v[106:107], v[100:101] op_sel:[1,0,0]
	v_mov_b32_e32 v107, v49
	v_pk_fma_f32 v[48:49], v[124:125], v[104:105], v[100:101] op_sel_hi:[0,1,1]
	v_mov_b32_e32 v104, v53
	v_pk_fma_f32 v[48:49], v[96:97], v[106:107], v[48:49] op_sel_hi:[0,1,1]
	;; [unrolled: 2-line block ×3, first 2 shown]
	v_mov_b32_e32 v104, v46
	v_pk_fma_f32 v[52:53], v[76:77], v[106:107], v[48:49] op_sel:[1,0,0]
	v_pk_fma_f32 v[48:49], v[118:119], v[104:105], v[98:99] op_sel_hi:[0,1,1]
	v_mov_b32_e32 v107, v46
	v_mov_b32_e32 v104, v112
	v_pk_fma_f32 v[48:49], v[118:119], v[106:107], v[48:49] op_sel:[1,0,0]
	v_mov_b32_e32 v107, v112
	v_pk_fma_f32 v[48:49], v[120:121], v[104:105], v[48:49] op_sel_hi:[0,1,1]
	v_mov_b32_e32 v104, v116
	v_pk_fma_f32 v[48:49], v[126:127], v[106:107], v[48:49] op_sel_hi:[0,1,1]
	;; [unrolled: 2-line block ×3, first 2 shown]
	v_mov_b32_e32 v104, v50
	v_pk_fma_f32 v[48:49], v[122:123], v[106:107], v[48:49] op_sel:[1,0,0]
	v_mov_b32_e32 v107, v50
	v_pk_fma_f32 v[48:49], v[124:125], v[104:105], v[48:49] op_sel_hi:[0,1,1]
	v_mov_b32_e32 v104, v54
	v_pk_fma_f32 v[48:49], v[96:97], v[106:107], v[48:49] op_sel_hi:[0,1,1]
	;; [unrolled: 2-line block ×3, first 2 shown]
	v_mov_b32_e32 v104, v47
	v_pk_fma_f32 v[48:49], v[76:77], v[106:107], v[48:49] op_sel:[1,0,0]
	v_pk_fma_f32 v[94:95], v[118:119], v[104:105], v[94:95] op_sel_hi:[0,1,1]
	v_mov_b32_e32 v107, v47
	v_mov_b32_e32 v104, v113
	v_pk_fma_f32 v[46:47], v[118:119], v[106:107], v[94:95] op_sel:[1,0,0]
	v_pk_fma_f32 v[46:47], v[120:121], v[104:105], v[46:47] op_sel_hi:[0,1,1]
	v_mov_b32_e32 v107, v113
	v_pk_fma_f32 v[100:101], v[126:127], v[106:107], v[46:47] op_sel_hi:[0,1,1]
	v_mov_b32_e32 v104, v117
	v_mov_b32_e32 v107, v117
	v_pk_fma_f32 v[100:101], v[122:123], v[104:105], v[100:101] op_sel_hi:[0,1,1]
	v_mov_b32_e32 v104, v51
	v_pk_fma_f32 v[100:101], v[122:123], v[106:107], v[100:101] op_sel:[1,0,0]
	v_pk_fma_f32 v[100:101], v[124:125], v[104:105], v[100:101] op_sel_hi:[0,1,1]
	v_mov_b32_e32 v107, v51
	v_mov_b32_e32 v104, v55
	v_pk_fma_f32 v[96:97], v[96:97], v[106:107], v[100:101] op_sel_hi:[0,1,1]
	v_mov_b32_e32 v107, v55
	v_pk_fma_f32 v[96:97], v[76:77], v[104:105], v[96:97] op_sel_hi:[0,1,1]
	v_mov_b32_e32 v104, v40
	v_mov_b32_e32 v44, v79
	v_pk_fma_f32 v[76:77], v[76:77], v[106:107], v[96:97] op_sel:[1,0,0]
	v_pk_fma_f32 v[96:97], v[78:79], v[104:105], v[108:109] op_sel_hi:[0,1,1]
	v_mov_b32_e32 v107, v40
	v_mov_b32_e32 v104, v36
	v_pk_fma_f32 v[96:97], v[44:45], v[106:107], v[96:97] op_sel_hi:[0,1,1]
	v_mov_b32_e32 v107, v36
	s_waitcnt vmcnt(4)
	v_pk_fma_f32 v[96:97], v[72:73], v[104:105], v[96:97] op_sel_hi:[0,1,1]
	v_mov_b32_e32 v104, v28
	v_pk_fma_f32 v[96:97], v[72:73], v[106:107], v[96:97] op_sel:[1,0,0]
	v_mov_b32_e32 v98, v75
	v_mov_b32_e32 v107, v28
	v_pk_fma_f32 v[96:97], v[74:75], v[104:105], v[96:97] op_sel_hi:[0,1,1]
	v_mov_b32_e32 v104, v32
	v_pk_fma_f32 v[96:97], v[98:99], v[106:107], v[96:97] op_sel_hi:[0,1,1]
	v_mov_b32_e32 v107, v32
	s_waitcnt vmcnt(3)
	v_pk_fma_f32 v[96:97], v[68:69], v[104:105], v[96:97] op_sel_hi:[0,1,1]
	v_mov_b32_e32 v104, v24
	v_pk_fma_f32 v[96:97], v[68:69], v[106:107], v[96:97] op_sel:[1,0,0]
	v_mov_b32_e32 v94, v71
	v_mov_b32_e32 v107, v24
	v_pk_fma_f32 v[96:97], v[70:71], v[104:105], v[96:97] op_sel_hi:[0,1,1]
	v_mov_b32_e32 v104, v16
	v_pk_fma_f32 v[96:97], v[94:95], v[106:107], v[96:97] op_sel_hi:[0,1,1]
	s_waitcnt vmcnt(2)
	v_pk_fma_f32 v[96:97], v[64:65], v[104:105], v[96:97] op_sel_hi:[0,1,1]
	v_mov_b32_e32 v104, v41
	v_mov_b32_e32 v107, v41
	v_pk_fma_f32 v[40:41], v[78:79], v[104:105], v[52:53] op_sel_hi:[0,1,1]
	v_mov_b32_e32 v104, v37
	v_pk_fma_f32 v[40:41], v[44:45], v[106:107], v[40:41] op_sel_hi:[0,1,1]
	v_mov_b32_e32 v107, v37
	v_pk_fma_f32 v[36:37], v[72:73], v[104:105], v[40:41] op_sel_hi:[0,1,1]
	v_mov_b32_e32 v104, v29
	v_pk_fma_f32 v[36:37], v[72:73], v[106:107], v[36:37] op_sel:[1,0,0]
	v_mov_b32_e32 v107, v29
	v_pk_fma_f32 v[28:29], v[74:75], v[104:105], v[36:37] op_sel_hi:[0,1,1]
	v_mov_b32_e32 v104, v33
	v_pk_fma_f32 v[28:29], v[98:99], v[106:107], v[28:29] op_sel_hi:[0,1,1]
	v_mov_b32_e32 v107, v33
	v_pk_fma_f32 v[28:29], v[68:69], v[104:105], v[28:29] op_sel_hi:[0,1,1]
	v_mov_b32_e32 v104, v25
	v_pk_fma_f32 v[28:29], v[68:69], v[106:107], v[28:29] op_sel:[1,0,0]
	v_mov_b32_e32 v107, v25
	v_pk_fma_f32 v[24:25], v[70:71], v[104:105], v[28:29] op_sel_hi:[0,1,1]
	v_mov_b32_e32 v104, v17
	v_pk_fma_f32 v[24:25], v[94:95], v[106:107], v[24:25] op_sel_hi:[0,1,1]
	v_pk_fma_f32 v[24:25], v[64:65], v[104:105], v[24:25] op_sel_hi:[0,1,1]
	v_mov_b32_e32 v104, v42
	v_mov_b32_e32 v107, v42
	v_pk_fma_f32 v[28:29], v[78:79], v[104:105], v[48:49] op_sel_hi:[0,1,1]
	v_mov_b32_e32 v104, v38
	v_pk_fma_f32 v[28:29], v[44:45], v[106:107], v[28:29] op_sel_hi:[0,1,1]
	v_mov_b32_e32 v107, v38
	v_pk_fma_f32 v[28:29], v[72:73], v[104:105], v[28:29] op_sel_hi:[0,1,1]
	v_mov_b32_e32 v104, v30
	v_pk_fma_f32 v[28:29], v[72:73], v[106:107], v[28:29] op_sel:[1,0,0]
	v_mov_b32_e32 v107, v30
	v_pk_fma_f32 v[28:29], v[74:75], v[104:105], v[28:29] op_sel_hi:[0,1,1]
	v_mov_b32_e32 v104, v34
	v_pk_fma_f32 v[28:29], v[98:99], v[106:107], v[28:29] op_sel_hi:[0,1,1]
	v_mov_b32_e32 v107, v34
	v_pk_fma_f32 v[28:29], v[68:69], v[104:105], v[28:29] op_sel_hi:[0,1,1]
	v_mov_b32_e32 v104, v26
	v_pk_fma_f32 v[28:29], v[68:69], v[106:107], v[28:29] op_sel:[1,0,0]
	v_mov_b32_e32 v107, v26
	v_pk_fma_f32 v[28:29], v[70:71], v[104:105], v[28:29] op_sel_hi:[0,1,1]
	v_mov_b32_e32 v104, v18
	v_pk_fma_f32 v[28:29], v[94:95], v[106:107], v[28:29] op_sel_hi:[0,1,1]
	;; [unrolled: 22-line block ×3, first 2 shown]
	v_mov_b32_e32 v107, v16
	v_pk_fma_f32 v[26:27], v[64:65], v[104:105], v[26:27] op_sel_hi:[0,1,1]
	v_pk_fma_f32 v[30:31], v[64:65], v[106:107], v[96:97] op_sel:[1,0,0]
	v_mov_b32_e32 v104, v8
	v_mov_b32_e32 v46, v67
	;; [unrolled: 1-line block ×3, first 2 shown]
	v_pk_fma_f32 v[30:31], v[66:67], v[104:105], v[30:31] op_sel_hi:[0,1,1]
	v_mov_b32_e32 v104, v20
	v_pk_fma_f32 v[30:31], v[46:47], v[106:107], v[30:31] op_sel_hi:[0,1,1]
	v_mov_b32_e32 v107, v20
	s_waitcnt vmcnt(1)
	v_pk_fma_f32 v[30:31], v[60:61], v[104:105], v[30:31] op_sel_hi:[0,1,1]
	v_mov_b32_e32 v104, v12
	v_pk_fma_f32 v[30:31], v[60:61], v[106:107], v[30:31] op_sel:[1,0,0]
	v_mov_b32_e32 v54, v63
	v_mov_b32_e32 v107, v12
	v_pk_fma_f32 v[30:31], v[62:63], v[104:105], v[30:31] op_sel_hi:[0,1,1]
	v_mov_b32_e32 v104, v4
	v_pk_fma_f32 v[30:31], v[54:55], v[106:107], v[30:31] op_sel_hi:[0,1,1]
	v_mov_b32_e32 v107, v4
	s_waitcnt vmcnt(0)
	v_pk_fma_f32 v[30:31], v[56:57], v[104:105], v[30:31] op_sel_hi:[0,1,1]
	v_mov_b32_e32 v104, v0
	v_pk_fma_f32 v[30:31], v[56:57], v[106:107], v[30:31] op_sel:[1,0,0]
	v_mov_b32_e32 v50, v59
	v_mov_b32_e32 v107, v0
	v_pk_fma_f32 v[30:31], v[58:59], v[104:105], v[30:31] op_sel_hi:[0,1,1]
	v_pk_fma_f32 v[96:97], v[50:51], v[106:107], v[30:31] op_sel_hi:[0,1,1]
	v_mov_b32_e32 v107, v17
	v_mov_b32_e32 v104, v9
	v_pk_fma_f32 v[16:17], v[64:65], v[106:107], v[24:25] op_sel:[1,0,0]
	v_mov_b32_e32 v107, v9
	v_pk_fma_f32 v[8:9], v[66:67], v[104:105], v[16:17] op_sel_hi:[0,1,1]
	v_mov_b32_e32 v104, v21
	v_pk_fma_f32 v[8:9], v[46:47], v[106:107], v[8:9] op_sel_hi:[0,1,1]
	v_mov_b32_e32 v107, v21
	v_pk_fma_f32 v[8:9], v[60:61], v[104:105], v[8:9] op_sel_hi:[0,1,1]
	v_mov_b32_e32 v104, v13
	v_pk_fma_f32 v[8:9], v[60:61], v[106:107], v[8:9] op_sel:[1,0,0]
	v_mov_b32_e32 v107, v13
	v_pk_fma_f32 v[8:9], v[62:63], v[104:105], v[8:9] op_sel_hi:[0,1,1]
	v_mov_b32_e32 v104, v5
	v_pk_fma_f32 v[8:9], v[54:55], v[106:107], v[8:9] op_sel_hi:[0,1,1]
	v_mov_b32_e32 v107, v5
	v_pk_fma_f32 v[4:5], v[56:57], v[104:105], v[8:9] op_sel_hi:[0,1,1]
	v_mov_b32_e32 v104, v1
	v_pk_fma_f32 v[4:5], v[56:57], v[106:107], v[4:5] op_sel:[1,0,0]
	v_mov_b32_e32 v107, v1
	v_pk_fma_f32 v[0:1], v[58:59], v[104:105], v[4:5] op_sel_hi:[0,1,1]
	v_pk_fma_f32 v[100:101], v[50:51], v[106:107], v[0:1] op_sel_hi:[0,1,1]
	v_mov_b32_e32 v107, v18
	v_mov_b32_e32 v104, v10
	v_pk_fma_f32 v[0:1], v[64:65], v[106:107], v[28:29] op_sel:[1,0,0]
	v_mov_b32_e32 v107, v10
	v_pk_fma_f32 v[0:1], v[66:67], v[104:105], v[0:1] op_sel_hi:[0,1,1]
	v_mov_b32_e32 v104, v22
	v_pk_fma_f32 v[0:1], v[46:47], v[106:107], v[0:1] op_sel_hi:[0,1,1]
	v_mov_b32_e32 v107, v22
	v_pk_fma_f32 v[0:1], v[60:61], v[104:105], v[0:1] op_sel_hi:[0,1,1]
	v_mov_b32_e32 v104, v14
	v_pk_fma_f32 v[0:1], v[60:61], v[106:107], v[0:1] op_sel:[1,0,0]
	v_mov_b32_e32 v107, v14
	v_pk_fma_f32 v[0:1], v[62:63], v[104:105], v[0:1] op_sel_hi:[0,1,1]
	v_mov_b32_e32 v104, v6
	v_pk_fma_f32 v[0:1], v[54:55], v[106:107], v[0:1] op_sel_hi:[0,1,1]
	v_mov_b32_e32 v107, v6
	v_pk_fma_f32 v[0:1], v[56:57], v[104:105], v[0:1] op_sel_hi:[0,1,1]
	v_mov_b32_e32 v104, v2
	v_pk_fma_f32 v[0:1], v[56:57], v[106:107], v[0:1] op_sel:[1,0,0]
	v_mov_b32_e32 v107, v2
	v_pk_fma_f32 v[0:1], v[58:59], v[104:105], v[0:1] op_sel_hi:[0,1,1]
	v_pk_fma_f32 v[98:99], v[50:51], v[106:107], v[0:1] op_sel_hi:[0,1,1]
	v_mov_b32_e32 v107, v19
	v_mov_b32_e32 v104, v11
	v_pk_fma_f32 v[0:1], v[64:65], v[106:107], v[26:27] op_sel:[1,0,0]
	v_mov_b32_e32 v107, v11
	v_pk_fma_f32 v[0:1], v[66:67], v[104:105], v[0:1] op_sel_hi:[0,1,1]
	v_mov_b32_e32 v104, v23
	v_pk_fma_f32 v[0:1], v[46:47], v[106:107], v[0:1] op_sel_hi:[0,1,1]
	v_mov_b32_e32 v107, v23
	v_pk_fma_f32 v[0:1], v[60:61], v[104:105], v[0:1] op_sel_hi:[0,1,1]
	v_mov_b32_e32 v104, v15
	v_pk_fma_f32 v[0:1], v[60:61], v[106:107], v[0:1] op_sel:[1,0,0]
	v_mov_b32_e32 v107, v15
	v_pk_fma_f32 v[0:1], v[62:63], v[104:105], v[0:1] op_sel_hi:[0,1,1]
	v_mov_b32_e32 v104, v7
	v_pk_fma_f32 v[0:1], v[54:55], v[106:107], v[0:1] op_sel_hi:[0,1,1]
	v_mov_b32_e32 v107, v7
	v_pk_fma_f32 v[0:1], v[56:57], v[104:105], v[0:1] op_sel_hi:[0,1,1]
	v_mov_b32_e32 v104, v3
	v_pk_fma_f32 v[0:1], v[56:57], v[106:107], v[0:1] op_sel:[1,0,0]
	v_mov_b32_e32 v107, v3
	v_pk_fma_f32 v[0:1], v[58:59], v[104:105], v[0:1] op_sel_hi:[0,1,1]
	v_pk_fma_f32 v[94:95], v[50:51], v[106:107], v[0:1] op_sel_hi:[0,1,1]
	s_andn2_b64 exec, exec, s[10:11]
	s_cbranch_execnz .LBB125_39
; %bb.40:
	s_or_b64 exec, exec, s[10:11]
.LBB125_41:
	s_or_b64 exec, exec, s[8:9]
.LBB125_42:
	s_or_b64 exec, exec, s[2:3]
.LBB125_43:
	v_mov_b32_dpp v6, v101 row_shr:1 row_mask:0xf bank_mask:0xf
	v_add_f32_e32 v7, v101, v6
	v_mov_b32_dpp v0, v96 row_shr:1 row_mask:0xf bank_mask:0xf
	v_mov_b32_dpp v6, v98 row_shr:1 row_mask:0xf bank_mask:0xf
	v_add_f32_e32 v10, v98, v6
	v_mov_b32_dpp v2, v97 row_shr:1 row_mask:0xf bank_mask:0xf
	;; [unrolled: 3-line block ×3, first 2 shown]
	v_mov_b32_dpp v6, v94 row_shr:1 row_mask:0xf bank_mask:0xf
	v_add_f32_e32 v16, v94, v6
	v_add_f32_e32 v0, v96, v0
	v_mov_b32_dpp v6, v95 row_shr:1 row_mask:0xf bank_mask:0xf
	v_add_f32_e32 v2, v97, v2
	v_add_f32_e32 v4, v100, v4
	;; [unrolled: 1-line block ×3, first 2 shown]
	v_mov_b32_dpp v1, v0 row_shr:2 row_mask:0xf bank_mask:0xf
	v_mov_b32_dpp v3, v2 row_shr:2 row_mask:0xf bank_mask:0xf
	;; [unrolled: 1-line block ×8, first 2 shown]
	v_cmp_eq_u32_e32 vcc, 3, v86
	s_and_b64 exec, exec, vcc
	s_cbranch_execz .LBB125_14
; %bb.44:
	s_load_dwordx2 s[2:3], s[4:5], 0x50
	v_add_f32_e32 v8, v0, v1
	v_and_b32_e32 v1, 0x7fffffff, v82
	v_cmp_eq_u32_e32 vcc, 0, v1
	v_cmp_eq_f32_e64 s[0:1], 0, v83
	v_add_f32_e32 v14, v2, v3
	v_add_f32_e32 v6, v4, v5
	;; [unrolled: 1-line block ×7, first 2 shown]
	s_and_b64 s[0:1], vcc, s[0:1]
	v_lshlrev_b32_e32 v16, 2, v84
	s_and_saveexec_b64 s[4:5], s[0:1]
	s_xor_b64 s[0:1], exec, s[4:5]
	s_cbranch_execz .LBB125_46
; %bb.45:
	v_xor_b32_e32 v18, 0x80000000, v81
	v_ashrrev_i32_e32 v17, 31, v16
	v_mov_b32_e32 v19, v80
	v_lshlrev_b64 v[16:17], 3, v[16:17]
	v_pk_mul_f32 v[14:15], v[14:15], v[18:19] op_sel_hi:[0,1]
	s_waitcnt lgkmcnt(0)
	v_mov_b32_e32 v1, s3
	v_add_co_u32_e32 v20, vcc, s2, v16
	v_pk_fma_f32 v[14:15], v[80:81], v[8:9], v[14:15] op_sel_hi:[1,0,1]
	v_pk_mul_f32 v[8:9], v[12:13], v[18:19] op_sel_hi:[0,1]
	v_addc_co_u32_e32 v21, vcc, v1, v17, vcc
	v_pk_fma_f32 v[16:17], v[80:81], v[6:7], v[8:9] op_sel_hi:[1,0,1]
	v_pk_mul_f32 v[6:7], v[10:11], v[18:19] op_sel_hi:[0,1]
	v_pk_mul_f32 v[4:5], v[4:5], v[18:19] op_sel_hi:[0,1]
	v_pk_fma_f32 v[2:3], v[80:81], v[2:3], v[6:7] op_sel_hi:[1,0,1]
	v_pk_fma_f32 v[4:5], v[80:81], v[0:1], v[4:5] op_sel_hi:[1,0,1]
	global_store_dwordx4 v[20:21], v[14:17], off
	global_store_dwordx4 v[20:21], v[2:5], off offset:16
                                        ; implicit-def: $vgpr81
                                        ; implicit-def: $vgpr82
                                        ; implicit-def: $vgpr8
                                        ; implicit-def: $vgpr14
                                        ; implicit-def: $vgpr6
                                        ; implicit-def: $vgpr12
                                        ; implicit-def: $vgpr2
                                        ; implicit-def: $vgpr10
                                        ; implicit-def: $vgpr0
                                        ; implicit-def: $vgpr4
                                        ; implicit-def: $vgpr16
.LBB125_46:
	s_andn2_saveexec_b64 s[0:1], s[0:1]
	s_cbranch_execz .LBB125_14
; %bb.47:
	v_ashrrev_i32_e32 v17, 31, v16
	v_lshlrev_b64 v[16:17], 3, v[16:17]
	s_waitcnt lgkmcnt(0)
	v_mov_b32_e32 v1, s3
	v_add_co_u32_e32 v24, vcc, s2, v16
	v_addc_co_u32_e32 v25, vcc, v1, v17, vcc
	global_load_dwordx4 v[16:19], v[24:25], off
	global_load_dwordx4 v[20:23], v[24:25], off offset:16
	v_xor_b32_e32 v26, 0x80000000, v81
	v_mov_b32_e32 v27, v80
	v_pk_mul_f32 v[14:15], v[14:15], v[26:27] op_sel_hi:[0,1]
	v_pk_mul_f32 v[12:13], v[12:13], v[26:27] op_sel_hi:[0,1]
	;; [unrolled: 1-line block ×4, first 2 shown]
	v_pk_fma_f32 v[8:9], v[80:81], v[8:9], v[14:15] op_sel_hi:[1,0,1]
	v_pk_fma_f32 v[6:7], v[80:81], v[6:7], v[12:13] op_sel_hi:[1,0,1]
	v_xor_b32_e32 v28, 0x80000000, v83
	v_mov_b32_e32 v29, v82
	v_pk_fma_f32 v[2:3], v[80:81], v[2:3], v[10:11] op_sel_hi:[1,0,1]
	v_pk_fma_f32 v[0:1], v[80:81], v[0:1], v[4:5] op_sel_hi:[1,0,1]
	s_waitcnt vmcnt(1)
	v_pk_fma_f32 v[4:5], v[82:83], v[16:17], v[8:9] op_sel_hi:[1,0,1]
	v_pk_fma_f32 v[6:7], v[82:83], v[18:19], v[6:7] op_sel_hi:[1,0,1]
	v_mov_b32_e32 v8, v19
	s_waitcnt vmcnt(0)
	v_pk_fma_f32 v[10:11], v[82:83], v[20:21], v[2:3] op_sel_hi:[1,0,1]
	v_pk_fma_f32 v[12:13], v[82:83], v[22:23], v[0:1] op_sel_hi:[1,0,1]
	v_mov_b32_e32 v14, v23
	v_pk_fma_f32 v[0:1], v[28:29], v[16:17], v[4:5] op_sel:[0,1,0]
	v_pk_fma_f32 v[2:3], v[28:29], v[8:9], v[6:7] op_sel_hi:[1,0,1]
	v_pk_fma_f32 v[4:5], v[28:29], v[20:21], v[10:11] op_sel:[0,1,0]
	v_pk_fma_f32 v[6:7], v[28:29], v[14:15], v[12:13] op_sel_hi:[1,0,1]
	global_store_dwordx4 v[24:25], v[0:3], off
	global_store_dwordx4 v[24:25], v[4:7], off offset:16
	s_endpgm
	.section	.rodata,"a",@progbits
	.p2align	6, 0x0
	.amdhsa_kernel _ZN9rocsparseL18bsrxmvn_4x4_kernelILj128ELj4E21rocsparse_complex_numIfElifS2_S2_EEvT3_20rocsparse_direction_NS_24const_host_device_scalarIT1_EES3_PKS3_PKT2_SC_S9_PKT4_PKT5_S7_PT6_21rocsparse_index_base_b
		.amdhsa_group_segment_fixed_size 0
		.amdhsa_private_segment_fixed_size 0
		.amdhsa_kernarg_size 96
		.amdhsa_user_sgpr_count 6
		.amdhsa_user_sgpr_private_segment_buffer 1
		.amdhsa_user_sgpr_dispatch_ptr 0
		.amdhsa_user_sgpr_queue_ptr 0
		.amdhsa_user_sgpr_kernarg_segment_ptr 1
		.amdhsa_user_sgpr_dispatch_id 0
		.amdhsa_user_sgpr_flat_scratch_init 0
		.amdhsa_user_sgpr_kernarg_preload_length 0
		.amdhsa_user_sgpr_kernarg_preload_offset 0
		.amdhsa_user_sgpr_private_segment_size 0
		.amdhsa_uses_dynamic_stack 0
		.amdhsa_system_sgpr_private_segment_wavefront_offset 0
		.amdhsa_system_sgpr_workgroup_id_x 1
		.amdhsa_system_sgpr_workgroup_id_y 0
		.amdhsa_system_sgpr_workgroup_id_z 0
		.amdhsa_system_sgpr_workgroup_info 0
		.amdhsa_system_vgpr_workitem_id 0
		.amdhsa_next_free_vgpr 128
		.amdhsa_next_free_sgpr 18
		.amdhsa_accum_offset 128
		.amdhsa_reserve_vcc 1
		.amdhsa_reserve_flat_scratch 0
		.amdhsa_float_round_mode_32 0
		.amdhsa_float_round_mode_16_64 0
		.amdhsa_float_denorm_mode_32 3
		.amdhsa_float_denorm_mode_16_64 3
		.amdhsa_dx10_clamp 1
		.amdhsa_ieee_mode 1
		.amdhsa_fp16_overflow 0
		.amdhsa_tg_split 0
		.amdhsa_exception_fp_ieee_invalid_op 0
		.amdhsa_exception_fp_denorm_src 0
		.amdhsa_exception_fp_ieee_div_zero 0
		.amdhsa_exception_fp_ieee_overflow 0
		.amdhsa_exception_fp_ieee_underflow 0
		.amdhsa_exception_fp_ieee_inexact 0
		.amdhsa_exception_int_div_zero 0
	.end_amdhsa_kernel
	.section	.text._ZN9rocsparseL18bsrxmvn_4x4_kernelILj128ELj4E21rocsparse_complex_numIfElifS2_S2_EEvT3_20rocsparse_direction_NS_24const_host_device_scalarIT1_EES3_PKS3_PKT2_SC_S9_PKT4_PKT5_S7_PT6_21rocsparse_index_base_b,"axG",@progbits,_ZN9rocsparseL18bsrxmvn_4x4_kernelILj128ELj4E21rocsparse_complex_numIfElifS2_S2_EEvT3_20rocsparse_direction_NS_24const_host_device_scalarIT1_EES3_PKS3_PKT2_SC_S9_PKT4_PKT5_S7_PT6_21rocsparse_index_base_b,comdat
.Lfunc_end125:
	.size	_ZN9rocsparseL18bsrxmvn_4x4_kernelILj128ELj4E21rocsparse_complex_numIfElifS2_S2_EEvT3_20rocsparse_direction_NS_24const_host_device_scalarIT1_EES3_PKS3_PKT2_SC_S9_PKT4_PKT5_S7_PT6_21rocsparse_index_base_b, .Lfunc_end125-_ZN9rocsparseL18bsrxmvn_4x4_kernelILj128ELj4E21rocsparse_complex_numIfElifS2_S2_EEvT3_20rocsparse_direction_NS_24const_host_device_scalarIT1_EES3_PKS3_PKT2_SC_S9_PKT4_PKT5_S7_PT6_21rocsparse_index_base_b
                                        ; -- End function
	.section	.AMDGPU.csdata,"",@progbits
; Kernel info:
; codeLenInByte = 7020
; NumSgprs: 22
; NumVgprs: 128
; NumAgprs: 0
; TotalNumVgprs: 128
; ScratchSize: 0
; MemoryBound: 0
; FloatMode: 240
; IeeeMode: 1
; LDSByteSize: 0 bytes/workgroup (compile time only)
; SGPRBlocks: 2
; VGPRBlocks: 15
; NumSGPRsForWavesPerEU: 22
; NumVGPRsForWavesPerEU: 128
; AccumOffset: 128
; Occupancy: 4
; WaveLimiterHint : 1
; COMPUTE_PGM_RSRC2:SCRATCH_EN: 0
; COMPUTE_PGM_RSRC2:USER_SGPR: 6
; COMPUTE_PGM_RSRC2:TRAP_HANDLER: 0
; COMPUTE_PGM_RSRC2:TGID_X_EN: 1
; COMPUTE_PGM_RSRC2:TGID_Y_EN: 0
; COMPUTE_PGM_RSRC2:TGID_Z_EN: 0
; COMPUTE_PGM_RSRC2:TIDIG_COMP_CNT: 0
; COMPUTE_PGM_RSRC3_GFX90A:ACCUM_OFFSET: 31
; COMPUTE_PGM_RSRC3_GFX90A:TG_SPLIT: 0
	.section	.text._ZN9rocsparseL18bsrxmvn_4x4_kernelILj128ELj8E21rocsparse_complex_numIfElifS2_S2_EEvT3_20rocsparse_direction_NS_24const_host_device_scalarIT1_EES3_PKS3_PKT2_SC_S9_PKT4_PKT5_S7_PT6_21rocsparse_index_base_b,"axG",@progbits,_ZN9rocsparseL18bsrxmvn_4x4_kernelILj128ELj8E21rocsparse_complex_numIfElifS2_S2_EEvT3_20rocsparse_direction_NS_24const_host_device_scalarIT1_EES3_PKS3_PKT2_SC_S9_PKT4_PKT5_S7_PT6_21rocsparse_index_base_b,comdat
	.globl	_ZN9rocsparseL18bsrxmvn_4x4_kernelILj128ELj8E21rocsparse_complex_numIfElifS2_S2_EEvT3_20rocsparse_direction_NS_24const_host_device_scalarIT1_EES3_PKS3_PKT2_SC_S9_PKT4_PKT5_S7_PT6_21rocsparse_index_base_b ; -- Begin function _ZN9rocsparseL18bsrxmvn_4x4_kernelILj128ELj8E21rocsparse_complex_numIfElifS2_S2_EEvT3_20rocsparse_direction_NS_24const_host_device_scalarIT1_EES3_PKS3_PKT2_SC_S9_PKT4_PKT5_S7_PT6_21rocsparse_index_base_b
	.p2align	8
	.type	_ZN9rocsparseL18bsrxmvn_4x4_kernelILj128ELj8E21rocsparse_complex_numIfElifS2_S2_EEvT3_20rocsparse_direction_NS_24const_host_device_scalarIT1_EES3_PKS3_PKT2_SC_S9_PKT4_PKT5_S7_PT6_21rocsparse_index_base_b,@function
_ZN9rocsparseL18bsrxmvn_4x4_kernelILj128ELj8E21rocsparse_complex_numIfElifS2_S2_EEvT3_20rocsparse_direction_NS_24const_host_device_scalarIT1_EES3_PKS3_PKT2_SC_S9_PKT4_PKT5_S7_PT6_21rocsparse_index_base_b: ; @_ZN9rocsparseL18bsrxmvn_4x4_kernelILj128ELj8E21rocsparse_complex_numIfElifS2_S2_EEvT3_20rocsparse_direction_NS_24const_host_device_scalarIT1_EES3_PKS3_PKT2_SC_S9_PKT4_PKT5_S7_PT6_21rocsparse_index_base_b
; %bb.0:
	s_load_dwordx2 s[16:17], s[4:5], 0x58
	s_load_dwordx2 s[8:9], s[4:5], 0x8
	;; [unrolled: 1-line block ×3, first 2 shown]
	s_waitcnt lgkmcnt(0)
	s_bitcmp1_b32 s17, 0
	s_cselect_b64 s[0:1], -1, 0
	s_xor_b64 s[10:11], s[0:1], -1
	s_and_b64 vcc, exec, s[0:1]
	v_mov_b32_e32 v80, s8
	s_cbranch_vccnz .LBB126_2
; %bb.1:
	v_pk_mov_b32 v[2:3], s[8:9], s[8:9] op_sel:[0,1]
	flat_load_dword v80, v[2:3]
.LBB126_2:
	v_cndmask_b32_e64 v1, 0, 1, s[10:11]
	v_cmp_ne_u32_e64 s[0:1], 1, v1
	s_andn2_b64 vcc, exec, s[10:11]
	v_mov_b32_e32 v81, s9
	s_cbranch_vccz .LBB126_15
; %bb.3:
	s_and_b64 vcc, exec, s[0:1]
	v_mov_b32_e32 v82, s2
	s_cbranch_vccz .LBB126_16
.LBB126_4:
	s_and_b64 vcc, exec, s[0:1]
	v_mov_b32_e32 v83, s3
	s_cbranch_vccnz .LBB126_6
.LBB126_5:
	v_pk_mov_b32 v[2:3], s[2:3], s[2:3] op_sel:[0,1]
	flat_load_dword v83, v[2:3] offset:4
.LBB126_6:
	s_waitcnt vmcnt(0) lgkmcnt(0)
	v_and_b32_e32 v1, 0x7fffffff, v80
	v_cmp_eq_u32_e32 vcc, 0, v1
	v_cmp_eq_f32_e64 s[0:1], 0, v81
	s_and_b64 s[8:9], vcc, s[0:1]
	s_mov_b64 s[0:1], -1
	s_and_saveexec_b64 s[2:3], s[8:9]
; %bb.7:
	v_and_b32_e32 v1, 0x7fffffff, v83
	v_cmp_neq_f32_e32 vcc, 1.0, v82
	v_cmp_ne_u32_e64 s[0:1], 0, v1
	s_or_b64 s[0:1], vcc, s[0:1]
	s_orn2_b64 s[0:1], s[0:1], exec
; %bb.8:
	s_or_b64 exec, exec, s[2:3]
	s_and_saveexec_b64 s[2:3], s[0:1]
	s_cbranch_execz .LBB126_14
; %bb.9:
	s_load_dwordx2 s[8:9], s[4:5], 0x18
	s_load_dwordx2 s[0:1], s[4:5], 0x0
	v_lshrrev_b32_e32 v1, 3, v0
	v_lshl_or_b32 v84, s6, 4, v1
	s_mov_b64 s[2:3], 0
	s_waitcnt lgkmcnt(0)
	s_cmp_lg_u64 s[8:9], 0
	s_cbranch_scc0 .LBB126_17
; %bb.10:
	s_load_dword s6, s[4:5], 0x10
                                        ; implicit-def: $vgpr1
	s_waitcnt lgkmcnt(0)
	v_cmp_gt_i32_e32 vcc, s6, v84
	s_and_saveexec_b64 s[6:7], vcc
	s_xor_b64 s[6:7], exec, s[6:7]
	s_cbranch_execz .LBB126_12
; %bb.11:
	v_ashrrev_i32_e32 v85, 31, v84
	v_lshlrev_b64 v[2:3], 2, v[84:85]
	v_mov_b32_e32 v1, s9
	v_add_co_u32_e32 v2, vcc, s8, v2
	v_addc_co_u32_e32 v3, vcc, v1, v3, vcc
	global_load_dword v1, v[2:3], off
	s_mov_b64 s[2:3], exec
	s_waitcnt vmcnt(0)
	v_subrev_u32_e32 v1, s16, v1
.LBB126_12:
	s_or_b64 exec, exec, s[6:7]
	s_branch .LBB126_18
.LBB126_13:
	v_cmp_gt_i32_e32 vcc, s0, v84
	s_andn2_b64 s[2:3], s[2:3], exec
	s_and_b64 s[6:7], vcc, exec
	s_or_b64 s[2:3], s[2:3], s[6:7]
	s_and_b64 exec, exec, s[2:3]
	s_cbranch_execnz .LBB126_19
.LBB126_14:
	s_endpgm
.LBB126_15:
	v_pk_mov_b32 v[2:3], s[8:9], s[8:9] op_sel:[0,1]
	flat_load_dword v81, v[2:3] offset:4
	s_and_b64 vcc, exec, s[0:1]
	v_mov_b32_e32 v82, s2
	s_cbranch_vccnz .LBB126_4
.LBB126_16:
	v_pk_mov_b32 v[2:3], s[2:3], s[2:3] op_sel:[0,1]
	flat_load_dword v82, v[2:3]
	s_and_b64 vcc, exec, s[0:1]
	v_mov_b32_e32 v83, s3
	s_cbranch_vccz .LBB126_5
	s_branch .LBB126_6
.LBB126_17:
                                        ; implicit-def: $vgpr1
	s_cbranch_execnz .LBB126_13
.LBB126_18:
	v_mov_b32_e32 v84, v1
	s_and_b64 exec, exec, s[2:3]
	s_cbranch_execz .LBB126_14
.LBB126_19:
	s_load_dwordx8 s[8:15], s[4:5], 0x20
	v_ashrrev_i32_e32 v85, 31, v84
	v_lshlrev_b64 v[2:3], 3, v[84:85]
	v_and_b32_e32 v86, 7, v0
	s_load_dwordx2 s[6:7], s[4:5], 0x40
	s_waitcnt lgkmcnt(0)
	v_mov_b32_e32 v1, s9
	v_add_co_u32_e32 v4, vcc, s8, v2
	v_addc_co_u32_e32 v5, vcc, v1, v3, vcc
	v_add_co_u32_e32 v1, vcc, 8, v4
	global_load_dwordx2 v[12:13], v[4:5], off
	v_addc_co_u32_e32 v4, vcc, 0, v5, vcc
	v_mov_b32_e32 v5, s11
	v_add_co_u32_e32 v2, vcc, s10, v2
	s_cmp_eq_u64 s[10:11], 0
	v_addc_co_u32_e32 v3, vcc, v5, v3, vcc
	s_cselect_b64 vcc, -1, 0
	v_cndmask_b32_e32 v3, v3, v4, vcc
	v_cndmask_b32_e32 v2, v2, v1, vcc
	global_load_dwordx2 v[2:3], v[2:3], off
	v_mov_b32_e32 v4, s15
	s_mov_b32 s17, 0
	v_mov_b32_e32 v97, 0
	s_cmp_eq_u32 s1, 1
	s_waitcnt vmcnt(1)
	v_subrev_co_u32_e32 v0, vcc, s16, v12
	v_subbrev_co_u32_e32 v1, vcc, 0, v13, vcc
	v_add_co_u32_e32 v88, vcc, v0, v86
	v_addc_co_u32_e32 v89, vcc, 0, v1, vcc
	v_lshlrev_b64 v[0:1], 6, v[88:89]
	s_waitcnt vmcnt(0)
	v_subrev_co_u32_e32 v90, vcc, s16, v2
	v_subbrev_co_u32_e32 v91, vcc, 0, v3, vcc
	v_add_co_u32_e32 v92, vcc, s14, v0
	v_addc_co_u32_e32 v93, vcc, v4, v1, vcc
	v_cmp_lt_i64_e64 s[0:1], v[88:89], v[90:91]
	s_cbranch_scc1 .LBB126_31
; %bb.20:
	v_mov_b32_e32 v96, 0
	v_mov_b32_e32 v101, 0
	;; [unrolled: 1-line block ×7, first 2 shown]
	s_and_saveexec_b64 s[8:9], s[0:1]
	s_cbranch_execz .LBB126_30
; %bb.21:
	v_or_b32_e32 v0, 8, v86
	v_mov_b32_e32 v1, s17
	v_subrev_co_u32_e32 v0, vcc, s16, v0
	v_subb_co_u32_e32 v1, vcc, 0, v1, vcc
	v_add_co_u32_e32 v0, vcc, v0, v12
	v_addc_co_u32_e32 v1, vcc, v1, v13, vcc
	v_cmp_gt_i64_e32 vcc, v[0:1], v[90:91]
	v_cndmask_b32_e32 v1, v91, v1, vcc
	v_cndmask_b32_e32 v0, v90, v0, vcc
	v_mov_b32_e32 v4, s17
	v_sub_co_u32_e32 v5, vcc, s16, v86
	v_not_b32_e32 v3, v12
	v_subbrev_co_u32_e32 v4, vcc, 0, v4, vcc
	v_not_b32_e32 v2, v13
	v_add_co_u32_e32 v3, vcc, v5, v3
	v_addc_co_u32_e32 v2, vcc, v4, v2, vcc
	v_add_co_u32_e32 v0, vcc, v3, v0
	v_addc_co_u32_e32 v1, vcc, v2, v1, vcc
	v_lshrrev_b32_e32 v2, 3, v0
	v_add_u32_e32 v2, 1, v2
	v_and_b32_e32 v2, 3, v2
	v_mov_b32_e32 v94, 0
	v_cmp_ne_u32_e32 vcc, 0, v2
	v_mov_b32_e32 v95, v94
	v_mov_b32_e32 v98, v94
	;; [unrolled: 1-line block ×7, first 2 shown]
	v_pk_mov_b32 v[14:15], v[92:93], v[92:93] op_sel:[0,1]
	v_pk_mov_b32 v[16:17], v[88:89], v[88:89] op_sel:[0,1]
	s_and_saveexec_b64 s[2:3], vcc
	s_cbranch_execz .LBB126_25
; %bb.22:
	v_lshlrev_b64 v[4:5], 2, v[88:89]
	v_mov_b32_e32 v3, 0
	v_mov_b32_e32 v6, s13
	v_add_co_u32_e32 v4, vcc, s12, v4
	v_lshlrev_b32_e32 v2, 2, v2
	v_addc_co_u32_e32 v5, vcc, v6, v5, vcc
	s_mov_b64 s[10:11], 0
	s_movk_i32 s14, 0x200
	v_mov_b32_e32 v10, s7
	v_bfrev_b32_e32 v6, 1
	v_pk_mov_b32 v[8:9], v[2:3], v[2:3] op_sel:[0,1]
	v_pk_mov_b32 v[16:17], v[88:89], v[88:89] op_sel:[0,1]
	;; [unrolled: 1-line block ×3, first 2 shown]
	v_mov_b32_e32 v94, v3
	v_mov_b32_e32 v95, v3
	;; [unrolled: 1-line block ×8, first 2 shown]
.LBB126_23:                             ; =>This Inner Loop Header: Depth=1
	global_load_dword v2, v[4:5], off
	global_load_dwordx4 v[18:21], v[14:15], off offset:16
	global_load_dwordx4 v[22:25], v[14:15], off
	s_waitcnt vmcnt(2)
	v_subrev_u32_e32 v2, s16, v2
	v_lshlrev_b32_e32 v26, 2, v2
	v_ashrrev_i32_e32 v27, 31, v26
	v_lshlrev_b64 v[26:27], 3, v[26:27]
	v_add_co_u32_e32 v42, vcc, s6, v26
	v_addc_co_u32_e32 v43, vcc, v10, v27, vcc
	global_load_dwordx4 v[26:29], v[42:43], off
	global_load_dwordx4 v[30:33], v[42:43], off offset:16
	global_load_dwordx4 v[34:37], v[14:15], off offset:32
	;; [unrolled: 1-line block ×3, first 2 shown]
	s_waitcnt vmcnt(4)
	v_mov_b32_e32 v2, v22
	v_mov_b32_e32 v7, v22
	v_add_co_u32_e32 v14, vcc, s14, v14
	v_addc_co_u32_e32 v15, vcc, 0, v15, vcc
	v_add_co_u32_e32 v16, vcc, 8, v16
	v_addc_co_u32_e32 v17, vcc, 0, v17, vcc
	v_add_co_u32_e32 v4, vcc, 32, v4
	v_addc_co_u32_e32 v5, vcc, 0, v5, vcc
	v_add_co_u32_e32 v8, vcc, -4, v8
	v_addc_co_u32_e32 v9, vcc, -1, v9, vcc
	v_cmp_eq_u64_e32 vcc, 0, v[8:9]
	s_or_b64 s[10:11], vcc, s[10:11]
	s_waitcnt vmcnt(3)
	v_pk_fma_f32 v[42:43], v[26:27], v[2:3], v[96:97] op_sel_hi:[0,1,1]
	v_mov_b32_e32 v2, v23
	v_pk_fma_f32 v[42:43], v[26:27], v[6:7], v[42:43] op_sel:[1,0,0]
	v_mov_b32_e32 v22, v29
	v_mov_b32_e32 v7, v23
	v_pk_fma_f32 v[42:43], v[28:29], v[2:3], v[42:43] op_sel_hi:[0,1,1]
	v_mov_b32_e32 v2, v24
	v_pk_fma_f32 v[42:43], v[22:23], v[6:7], v[42:43] op_sel_hi:[0,1,1]
	v_mov_b32_e32 v7, v24
	s_waitcnt vmcnt(2)
	v_pk_fma_f32 v[42:43], v[30:31], v[2:3], v[42:43] op_sel_hi:[0,1,1]
	v_mov_b32_e32 v2, v25
	v_pk_fma_f32 v[42:43], v[30:31], v[6:7], v[42:43] op_sel:[1,0,0]
	v_mov_b32_e32 v44, v33
	v_mov_b32_e32 v7, v25
	v_pk_fma_f32 v[24:25], v[32:33], v[2:3], v[42:43] op_sel_hi:[0,1,1]
	v_mov_b32_e32 v2, v18
	v_pk_fma_f32 v[96:97], v[44:45], v[6:7], v[24:25] op_sel_hi:[0,1,1]
	v_pk_fma_f32 v[24:25], v[26:27], v[2:3], v[100:101] op_sel_hi:[0,1,1]
	v_mov_b32_e32 v7, v18
	v_mov_b32_e32 v2, v19
	v_pk_fma_f32 v[24:25], v[26:27], v[6:7], v[24:25] op_sel:[1,0,0]
	v_mov_b32_e32 v7, v19
	v_pk_fma_f32 v[18:19], v[28:29], v[2:3], v[24:25] op_sel_hi:[0,1,1]
	v_mov_b32_e32 v2, v20
	v_pk_fma_f32 v[18:19], v[22:23], v[6:7], v[18:19] op_sel_hi:[0,1,1]
	;; [unrolled: 2-line block ×3, first 2 shown]
	v_mov_b32_e32 v2, v21
	v_pk_fma_f32 v[18:19], v[30:31], v[6:7], v[18:19] op_sel:[1,0,0]
	v_mov_b32_e32 v7, v21
	v_pk_fma_f32 v[18:19], v[32:33], v[2:3], v[18:19] op_sel_hi:[0,1,1]
	s_waitcnt vmcnt(1)
	v_mov_b32_e32 v2, v34
	v_pk_fma_f32 v[100:101], v[44:45], v[6:7], v[18:19] op_sel_hi:[0,1,1]
	v_pk_fma_f32 v[18:19], v[26:27], v[2:3], v[98:99] op_sel_hi:[0,1,1]
	v_mov_b32_e32 v7, v34
	v_mov_b32_e32 v2, v35
	v_pk_fma_f32 v[18:19], v[26:27], v[6:7], v[18:19] op_sel:[1,0,0]
	v_mov_b32_e32 v7, v35
	v_pk_fma_f32 v[18:19], v[28:29], v[2:3], v[18:19] op_sel_hi:[0,1,1]
	v_mov_b32_e32 v2, v36
	v_pk_fma_f32 v[18:19], v[22:23], v[6:7], v[18:19] op_sel_hi:[0,1,1]
	v_mov_b32_e32 v7, v36
	v_pk_fma_f32 v[18:19], v[30:31], v[2:3], v[18:19] op_sel_hi:[0,1,1]
	v_mov_b32_e32 v2, v37
	v_pk_fma_f32 v[18:19], v[30:31], v[6:7], v[18:19] op_sel:[1,0,0]
	v_mov_b32_e32 v7, v37
	v_pk_fma_f32 v[18:19], v[32:33], v[2:3], v[18:19] op_sel_hi:[0,1,1]
	s_waitcnt vmcnt(0)
	v_mov_b32_e32 v2, v38
	v_pk_fma_f32 v[98:99], v[44:45], v[6:7], v[18:19] op_sel_hi:[0,1,1]
	v_pk_fma_f32 v[18:19], v[26:27], v[2:3], v[94:95] op_sel_hi:[0,1,1]
	v_mov_b32_e32 v7, v38
	v_mov_b32_e32 v2, v39
	v_pk_fma_f32 v[18:19], v[26:27], v[6:7], v[18:19] op_sel:[1,0,0]
	v_mov_b32_e32 v7, v39
	v_pk_fma_f32 v[18:19], v[28:29], v[2:3], v[18:19] op_sel_hi:[0,1,1]
	v_mov_b32_e32 v2, v40
	v_pk_fma_f32 v[18:19], v[22:23], v[6:7], v[18:19] op_sel_hi:[0,1,1]
	;; [unrolled: 2-line block ×3, first 2 shown]
	v_mov_b32_e32 v2, v41
	v_pk_fma_f32 v[18:19], v[30:31], v[6:7], v[18:19] op_sel:[1,0,0]
	v_mov_b32_e32 v7, v41
	v_pk_fma_f32 v[18:19], v[32:33], v[2:3], v[18:19] op_sel_hi:[0,1,1]
	v_pk_fma_f32 v[94:95], v[44:45], v[6:7], v[18:19] op_sel_hi:[0,1,1]
	s_andn2_b64 exec, exec, s[10:11]
	s_cbranch_execnz .LBB126_23
; %bb.24:
	s_or_b64 exec, exec, s[10:11]
.LBB126_25:
	s_or_b64 exec, exec, s[2:3]
	v_cmp_lt_u64_e32 vcc, 23, v[0:1]
	s_and_saveexec_b64 s[10:11], vcc
	s_cbranch_execz .LBB126_29
; %bb.26:
	v_lshlrev_b64 v[0:1], 2, v[16:17]
	v_mov_b32_e32 v2, s13
	v_add_co_u32_e32 v0, vcc, s12, v0
	v_addc_co_u32_e32 v1, vcc, v1, v2, vcc
	v_add_co_u32_e32 v18, vcc, 64, v0
	v_addc_co_u32_e32 v19, vcc, 0, v1, vcc
	s_mov_b64 s[14:15], 0
	v_mov_b32_e32 v28, s7
	v_mov_b32_e32 v21, 0
	v_bfrev_b32_e32 v22, 1
.LBB126_27:                             ; =>This Inner Loop Header: Depth=1
	global_load_dword v0, v[18:19], off offset:-64
	s_waitcnt vmcnt(0)
	v_subrev_u32_e32 v0, s16, v0
	v_lshlrev_b32_e32 v4, 2, v0
	v_ashrrev_i32_e32 v5, 31, v4
	v_lshlrev_b64 v[4:5], 3, v[4:5]
	v_add_co_u32_e32 v4, vcc, s6, v4
	v_addc_co_u32_e32 v5, vcc, v28, v5, vcc
	global_load_dwordx4 v[0:3], v[14:15], off offset:48
	global_load_dwordx4 v[24:27], v[14:15], off offset:32
	;; [unrolled: 1-line block ×3, first 2 shown]
	global_load_dwordx4 v[34:37], v[14:15], off
	global_load_dwordx4 v[38:41], v[4:5], off offset:16
	global_load_dwordx4 v[42:45], v[4:5], off
	global_load_dword v6, v[18:19], off offset:-32
	global_load_dwordx4 v[46:49], v[14:15], off offset:560
	global_load_dwordx4 v[50:53], v[14:15], off offset:544
	;; [unrolled: 1-line block ×4, first 2 shown]
	s_waitcnt vmcnt(7)
	v_mov_b32_e32 v20, v34
	s_waitcnt vmcnt(4)
	v_subrev_u32_e32 v4, s16, v6
	v_lshlrev_b32_e32 v4, 2, v4
	v_ashrrev_i32_e32 v5, 31, v4
	v_lshlrev_b64 v[4:5], 3, v[4:5]
	v_add_co_u32_e32 v62, vcc, s6, v4
	v_addc_co_u32_e32 v63, vcc, v28, v5, vcc
	global_load_dwordx4 v[4:7], v[62:63], off offset:16
	global_load_dwordx4 v[8:11], v[62:63], off
	v_pk_fma_f32 v[62:63], v[42:43], v[20:21], v[96:97] op_sel_hi:[0,1,1]
	v_mov_b32_e32 v23, v34
	v_pk_fma_f32 v[62:63], v[42:43], v[22:23], v[62:63] op_sel:[1,0,0]
	v_mov_b32_e32 v20, v35
	v_pk_fma_f32 v[62:63], v[44:45], v[20:21], v[62:63] op_sel_hi:[0,1,1]
	v_mov_b32_e32 v34, v45
	v_mov_b32_e32 v23, v35
	v_pk_fma_f32 v[62:63], v[34:35], v[22:23], v[62:63] op_sel_hi:[0,1,1]
	v_mov_b32_e32 v20, v36
	v_pk_fma_f32 v[62:63], v[38:39], v[20:21], v[62:63] op_sel_hi:[0,1,1]
	v_mov_b32_e32 v23, v36
	v_pk_fma_f32 v[62:63], v[38:39], v[22:23], v[62:63] op_sel:[1,0,0]
	v_mov_b32_e32 v20, v37
	v_pk_fma_f32 v[62:63], v[40:41], v[20:21], v[62:63] op_sel_hi:[0,1,1]
	v_mov_b32_e32 v36, v41
	v_mov_b32_e32 v23, v37
	v_pk_fma_f32 v[62:63], v[36:37], v[22:23], v[62:63] op_sel_hi:[0,1,1]
	s_waitcnt vmcnt(2)
	v_mov_b32_e32 v20, v58
	v_mov_b32_e32 v23, v58
	s_waitcnt vmcnt(0)
	v_pk_fma_f32 v[62:63], v[8:9], v[20:21], v[62:63] op_sel_hi:[0,1,1]
	v_mov_b32_e32 v20, v30
	v_pk_fma_f32 v[66:67], v[8:9], v[22:23], v[62:63] op_sel:[1,0,0]
	v_pk_fma_f32 v[62:63], v[42:43], v[20:21], v[100:101] op_sel_hi:[0,1,1]
	v_mov_b32_e32 v23, v30
	v_pk_fma_f32 v[62:63], v[42:43], v[22:23], v[62:63] op_sel:[1,0,0]
	v_mov_b32_e32 v20, v31
	v_pk_fma_f32 v[62:63], v[44:45], v[20:21], v[62:63] op_sel_hi:[0,1,1]
	v_mov_b32_e32 v23, v31
	v_pk_fma_f32 v[30:31], v[34:35], v[22:23], v[62:63] op_sel_hi:[0,1,1]
	v_mov_b32_e32 v20, v32
	v_pk_fma_f32 v[30:31], v[38:39], v[20:21], v[30:31] op_sel_hi:[0,1,1]
	v_mov_b32_e32 v23, v32
	v_pk_fma_f32 v[30:31], v[38:39], v[22:23], v[30:31] op_sel:[1,0,0]
	v_mov_b32_e32 v20, v33
	v_pk_fma_f32 v[30:31], v[40:41], v[20:21], v[30:31] op_sel_hi:[0,1,1]
	v_mov_b32_e32 v23, v33
	v_pk_fma_f32 v[30:31], v[36:37], v[22:23], v[30:31] op_sel_hi:[0,1,1]
	v_mov_b32_e32 v20, v54
	v_pk_fma_f32 v[30:31], v[8:9], v[20:21], v[30:31] op_sel_hi:[0,1,1]
	v_mov_b32_e32 v23, v54
	v_mov_b32_e32 v20, v24
	v_pk_fma_f32 v[68:69], v[8:9], v[22:23], v[30:31] op_sel:[1,0,0]
	v_pk_fma_f32 v[30:31], v[42:43], v[20:21], v[98:99] op_sel_hi:[0,1,1]
	v_mov_b32_e32 v23, v24
	v_pk_fma_f32 v[30:31], v[42:43], v[22:23], v[30:31] op_sel:[1,0,0]
	v_mov_b32_e32 v20, v25
	v_pk_fma_f32 v[30:31], v[44:45], v[20:21], v[30:31] op_sel_hi:[0,1,1]
	v_mov_b32_e32 v23, v25
	v_pk_fma_f32 v[24:25], v[34:35], v[22:23], v[30:31] op_sel_hi:[0,1,1]
	v_mov_b32_e32 v20, v26
	v_pk_fma_f32 v[24:25], v[38:39], v[20:21], v[24:25] op_sel_hi:[0,1,1]
	v_mov_b32_e32 v23, v26
	v_pk_fma_f32 v[24:25], v[38:39], v[22:23], v[24:25] op_sel:[1,0,0]
	v_mov_b32_e32 v20, v27
	v_pk_fma_f32 v[24:25], v[40:41], v[20:21], v[24:25] op_sel_hi:[0,1,1]
	v_mov_b32_e32 v23, v27
	v_pk_fma_f32 v[24:25], v[36:37], v[22:23], v[24:25] op_sel_hi:[0,1,1]
	v_mov_b32_e32 v20, v50
	v_pk_fma_f32 v[24:25], v[8:9], v[20:21], v[24:25] op_sel_hi:[0,1,1]
	v_mov_b32_e32 v23, v50
	v_mov_b32_e32 v20, v0
	v_pk_fma_f32 v[24:25], v[8:9], v[22:23], v[24:25] op_sel:[1,0,0]
	v_pk_fma_f32 v[26:27], v[42:43], v[20:21], v[94:95] op_sel_hi:[0,1,1]
	v_mov_b32_e32 v23, v0
	v_pk_fma_f32 v[26:27], v[42:43], v[22:23], v[26:27] op_sel:[1,0,0]
	v_mov_b32_e32 v20, v1
	v_pk_fma_f32 v[26:27], v[44:45], v[20:21], v[26:27] op_sel_hi:[0,1,1]
	v_mov_b32_e32 v23, v1
	v_pk_fma_f32 v[0:1], v[34:35], v[22:23], v[26:27] op_sel_hi:[0,1,1]
	v_mov_b32_e32 v20, v2
	v_pk_fma_f32 v[0:1], v[38:39], v[20:21], v[0:1] op_sel_hi:[0,1,1]
	v_mov_b32_e32 v23, v2
	v_pk_fma_f32 v[0:1], v[38:39], v[22:23], v[0:1] op_sel:[1,0,0]
	v_mov_b32_e32 v20, v3
	v_pk_fma_f32 v[0:1], v[40:41], v[20:21], v[0:1] op_sel_hi:[0,1,1]
	v_mov_b32_e32 v23, v3
	v_pk_fma_f32 v[0:1], v[36:37], v[22:23], v[0:1] op_sel_hi:[0,1,1]
	v_mov_b32_e32 v20, v46
	v_pk_fma_f32 v[0:1], v[8:9], v[20:21], v[0:1] op_sel_hi:[0,1,1]
	v_mov_b32_e32 v23, v46
	v_pk_fma_f32 v[70:71], v[8:9], v[22:23], v[0:1] op_sel:[1,0,0]
	global_load_dword v0, v[18:19], off
	global_load_dwordx4 v[30:33], v[14:15], off offset:1072
	global_load_dwordx4 v[34:37], v[14:15], off offset:1056
	;; [unrolled: 1-line block ×4, first 2 shown]
	v_mov_b32_e32 v20, v59
	v_mov_b32_e32 v46, v11
	;; [unrolled: 1-line block ×4, first 2 shown]
	s_waitcnt vmcnt(4)
	v_subrev_u32_e32 v0, s16, v0
	v_lshlrev_b32_e32 v0, 2, v0
	v_ashrrev_i32_e32 v1, 31, v0
	v_lshlrev_b64 v[0:1], 3, v[0:1]
	v_add_co_u32_e32 v8, vcc, s6, v0
	v_addc_co_u32_e32 v9, vcc, v28, v1, vcc
	global_load_dwordx4 v[0:3], v[8:9], off offset:16
	global_load_dwordx4 v[62:65], v[8:9], off
	v_pk_fma_f32 v[8:9], v[10:11], v[20:21], v[66:67] op_sel_hi:[0,1,1]
	v_pk_fma_f32 v[8:9], v[46:47], v[22:23], v[8:9] op_sel_hi:[0,1,1]
	v_mov_b32_e32 v20, v60
	v_pk_fma_f32 v[8:9], v[4:5], v[20:21], v[8:9] op_sel_hi:[0,1,1]
	v_mov_b32_e32 v23, v60
	v_pk_fma_f32 v[8:9], v[4:5], v[22:23], v[8:9] op_sel:[1,0,0]
	v_mov_b32_e32 v20, v61
	v_pk_fma_f32 v[8:9], v[6:7], v[20:21], v[8:9] op_sel_hi:[0,1,1]
	v_mov_b32_e32 v23, v61
	v_pk_fma_f32 v[8:9], v[50:51], v[22:23], v[8:9] op_sel_hi:[0,1,1]
	s_waitcnt vmcnt(2)
	v_mov_b32_e32 v20, v42
	v_mov_b32_e32 v23, v42
	s_waitcnt vmcnt(0)
	v_pk_fma_f32 v[8:9], v[62:63], v[20:21], v[8:9] op_sel_hi:[0,1,1]
	v_pk_fma_f32 v[8:9], v[62:63], v[22:23], v[8:9] op_sel:[1,0,0]
	v_mov_b32_e32 v20, v43
	v_pk_fma_f32 v[8:9], v[64:65], v[20:21], v[8:9] op_sel_hi:[0,1,1]
	v_mov_b32_e32 v42, v65
	v_mov_b32_e32 v23, v43
	v_pk_fma_f32 v[8:9], v[42:43], v[22:23], v[8:9] op_sel_hi:[0,1,1]
	v_mov_b32_e32 v20, v44
	v_pk_fma_f32 v[26:27], v[0:1], v[20:21], v[8:9] op_sel_hi:[0,1,1]
	v_mov_b32_e32 v20, v55
	v_pk_fma_f32 v[8:9], v[10:11], v[20:21], v[68:69] op_sel_hi:[0,1,1]
	v_mov_b32_e32 v23, v55
	v_pk_fma_f32 v[8:9], v[46:47], v[22:23], v[8:9] op_sel_hi:[0,1,1]
	v_mov_b32_e32 v20, v56
	v_pk_fma_f32 v[8:9], v[4:5], v[20:21], v[8:9] op_sel_hi:[0,1,1]
	v_mov_b32_e32 v23, v56
	v_pk_fma_f32 v[8:9], v[4:5], v[22:23], v[8:9] op_sel:[1,0,0]
	v_mov_b32_e32 v20, v57
	v_pk_fma_f32 v[8:9], v[6:7], v[20:21], v[8:9] op_sel_hi:[0,1,1]
	v_mov_b32_e32 v23, v57
	v_pk_fma_f32 v[8:9], v[50:51], v[22:23], v[8:9] op_sel_hi:[0,1,1]
	v_mov_b32_e32 v20, v38
	v_pk_fma_f32 v[8:9], v[62:63], v[20:21], v[8:9] op_sel_hi:[0,1,1]
	v_mov_b32_e32 v23, v38
	v_pk_fma_f32 v[8:9], v[62:63], v[22:23], v[8:9] op_sel:[1,0,0]
	v_mov_b32_e32 v20, v39
	v_pk_fma_f32 v[8:9], v[64:65], v[20:21], v[8:9] op_sel_hi:[0,1,1]
	v_mov_b32_e32 v23, v39
	v_pk_fma_f32 v[8:9], v[42:43], v[22:23], v[8:9] op_sel_hi:[0,1,1]
	;; [unrolled: 2-line block ×6, first 2 shown]
	v_mov_b32_e32 v23, v52
	v_pk_fma_f32 v[24:25], v[4:5], v[22:23], v[24:25] op_sel:[1,0,0]
	v_mov_b32_e32 v20, v53
	v_pk_fma_f32 v[24:25], v[6:7], v[20:21], v[24:25] op_sel_hi:[0,1,1]
	v_mov_b32_e32 v23, v53
	v_pk_fma_f32 v[24:25], v[50:51], v[22:23], v[24:25] op_sel_hi:[0,1,1]
	;; [unrolled: 2-line block ×3, first 2 shown]
	v_mov_b32_e32 v23, v34
	v_pk_fma_f32 v[24:25], v[62:63], v[22:23], v[24:25] op_sel:[1,0,0]
	v_mov_b32_e32 v20, v35
	v_pk_fma_f32 v[24:25], v[64:65], v[20:21], v[24:25] op_sel_hi:[0,1,1]
	v_mov_b32_e32 v23, v35
	v_pk_fma_f32 v[24:25], v[42:43], v[22:23], v[24:25] op_sel_hi:[0,1,1]
	;; [unrolled: 2-line block ×6, first 2 shown]
	v_mov_b32_e32 v23, v48
	v_pk_fma_f32 v[4:5], v[4:5], v[22:23], v[10:11] op_sel:[1,0,0]
	v_mov_b32_e32 v20, v49
	v_pk_fma_f32 v[4:5], v[6:7], v[20:21], v[4:5] op_sel_hi:[0,1,1]
	global_load_dword v6, v[18:19], off offset:32
	v_mov_b32_e32 v23, v49
	v_pk_fma_f32 v[4:5], v[50:51], v[22:23], v[4:5] op_sel_hi:[0,1,1]
	v_mov_b32_e32 v20, v30
	v_pk_fma_f32 v[4:5], v[62:63], v[20:21], v[4:5] op_sel_hi:[0,1,1]
	v_mov_b32_e32 v23, v30
	v_pk_fma_f32 v[4:5], v[62:63], v[22:23], v[4:5] op_sel:[1,0,0]
	v_mov_b32_e32 v20, v31
	global_load_dwordx4 v[46:49], v[14:15], off offset:1584
	global_load_dwordx4 v[50:53], v[14:15], off offset:1568
	global_load_dwordx4 v[54:57], v[14:15], off offset:1552
	global_load_dwordx4 v[58:61], v[14:15], off offset:1536
	v_pk_fma_f32 v[4:5], v[64:65], v[20:21], v[4:5] op_sel_hi:[0,1,1]
	v_mov_b32_e32 v23, v31
	v_pk_fma_f32 v[4:5], v[42:43], v[22:23], v[4:5] op_sel_hi:[0,1,1]
	v_mov_b32_e32 v20, v32
	v_mov_b32_e32 v23, v44
	v_pk_fma_f32 v[4:5], v[0:1], v[20:21], v[4:5] op_sel_hi:[0,1,1]
	v_mov_b32_e32 v20, v45
	v_mov_b32_e32 v10, v3
	s_waitcnt vmcnt(4)
	v_subrev_u32_e32 v6, s16, v6
	v_lshlrev_b32_e32 v6, 2, v6
	v_ashrrev_i32_e32 v7, 31, v6
	v_lshlrev_b64 v[6:7], 3, v[6:7]
	v_add_co_u32_e32 v6, vcc, s6, v6
	v_addc_co_u32_e32 v7, vcc, v28, v7, vcc
	global_load_dwordx4 v[62:65], v[6:7], off offset:16
	global_load_dwordx4 v[66:69], v[6:7], off
	v_pk_fma_f32 v[6:7], v[0:1], v[22:23], v[26:27] op_sel:[1,0,0]
	v_pk_fma_f32 v[6:7], v[2:3], v[20:21], v[6:7] op_sel_hi:[0,1,1]
	v_mov_b32_e32 v23, v45
	v_pk_fma_f32 v[6:7], v[10:11], v[22:23], v[6:7] op_sel_hi:[0,1,1]
	s_waitcnt vmcnt(2)
	v_mov_b32_e32 v20, v58
	v_mov_b32_e32 v23, v58
	v_add_co_u32_e32 v16, vcc, 32, v16
	v_addc_co_u32_e32 v17, vcc, 0, v17, vcc
	v_add_co_u32_e32 v18, vcc, 0x80, v18
	v_addc_co_u32_e32 v19, vcc, 0, v19, vcc
	v_cmp_ge_i64_e64 s[2:3], v[16:17], v[90:91]
	v_add_co_u32_e32 v14, vcc, 0x800, v14
	v_addc_co_u32_e32 v15, vcc, 0, v15, vcc
	s_or_b64 s[14:15], s[2:3], s[14:15]
	s_waitcnt vmcnt(1)
	v_mov_b32_e32 v30, v65
	s_waitcnt vmcnt(0)
	v_pk_fma_f32 v[6:7], v[66:67], v[20:21], v[6:7] op_sel_hi:[0,1,1]
	v_pk_fma_f32 v[6:7], v[66:67], v[22:23], v[6:7] op_sel:[1,0,0]
	v_mov_b32_e32 v20, v59
	v_pk_fma_f32 v[6:7], v[68:69], v[20:21], v[6:7] op_sel_hi:[0,1,1]
	v_mov_b32_e32 v26, v69
	v_mov_b32_e32 v23, v59
	v_pk_fma_f32 v[6:7], v[26:27], v[22:23], v[6:7] op_sel_hi:[0,1,1]
	v_mov_b32_e32 v20, v60
	v_pk_fma_f32 v[6:7], v[62:63], v[20:21], v[6:7] op_sel_hi:[0,1,1]
	v_mov_b32_e32 v23, v60
	v_pk_fma_f32 v[6:7], v[62:63], v[22:23], v[6:7] op_sel:[1,0,0]
	v_mov_b32_e32 v20, v61
	v_pk_fma_f32 v[6:7], v[64:65], v[20:21], v[6:7] op_sel_hi:[0,1,1]
	v_mov_b32_e32 v23, v61
	v_pk_fma_f32 v[96:97], v[30:31], v[22:23], v[6:7] op_sel_hi:[0,1,1]
	v_mov_b32_e32 v23, v40
	v_pk_fma_f32 v[6:7], v[0:1], v[22:23], v[8:9] op_sel:[1,0,0]
	v_mov_b32_e32 v20, v41
	v_pk_fma_f32 v[6:7], v[2:3], v[20:21], v[6:7] op_sel_hi:[0,1,1]
	v_mov_b32_e32 v23, v41
	v_pk_fma_f32 v[6:7], v[10:11], v[22:23], v[6:7] op_sel_hi:[0,1,1]
	v_mov_b32_e32 v20, v54
	v_pk_fma_f32 v[6:7], v[66:67], v[20:21], v[6:7] op_sel_hi:[0,1,1]
	v_mov_b32_e32 v23, v54
	v_pk_fma_f32 v[6:7], v[66:67], v[22:23], v[6:7] op_sel:[1,0,0]
	v_mov_b32_e32 v20, v55
	v_pk_fma_f32 v[6:7], v[68:69], v[20:21], v[6:7] op_sel_hi:[0,1,1]
	v_mov_b32_e32 v23, v55
	v_pk_fma_f32 v[6:7], v[26:27], v[22:23], v[6:7] op_sel_hi:[0,1,1]
	v_mov_b32_e32 v20, v56
	v_pk_fma_f32 v[6:7], v[62:63], v[20:21], v[6:7] op_sel_hi:[0,1,1]
	v_mov_b32_e32 v23, v56
	v_pk_fma_f32 v[6:7], v[62:63], v[22:23], v[6:7] op_sel:[1,0,0]
	v_mov_b32_e32 v20, v57
	v_pk_fma_f32 v[6:7], v[64:65], v[20:21], v[6:7] op_sel_hi:[0,1,1]
	v_mov_b32_e32 v23, v57
	v_pk_fma_f32 v[100:101], v[30:31], v[22:23], v[6:7] op_sel_hi:[0,1,1]
	v_mov_b32_e32 v23, v36
	v_pk_fma_f32 v[6:7], v[0:1], v[22:23], v[24:25] op_sel:[1,0,0]
	v_mov_b32_e32 v20, v37
	v_pk_fma_f32 v[6:7], v[2:3], v[20:21], v[6:7] op_sel_hi:[0,1,1]
	v_mov_b32_e32 v23, v37
	v_pk_fma_f32 v[6:7], v[10:11], v[22:23], v[6:7] op_sel_hi:[0,1,1]
	v_mov_b32_e32 v20, v50
	v_pk_fma_f32 v[6:7], v[66:67], v[20:21], v[6:7] op_sel_hi:[0,1,1]
	v_mov_b32_e32 v23, v50
	v_pk_fma_f32 v[6:7], v[66:67], v[22:23], v[6:7] op_sel:[1,0,0]
	v_mov_b32_e32 v20, v51
	v_pk_fma_f32 v[6:7], v[68:69], v[20:21], v[6:7] op_sel_hi:[0,1,1]
	;; [unrolled: 22-line block ×3, first 2 shown]
	v_mov_b32_e32 v23, v47
	v_pk_fma_f32 v[0:1], v[26:27], v[22:23], v[0:1] op_sel_hi:[0,1,1]
	v_mov_b32_e32 v20, v48
	v_pk_fma_f32 v[0:1], v[62:63], v[20:21], v[0:1] op_sel_hi:[0,1,1]
	v_mov_b32_e32 v23, v48
	v_pk_fma_f32 v[0:1], v[62:63], v[22:23], v[0:1] op_sel:[1,0,0]
	v_mov_b32_e32 v20, v49
	v_pk_fma_f32 v[0:1], v[64:65], v[20:21], v[0:1] op_sel_hi:[0,1,1]
	v_mov_b32_e32 v23, v49
	v_pk_fma_f32 v[94:95], v[30:31], v[22:23], v[0:1] op_sel_hi:[0,1,1]
	s_andn2_b64 exec, exec, s[14:15]
	s_cbranch_execnz .LBB126_27
; %bb.28:
	s_or_b64 exec, exec, s[14:15]
.LBB126_29:
	s_or_b64 exec, exec, s[10:11]
.LBB126_30:
	s_or_b64 exec, exec, s[8:9]
	s_cbranch_execz .LBB126_32
	s_branch .LBB126_43
.LBB126_31:
                                        ; implicit-def: $vgpr97
                                        ; implicit-def: $vgpr101
                                        ; implicit-def: $vgpr99
                                        ; implicit-def: $vgpr95
.LBB126_32:
	v_mov_b32_e32 v97, 0
	v_mov_b32_e32 v96, 0
	;; [unrolled: 1-line block ×8, first 2 shown]
	s_and_saveexec_b64 s[2:3], s[0:1]
	s_cbranch_execz .LBB126_42
; %bb.33:
	v_or_b32_e32 v0, 8, v86
	v_mov_b32_e32 v1, s17
	v_subrev_co_u32_e32 v0, vcc, s16, v0
	v_subb_co_u32_e32 v1, vcc, 0, v1, vcc
	v_add_co_u32_e32 v0, vcc, v0, v12
	v_addc_co_u32_e32 v1, vcc, v1, v13, vcc
	v_cmp_gt_i64_e32 vcc, v[0:1], v[90:91]
	v_cndmask_b32_e32 v1, v91, v1, vcc
	v_cndmask_b32_e32 v0, v90, v0, vcc
	v_mov_b32_e32 v4, s17
	v_sub_co_u32_e32 v5, vcc, s16, v86
	v_not_b32_e32 v3, v12
	v_subbrev_co_u32_e32 v4, vcc, 0, v4, vcc
	v_not_b32_e32 v2, v13
	v_add_co_u32_e32 v3, vcc, v5, v3
	v_addc_co_u32_e32 v2, vcc, v4, v2, vcc
	v_add_co_u32_e32 v0, vcc, v3, v0
	v_addc_co_u32_e32 v1, vcc, v2, v1, vcc
	v_lshrrev_b32_e32 v2, 3, v0
	v_add_u32_e32 v2, 1, v2
	v_and_b32_e32 v2, 3, v2
	v_mov_b32_e32 v94, 0
	v_cmp_ne_u32_e32 vcc, 0, v2
	v_mov_b32_e32 v95, v94
	v_mov_b32_e32 v98, v94
	;; [unrolled: 1-line block ×7, first 2 shown]
	s_and_saveexec_b64 s[0:1], vcc
	s_cbranch_execz .LBB126_37
; %bb.34:
	v_lshlrev_b64 v[4:5], 2, v[88:89]
	v_mov_b32_e32 v3, 0
	v_mov_b32_e32 v6, s13
	v_add_co_u32_e32 v4, vcc, s12, v4
	v_lshlrev_b32_e32 v2, 2, v2
	v_addc_co_u32_e32 v5, vcc, v6, v5, vcc
	s_mov_b64 s[8:9], 0
	s_movk_i32 s10, 0x200
	v_mov_b32_e32 v10, s7
	v_bfrev_b32_e32 v6, 1
	v_pk_mov_b32 v[8:9], v[2:3], v[2:3] op_sel:[0,1]
	v_mov_b32_e32 v94, v3
	v_mov_b32_e32 v95, v3
	;; [unrolled: 1-line block ×8, first 2 shown]
.LBB126_35:                             ; =>This Inner Loop Header: Depth=1
	global_load_dword v2, v[4:5], off
	global_load_dwordx4 v[12:15], v[92:93], off offset:32
	global_load_dwordx4 v[16:19], v[92:93], off offset:16
	global_load_dwordx4 v[20:23], v[92:93], off
	s_waitcnt vmcnt(3)
	v_subrev_u32_e32 v2, s16, v2
	v_lshlrev_b32_e32 v24, 2, v2
	v_ashrrev_i32_e32 v25, 31, v24
	v_lshlrev_b64 v[24:25], 3, v[24:25]
	v_add_co_u32_e32 v36, vcc, s6, v24
	v_addc_co_u32_e32 v37, vcc, v10, v25, vcc
	global_load_dwordx4 v[24:27], v[36:37], off
	global_load_dwordx4 v[28:31], v[36:37], off offset:16
	global_load_dwordx4 v[32:35], v[92:93], off offset:48
	s_waitcnt vmcnt(3)
	v_mov_b32_e32 v2, v20
	v_mov_b32_e32 v7, v20
	v_add_co_u32_e32 v92, vcc, s10, v92
	v_addc_co_u32_e32 v93, vcc, 0, v93, vcc
	v_add_co_u32_e32 v88, vcc, 8, v88
	v_addc_co_u32_e32 v89, vcc, 0, v89, vcc
	;; [unrolled: 2-line block ×3, first 2 shown]
	v_add_co_u32_e32 v8, vcc, -4, v8
	v_addc_co_u32_e32 v9, vcc, -1, v9, vcc
	v_cmp_eq_u64_e32 vcc, 0, v[8:9]
	s_or_b64 s[8:9], vcc, s[8:9]
	s_waitcnt vmcnt(2)
	v_pk_fma_f32 v[36:37], v[24:25], v[2:3], v[96:97] op_sel_hi:[0,1,1]
	v_mov_b32_e32 v2, v16
	v_pk_fma_f32 v[36:37], v[24:25], v[6:7], v[36:37] op_sel:[1,0,0]
	v_mov_b32_e32 v20, v27
	v_mov_b32_e32 v7, v16
	v_pk_fma_f32 v[36:37], v[26:27], v[2:3], v[36:37] op_sel_hi:[0,1,1]
	v_mov_b32_e32 v2, v12
	v_pk_fma_f32 v[36:37], v[20:21], v[6:7], v[36:37] op_sel_hi:[0,1,1]
	v_mov_b32_e32 v7, v12
	s_waitcnt vmcnt(1)
	v_pk_fma_f32 v[36:37], v[28:29], v[2:3], v[36:37] op_sel_hi:[0,1,1]
	s_waitcnt vmcnt(0)
	v_mov_b32_e32 v2, v32
	v_pk_fma_f32 v[36:37], v[28:29], v[6:7], v[36:37] op_sel:[1,0,0]
	v_mov_b32_e32 v38, v31
	v_mov_b32_e32 v7, v32
	v_pk_fma_f32 v[36:37], v[30:31], v[2:3], v[36:37] op_sel_hi:[0,1,1]
	v_mov_b32_e32 v2, v21
	v_pk_fma_f32 v[96:97], v[38:39], v[6:7], v[36:37] op_sel_hi:[0,1,1]
	v_pk_fma_f32 v[36:37], v[24:25], v[2:3], v[100:101] op_sel_hi:[0,1,1]
	v_mov_b32_e32 v7, v21
	v_mov_b32_e32 v2, v17
	v_pk_fma_f32 v[36:37], v[24:25], v[6:7], v[36:37] op_sel:[1,0,0]
	v_mov_b32_e32 v7, v17
	v_pk_fma_f32 v[16:17], v[26:27], v[2:3], v[36:37] op_sel_hi:[0,1,1]
	v_mov_b32_e32 v2, v13
	v_pk_fma_f32 v[16:17], v[20:21], v[6:7], v[16:17] op_sel_hi:[0,1,1]
	v_mov_b32_e32 v7, v13
	v_pk_fma_f32 v[12:13], v[28:29], v[2:3], v[16:17] op_sel_hi:[0,1,1]
	v_mov_b32_e32 v2, v33
	v_pk_fma_f32 v[12:13], v[28:29], v[6:7], v[12:13] op_sel:[1,0,0]
	v_mov_b32_e32 v7, v33
	v_pk_fma_f32 v[12:13], v[30:31], v[2:3], v[12:13] op_sel_hi:[0,1,1]
	v_mov_b32_e32 v2, v22
	v_pk_fma_f32 v[100:101], v[38:39], v[6:7], v[12:13] op_sel_hi:[0,1,1]
	v_pk_fma_f32 v[12:13], v[24:25], v[2:3], v[98:99] op_sel_hi:[0,1,1]
	v_mov_b32_e32 v7, v22
	v_mov_b32_e32 v2, v18
	v_pk_fma_f32 v[12:13], v[24:25], v[6:7], v[12:13] op_sel:[1,0,0]
	v_mov_b32_e32 v7, v18
	v_pk_fma_f32 v[12:13], v[26:27], v[2:3], v[12:13] op_sel_hi:[0,1,1]
	v_mov_b32_e32 v2, v14
	v_pk_fma_f32 v[12:13], v[20:21], v[6:7], v[12:13] op_sel_hi:[0,1,1]
	v_mov_b32_e32 v7, v14
	v_pk_fma_f32 v[12:13], v[28:29], v[2:3], v[12:13] op_sel_hi:[0,1,1]
	v_mov_b32_e32 v2, v34
	v_pk_fma_f32 v[12:13], v[28:29], v[6:7], v[12:13] op_sel:[1,0,0]
	;; [unrolled: 16-line block ×3, first 2 shown]
	v_mov_b32_e32 v7, v35
	v_pk_fma_f32 v[12:13], v[30:31], v[2:3], v[12:13] op_sel_hi:[0,1,1]
	v_pk_fma_f32 v[94:95], v[38:39], v[6:7], v[12:13] op_sel_hi:[0,1,1]
	s_andn2_b64 exec, exec, s[8:9]
	s_cbranch_execnz .LBB126_35
; %bb.36:
	s_or_b64 exec, exec, s[8:9]
.LBB126_37:
	s_or_b64 exec, exec, s[0:1]
	v_cmp_lt_u64_e32 vcc, 23, v[0:1]
	s_and_saveexec_b64 s[8:9], vcc
	s_cbranch_execz .LBB126_41
; %bb.38:
	v_lshlrev_b64 v[0:1], 2, v[88:89]
	v_mov_b32_e32 v2, s13
	v_add_co_u32_e32 v0, vcc, s12, v0
	v_addc_co_u32_e32 v1, vcc, v1, v2, vcc
	v_add_co_u32_e32 v102, vcc, 64, v0
	v_addc_co_u32_e32 v103, vcc, 0, v1, vcc
	s_mov_b64 s[10:11], 0
	v_mov_b32_e32 v85, s7
	v_mov_b32_e32 v105, 0
	v_bfrev_b32_e32 v106, 1
.LBB126_39:                             ; =>This Inner Loop Header: Depth=1
	global_load_dword v56, v[102:103], off offset:-64
	global_load_dword v57, v[102:103], off offset:-32
	global_load_dwordx4 v[44:47], v[92:93], off
	global_load_dword v58, v[102:103], off
	global_load_dword v59, v[102:103], off offset:32
	global_load_dwordx4 v[110:113], v[92:93], off offset:16
	global_load_dwordx4 v[48:51], v[92:93], off offset:48
	;; [unrolled: 1-line block ×15, first 2 shown]
	v_add_co_u32_e32 v88, vcc, 32, v88
	v_addc_co_u32_e32 v89, vcc, 0, v89, vcc
	v_add_co_u32_e32 v102, vcc, 0x80, v102
	v_addc_co_u32_e32 v103, vcc, 0, v103, vcc
	;; [unrolled: 2-line block ×3, first 2 shown]
	v_cmp_ge_i64_e64 s[0:1], v[88:89], v[90:91]
	s_or_b64 s[10:11], s[0:1], s[10:11]
	s_waitcnt vmcnt(19)
	v_subrev_u32_e32 v56, s16, v56
	s_waitcnt vmcnt(18)
	v_subrev_u32_e32 v57, s16, v57
	v_lshlrev_b32_e32 v56, 2, v56
	s_waitcnt vmcnt(17)
	v_mov_b32_e32 v104, v44
	v_mov_b32_e32 v107, v44
	s_waitcnt vmcnt(16)
	v_subrev_u32_e32 v44, s16, v58
	v_lshlrev_b32_e32 v58, 2, v57
	v_ashrrev_i32_e32 v57, 31, v56
	s_waitcnt vmcnt(15)
	v_subrev_u32_e32 v59, s16, v59
	v_lshlrev_b64 v[56:57], 3, v[56:57]
	v_lshlrev_b32_e32 v62, 2, v59
	v_ashrrev_i32_e32 v59, 31, v58
	v_add_co_u32_e32 v56, vcc, s6, v56
	v_lshlrev_b32_e32 v60, 2, v44
	v_lshlrev_b64 v[58:59], 3, v[58:59]
	v_addc_co_u32_e32 v57, vcc, v85, v57, vcc
	v_ashrrev_i32_e32 v61, 31, v60
	v_add_co_u32_e32 v58, vcc, s6, v58
	v_lshlrev_b64 v[60:61], 3, v[60:61]
	v_addc_co_u32_e32 v59, vcc, v85, v59, vcc
	v_ashrrev_i32_e32 v63, 31, v62
	v_add_co_u32_e32 v108, vcc, s6, v60
	v_lshlrev_b64 v[62:63], 3, v[62:63]
	v_addc_co_u32_e32 v109, vcc, v85, v61, vcc
	v_add_co_u32_e32 v126, vcc, s6, v62
	v_addc_co_u32_e32 v127, vcc, v85, v63, vcc
	global_load_dwordx4 v[118:121], v[56:57], off
	global_load_dwordx4 v[122:125], v[56:57], off offset:16
	global_load_dwordx4 v[76:79], v[58:59], off
	global_load_dwordx4 v[72:75], v[58:59], off offset:16
	;; [unrolled: 2-line block ×3, first 2 shown]
	global_load_dwordx4 v[60:63], v[126:127], off
                                        ; kill: killed $vgpr108 killed $vgpr109
                                        ; kill: killed $vgpr56 killed $vgpr57
                                        ; kill: killed $vgpr58 killed $vgpr59
	s_nop 0
	global_load_dwordx4 v[56:59], v[126:127], off offset:16
	s_waitcnt vmcnt(7)
	v_pk_fma_f32 v[108:109], v[118:119], v[104:105], v[96:97] op_sel_hi:[0,1,1]
	v_mov_b32_e32 v104, v110
	v_pk_fma_f32 v[108:109], v[118:119], v[106:107], v[108:109] op_sel:[1,0,0]
	v_mov_b32_e32 v126, v121
	v_mov_b32_e32 v107, v110
	v_pk_fma_f32 v[108:109], v[120:121], v[104:105], v[108:109] op_sel_hi:[0,1,1]
	v_mov_b32_e32 v104, v114
	v_pk_fma_f32 v[108:109], v[126:127], v[106:107], v[108:109] op_sel_hi:[0,1,1]
	v_mov_b32_e32 v107, v114
	s_waitcnt vmcnt(6)
	v_pk_fma_f32 v[108:109], v[122:123], v[104:105], v[108:109] op_sel_hi:[0,1,1]
	v_mov_b32_e32 v104, v48
	v_pk_fma_f32 v[108:109], v[122:123], v[106:107], v[108:109] op_sel:[1,0,0]
	v_mov_b32_e32 v96, v125
	v_mov_b32_e32 v107, v48
	v_pk_fma_f32 v[108:109], v[124:125], v[104:105], v[108:109] op_sel_hi:[0,1,1]
	v_mov_b32_e32 v104, v52
	v_pk_fma_f32 v[108:109], v[96:97], v[106:107], v[108:109] op_sel_hi:[0,1,1]
	v_mov_b32_e32 v107, v52
	s_waitcnt vmcnt(5)
	v_pk_fma_f32 v[108:109], v[76:77], v[104:105], v[108:109] op_sel_hi:[0,1,1]
	v_mov_b32_e32 v104, v45
	v_pk_fma_f32 v[108:109], v[76:77], v[106:107], v[108:109] op_sel:[1,0,0]
	v_pk_fma_f32 v[100:101], v[118:119], v[104:105], v[100:101] op_sel_hi:[0,1,1]
	v_mov_b32_e32 v107, v45
	v_mov_b32_e32 v104, v111
	v_pk_fma_f32 v[100:101], v[118:119], v[106:107], v[100:101] op_sel:[1,0,0]
	v_mov_b32_e32 v107, v111
	v_pk_fma_f32 v[100:101], v[120:121], v[104:105], v[100:101] op_sel_hi:[0,1,1]
	v_mov_b32_e32 v104, v115
	v_pk_fma_f32 v[100:101], v[126:127], v[106:107], v[100:101] op_sel_hi:[0,1,1]
	;; [unrolled: 2-line block ×3, first 2 shown]
	v_mov_b32_e32 v104, v49
	v_pk_fma_f32 v[100:101], v[122:123], v[106:107], v[100:101] op_sel:[1,0,0]
	v_mov_b32_e32 v107, v49
	v_pk_fma_f32 v[48:49], v[124:125], v[104:105], v[100:101] op_sel_hi:[0,1,1]
	v_mov_b32_e32 v104, v53
	v_pk_fma_f32 v[48:49], v[96:97], v[106:107], v[48:49] op_sel_hi:[0,1,1]
	;; [unrolled: 2-line block ×3, first 2 shown]
	v_mov_b32_e32 v104, v46
	v_pk_fma_f32 v[52:53], v[76:77], v[106:107], v[48:49] op_sel:[1,0,0]
	v_pk_fma_f32 v[48:49], v[118:119], v[104:105], v[98:99] op_sel_hi:[0,1,1]
	v_mov_b32_e32 v107, v46
	v_mov_b32_e32 v104, v112
	v_pk_fma_f32 v[48:49], v[118:119], v[106:107], v[48:49] op_sel:[1,0,0]
	v_mov_b32_e32 v107, v112
	v_pk_fma_f32 v[48:49], v[120:121], v[104:105], v[48:49] op_sel_hi:[0,1,1]
	v_mov_b32_e32 v104, v116
	v_pk_fma_f32 v[48:49], v[126:127], v[106:107], v[48:49] op_sel_hi:[0,1,1]
	;; [unrolled: 2-line block ×3, first 2 shown]
	v_mov_b32_e32 v104, v50
	v_pk_fma_f32 v[48:49], v[122:123], v[106:107], v[48:49] op_sel:[1,0,0]
	v_mov_b32_e32 v107, v50
	v_pk_fma_f32 v[48:49], v[124:125], v[104:105], v[48:49] op_sel_hi:[0,1,1]
	v_mov_b32_e32 v104, v54
	v_pk_fma_f32 v[48:49], v[96:97], v[106:107], v[48:49] op_sel_hi:[0,1,1]
	;; [unrolled: 2-line block ×3, first 2 shown]
	v_mov_b32_e32 v104, v47
	v_pk_fma_f32 v[48:49], v[76:77], v[106:107], v[48:49] op_sel:[1,0,0]
	v_pk_fma_f32 v[94:95], v[118:119], v[104:105], v[94:95] op_sel_hi:[0,1,1]
	v_mov_b32_e32 v107, v47
	v_mov_b32_e32 v104, v113
	v_pk_fma_f32 v[46:47], v[118:119], v[106:107], v[94:95] op_sel:[1,0,0]
	v_pk_fma_f32 v[46:47], v[120:121], v[104:105], v[46:47] op_sel_hi:[0,1,1]
	v_mov_b32_e32 v107, v113
	v_pk_fma_f32 v[100:101], v[126:127], v[106:107], v[46:47] op_sel_hi:[0,1,1]
	v_mov_b32_e32 v104, v117
	v_mov_b32_e32 v107, v117
	v_pk_fma_f32 v[100:101], v[122:123], v[104:105], v[100:101] op_sel_hi:[0,1,1]
	v_mov_b32_e32 v104, v51
	v_pk_fma_f32 v[100:101], v[122:123], v[106:107], v[100:101] op_sel:[1,0,0]
	v_pk_fma_f32 v[100:101], v[124:125], v[104:105], v[100:101] op_sel_hi:[0,1,1]
	v_mov_b32_e32 v107, v51
	v_mov_b32_e32 v104, v55
	v_pk_fma_f32 v[96:97], v[96:97], v[106:107], v[100:101] op_sel_hi:[0,1,1]
	v_mov_b32_e32 v107, v55
	v_pk_fma_f32 v[96:97], v[76:77], v[104:105], v[96:97] op_sel_hi:[0,1,1]
	v_mov_b32_e32 v104, v40
	v_mov_b32_e32 v44, v79
	v_pk_fma_f32 v[76:77], v[76:77], v[106:107], v[96:97] op_sel:[1,0,0]
	v_pk_fma_f32 v[96:97], v[78:79], v[104:105], v[108:109] op_sel_hi:[0,1,1]
	v_mov_b32_e32 v107, v40
	v_mov_b32_e32 v104, v36
	v_pk_fma_f32 v[96:97], v[44:45], v[106:107], v[96:97] op_sel_hi:[0,1,1]
	v_mov_b32_e32 v107, v36
	s_waitcnt vmcnt(4)
	v_pk_fma_f32 v[96:97], v[72:73], v[104:105], v[96:97] op_sel_hi:[0,1,1]
	v_mov_b32_e32 v104, v28
	v_pk_fma_f32 v[96:97], v[72:73], v[106:107], v[96:97] op_sel:[1,0,0]
	v_mov_b32_e32 v98, v75
	v_mov_b32_e32 v107, v28
	v_pk_fma_f32 v[96:97], v[74:75], v[104:105], v[96:97] op_sel_hi:[0,1,1]
	v_mov_b32_e32 v104, v32
	v_pk_fma_f32 v[96:97], v[98:99], v[106:107], v[96:97] op_sel_hi:[0,1,1]
	v_mov_b32_e32 v107, v32
	s_waitcnt vmcnt(3)
	v_pk_fma_f32 v[96:97], v[68:69], v[104:105], v[96:97] op_sel_hi:[0,1,1]
	v_mov_b32_e32 v104, v24
	v_pk_fma_f32 v[96:97], v[68:69], v[106:107], v[96:97] op_sel:[1,0,0]
	v_mov_b32_e32 v94, v71
	v_mov_b32_e32 v107, v24
	v_pk_fma_f32 v[96:97], v[70:71], v[104:105], v[96:97] op_sel_hi:[0,1,1]
	v_mov_b32_e32 v104, v16
	v_pk_fma_f32 v[96:97], v[94:95], v[106:107], v[96:97] op_sel_hi:[0,1,1]
	s_waitcnt vmcnt(2)
	v_pk_fma_f32 v[96:97], v[64:65], v[104:105], v[96:97] op_sel_hi:[0,1,1]
	v_mov_b32_e32 v104, v41
	v_mov_b32_e32 v107, v41
	v_pk_fma_f32 v[40:41], v[78:79], v[104:105], v[52:53] op_sel_hi:[0,1,1]
	v_mov_b32_e32 v104, v37
	v_pk_fma_f32 v[40:41], v[44:45], v[106:107], v[40:41] op_sel_hi:[0,1,1]
	v_mov_b32_e32 v107, v37
	v_pk_fma_f32 v[36:37], v[72:73], v[104:105], v[40:41] op_sel_hi:[0,1,1]
	v_mov_b32_e32 v104, v29
	v_pk_fma_f32 v[36:37], v[72:73], v[106:107], v[36:37] op_sel:[1,0,0]
	v_mov_b32_e32 v107, v29
	v_pk_fma_f32 v[28:29], v[74:75], v[104:105], v[36:37] op_sel_hi:[0,1,1]
	v_mov_b32_e32 v104, v33
	v_pk_fma_f32 v[28:29], v[98:99], v[106:107], v[28:29] op_sel_hi:[0,1,1]
	v_mov_b32_e32 v107, v33
	v_pk_fma_f32 v[28:29], v[68:69], v[104:105], v[28:29] op_sel_hi:[0,1,1]
	v_mov_b32_e32 v104, v25
	v_pk_fma_f32 v[28:29], v[68:69], v[106:107], v[28:29] op_sel:[1,0,0]
	v_mov_b32_e32 v107, v25
	v_pk_fma_f32 v[24:25], v[70:71], v[104:105], v[28:29] op_sel_hi:[0,1,1]
	v_mov_b32_e32 v104, v17
	v_pk_fma_f32 v[24:25], v[94:95], v[106:107], v[24:25] op_sel_hi:[0,1,1]
	v_pk_fma_f32 v[24:25], v[64:65], v[104:105], v[24:25] op_sel_hi:[0,1,1]
	v_mov_b32_e32 v104, v42
	v_mov_b32_e32 v107, v42
	v_pk_fma_f32 v[28:29], v[78:79], v[104:105], v[48:49] op_sel_hi:[0,1,1]
	v_mov_b32_e32 v104, v38
	v_pk_fma_f32 v[28:29], v[44:45], v[106:107], v[28:29] op_sel_hi:[0,1,1]
	v_mov_b32_e32 v107, v38
	v_pk_fma_f32 v[28:29], v[72:73], v[104:105], v[28:29] op_sel_hi:[0,1,1]
	v_mov_b32_e32 v104, v30
	v_pk_fma_f32 v[28:29], v[72:73], v[106:107], v[28:29] op_sel:[1,0,0]
	v_mov_b32_e32 v107, v30
	v_pk_fma_f32 v[28:29], v[74:75], v[104:105], v[28:29] op_sel_hi:[0,1,1]
	v_mov_b32_e32 v104, v34
	v_pk_fma_f32 v[28:29], v[98:99], v[106:107], v[28:29] op_sel_hi:[0,1,1]
	v_mov_b32_e32 v107, v34
	v_pk_fma_f32 v[28:29], v[68:69], v[104:105], v[28:29] op_sel_hi:[0,1,1]
	v_mov_b32_e32 v104, v26
	v_pk_fma_f32 v[28:29], v[68:69], v[106:107], v[28:29] op_sel:[1,0,0]
	v_mov_b32_e32 v107, v26
	v_pk_fma_f32 v[28:29], v[70:71], v[104:105], v[28:29] op_sel_hi:[0,1,1]
	v_mov_b32_e32 v104, v18
	v_pk_fma_f32 v[28:29], v[94:95], v[106:107], v[28:29] op_sel_hi:[0,1,1]
	;; [unrolled: 22-line block ×3, first 2 shown]
	v_mov_b32_e32 v107, v16
	v_pk_fma_f32 v[26:27], v[64:65], v[104:105], v[26:27] op_sel_hi:[0,1,1]
	v_pk_fma_f32 v[30:31], v[64:65], v[106:107], v[96:97] op_sel:[1,0,0]
	v_mov_b32_e32 v104, v8
	v_mov_b32_e32 v46, v67
	;; [unrolled: 1-line block ×3, first 2 shown]
	v_pk_fma_f32 v[30:31], v[66:67], v[104:105], v[30:31] op_sel_hi:[0,1,1]
	v_mov_b32_e32 v104, v20
	v_pk_fma_f32 v[30:31], v[46:47], v[106:107], v[30:31] op_sel_hi:[0,1,1]
	v_mov_b32_e32 v107, v20
	s_waitcnt vmcnt(1)
	v_pk_fma_f32 v[30:31], v[60:61], v[104:105], v[30:31] op_sel_hi:[0,1,1]
	v_mov_b32_e32 v104, v12
	v_pk_fma_f32 v[30:31], v[60:61], v[106:107], v[30:31] op_sel:[1,0,0]
	v_mov_b32_e32 v54, v63
	v_mov_b32_e32 v107, v12
	v_pk_fma_f32 v[30:31], v[62:63], v[104:105], v[30:31] op_sel_hi:[0,1,1]
	v_mov_b32_e32 v104, v4
	v_pk_fma_f32 v[30:31], v[54:55], v[106:107], v[30:31] op_sel_hi:[0,1,1]
	v_mov_b32_e32 v107, v4
	s_waitcnt vmcnt(0)
	v_pk_fma_f32 v[30:31], v[56:57], v[104:105], v[30:31] op_sel_hi:[0,1,1]
	v_mov_b32_e32 v104, v0
	v_pk_fma_f32 v[30:31], v[56:57], v[106:107], v[30:31] op_sel:[1,0,0]
	v_mov_b32_e32 v50, v59
	v_mov_b32_e32 v107, v0
	v_pk_fma_f32 v[30:31], v[58:59], v[104:105], v[30:31] op_sel_hi:[0,1,1]
	v_pk_fma_f32 v[96:97], v[50:51], v[106:107], v[30:31] op_sel_hi:[0,1,1]
	v_mov_b32_e32 v107, v17
	v_mov_b32_e32 v104, v9
	v_pk_fma_f32 v[16:17], v[64:65], v[106:107], v[24:25] op_sel:[1,0,0]
	v_mov_b32_e32 v107, v9
	v_pk_fma_f32 v[8:9], v[66:67], v[104:105], v[16:17] op_sel_hi:[0,1,1]
	v_mov_b32_e32 v104, v21
	v_pk_fma_f32 v[8:9], v[46:47], v[106:107], v[8:9] op_sel_hi:[0,1,1]
	v_mov_b32_e32 v107, v21
	v_pk_fma_f32 v[8:9], v[60:61], v[104:105], v[8:9] op_sel_hi:[0,1,1]
	v_mov_b32_e32 v104, v13
	v_pk_fma_f32 v[8:9], v[60:61], v[106:107], v[8:9] op_sel:[1,0,0]
	v_mov_b32_e32 v107, v13
	v_pk_fma_f32 v[8:9], v[62:63], v[104:105], v[8:9] op_sel_hi:[0,1,1]
	v_mov_b32_e32 v104, v5
	v_pk_fma_f32 v[8:9], v[54:55], v[106:107], v[8:9] op_sel_hi:[0,1,1]
	v_mov_b32_e32 v107, v5
	v_pk_fma_f32 v[4:5], v[56:57], v[104:105], v[8:9] op_sel_hi:[0,1,1]
	v_mov_b32_e32 v104, v1
	v_pk_fma_f32 v[4:5], v[56:57], v[106:107], v[4:5] op_sel:[1,0,0]
	v_mov_b32_e32 v107, v1
	v_pk_fma_f32 v[0:1], v[58:59], v[104:105], v[4:5] op_sel_hi:[0,1,1]
	v_pk_fma_f32 v[100:101], v[50:51], v[106:107], v[0:1] op_sel_hi:[0,1,1]
	v_mov_b32_e32 v107, v18
	v_mov_b32_e32 v104, v10
	v_pk_fma_f32 v[0:1], v[64:65], v[106:107], v[28:29] op_sel:[1,0,0]
	v_mov_b32_e32 v107, v10
	v_pk_fma_f32 v[0:1], v[66:67], v[104:105], v[0:1] op_sel_hi:[0,1,1]
	v_mov_b32_e32 v104, v22
	v_pk_fma_f32 v[0:1], v[46:47], v[106:107], v[0:1] op_sel_hi:[0,1,1]
	v_mov_b32_e32 v107, v22
	v_pk_fma_f32 v[0:1], v[60:61], v[104:105], v[0:1] op_sel_hi:[0,1,1]
	v_mov_b32_e32 v104, v14
	v_pk_fma_f32 v[0:1], v[60:61], v[106:107], v[0:1] op_sel:[1,0,0]
	v_mov_b32_e32 v107, v14
	v_pk_fma_f32 v[0:1], v[62:63], v[104:105], v[0:1] op_sel_hi:[0,1,1]
	v_mov_b32_e32 v104, v6
	v_pk_fma_f32 v[0:1], v[54:55], v[106:107], v[0:1] op_sel_hi:[0,1,1]
	v_mov_b32_e32 v107, v6
	v_pk_fma_f32 v[0:1], v[56:57], v[104:105], v[0:1] op_sel_hi:[0,1,1]
	v_mov_b32_e32 v104, v2
	v_pk_fma_f32 v[0:1], v[56:57], v[106:107], v[0:1] op_sel:[1,0,0]
	;; [unrolled: 22-line block ×3, first 2 shown]
	v_mov_b32_e32 v107, v3
	v_pk_fma_f32 v[0:1], v[58:59], v[104:105], v[0:1] op_sel_hi:[0,1,1]
	v_pk_fma_f32 v[94:95], v[50:51], v[106:107], v[0:1] op_sel_hi:[0,1,1]
	s_andn2_b64 exec, exec, s[10:11]
	s_cbranch_execnz .LBB126_39
; %bb.40:
	s_or_b64 exec, exec, s[10:11]
.LBB126_41:
	s_or_b64 exec, exec, s[8:9]
.LBB126_42:
	s_or_b64 exec, exec, s[2:3]
.LBB126_43:
	v_mov_b32_dpp v6, v101 row_shr:1 row_mask:0xf bank_mask:0xf
	v_add_f32_e32 v6, v101, v6
	v_mov_b32_dpp v0, v96 row_shr:1 row_mask:0xf bank_mask:0xf
	v_mov_b32_dpp v2, v97 row_shr:1 row_mask:0xf bank_mask:0xf
	;; [unrolled: 1-line block ×3, first 2 shown]
	v_add_f32_e32 v7, v6, v7
	v_mov_b32_dpp v6, v98 row_shr:1 row_mask:0xf bank_mask:0xf
	v_add_f32_e32 v6, v98, v6
	v_mov_b32_dpp v4, v100 row_shr:1 row_mask:0xf bank_mask:0xf
	;; [unrolled: 2-line block ×4, first 2 shown]
	v_add_f32_e32 v6, v99, v6
	v_add_f32_e32 v2, v97, v2
	;; [unrolled: 1-line block ×3, first 2 shown]
	v_mov_b32_dpp v8, v6 row_shr:2 row_mask:0xf bank_mask:0xf
	v_add_f32_e32 v13, v6, v8
	v_mov_b32_dpp v6, v94 row_shr:1 row_mask:0xf bank_mask:0xf
	v_add_f32_e32 v6, v94, v6
	v_mov_b32_dpp v1, v0 row_shr:2 row_mask:0xf bank_mask:0xf
	v_mov_b32_dpp v3, v2 row_shr:2 row_mask:0xf bank_mask:0xf
	;; [unrolled: 1-line block ×3, first 2 shown]
	v_add_f32_e32 v16, v6, v8
	v_mov_b32_dpp v6, v95 row_shr:1 row_mask:0xf bank_mask:0xf
	v_add_f32_e32 v6, v95, v6
	v_mov_b32_dpp v5, v4 row_shr:2 row_mask:0xf bank_mask:0xf
	;; [unrolled: 2-line block ×3, first 2 shown]
	v_add_f32_e32 v2, v2, v3
	v_add_f32_e32 v4, v4, v5
	v_add_f32_e32 v18, v6, v8
	v_mov_b32_dpp v1, v0 row_shr:4 row_mask:0xf bank_mask:0xe
	v_mov_b32_dpp v3, v2 row_shr:4 row_mask:0xf bank_mask:0xe
	v_mov_b32_dpp v5, v4 row_shr:4 row_mask:0xf bank_mask:0xe
	v_mov_b32_dpp v9, v7 row_shr:4 row_mask:0xf bank_mask:0xe
	v_mov_b32_dpp v11, v10 row_shr:4 row_mask:0xf bank_mask:0xe
	v_mov_b32_dpp v15, v13 row_shr:4 row_mask:0xf bank_mask:0xe
	v_mov_b32_dpp v17, v16 row_shr:4 row_mask:0xf bank_mask:0xe
	v_mov_b32_dpp v19, v18 row_shr:4 row_mask:0xf bank_mask:0xe
	v_cmp_eq_u32_e32 vcc, 7, v86
	s_and_b64 exec, exec, vcc
	s_cbranch_execz .LBB126_14
; %bb.44:
	s_load_dwordx2 s[2:3], s[4:5], 0x50
	v_add_f32_e32 v8, v0, v1
	v_and_b32_e32 v1, 0x7fffffff, v82
	v_cmp_eq_u32_e32 vcc, 0, v1
	v_cmp_eq_f32_e64 s[0:1], 0, v83
	v_add_f32_e32 v14, v2, v3
	v_add_f32_e32 v6, v4, v5
	;; [unrolled: 1-line block ×7, first 2 shown]
	s_and_b64 s[0:1], vcc, s[0:1]
	v_lshlrev_b32_e32 v16, 2, v84
	s_and_saveexec_b64 s[4:5], s[0:1]
	s_xor_b64 s[0:1], exec, s[4:5]
	s_cbranch_execz .LBB126_46
; %bb.45:
	v_xor_b32_e32 v18, 0x80000000, v81
	v_ashrrev_i32_e32 v17, 31, v16
	v_mov_b32_e32 v19, v80
	v_lshlrev_b64 v[16:17], 3, v[16:17]
	v_pk_mul_f32 v[14:15], v[14:15], v[18:19] op_sel_hi:[0,1]
	s_waitcnt lgkmcnt(0)
	v_mov_b32_e32 v1, s3
	v_add_co_u32_e32 v20, vcc, s2, v16
	v_pk_fma_f32 v[14:15], v[80:81], v[8:9], v[14:15] op_sel_hi:[1,0,1]
	v_pk_mul_f32 v[8:9], v[12:13], v[18:19] op_sel_hi:[0,1]
	v_addc_co_u32_e32 v21, vcc, v1, v17, vcc
	v_pk_fma_f32 v[16:17], v[80:81], v[6:7], v[8:9] op_sel_hi:[1,0,1]
	v_pk_mul_f32 v[6:7], v[10:11], v[18:19] op_sel_hi:[0,1]
	v_pk_mul_f32 v[4:5], v[4:5], v[18:19] op_sel_hi:[0,1]
	v_pk_fma_f32 v[2:3], v[80:81], v[2:3], v[6:7] op_sel_hi:[1,0,1]
	v_pk_fma_f32 v[4:5], v[80:81], v[0:1], v[4:5] op_sel_hi:[1,0,1]
	global_store_dwordx4 v[20:21], v[14:17], off
	global_store_dwordx4 v[20:21], v[2:5], off offset:16
                                        ; implicit-def: $vgpr81
                                        ; implicit-def: $vgpr82
                                        ; implicit-def: $vgpr8
                                        ; implicit-def: $vgpr14
                                        ; implicit-def: $vgpr6
                                        ; implicit-def: $vgpr12
                                        ; implicit-def: $vgpr2
                                        ; implicit-def: $vgpr10
                                        ; implicit-def: $vgpr0
                                        ; implicit-def: $vgpr4
                                        ; implicit-def: $vgpr16
.LBB126_46:
	s_andn2_saveexec_b64 s[0:1], s[0:1]
	s_cbranch_execz .LBB126_14
; %bb.47:
	v_ashrrev_i32_e32 v17, 31, v16
	v_lshlrev_b64 v[16:17], 3, v[16:17]
	s_waitcnt lgkmcnt(0)
	v_mov_b32_e32 v1, s3
	v_add_co_u32_e32 v24, vcc, s2, v16
	v_addc_co_u32_e32 v25, vcc, v1, v17, vcc
	global_load_dwordx4 v[16:19], v[24:25], off
	global_load_dwordx4 v[20:23], v[24:25], off offset:16
	v_xor_b32_e32 v26, 0x80000000, v81
	v_mov_b32_e32 v27, v80
	v_pk_mul_f32 v[14:15], v[14:15], v[26:27] op_sel_hi:[0,1]
	v_pk_mul_f32 v[12:13], v[12:13], v[26:27] op_sel_hi:[0,1]
	;; [unrolled: 1-line block ×4, first 2 shown]
	v_pk_fma_f32 v[8:9], v[80:81], v[8:9], v[14:15] op_sel_hi:[1,0,1]
	v_pk_fma_f32 v[6:7], v[80:81], v[6:7], v[12:13] op_sel_hi:[1,0,1]
	v_xor_b32_e32 v28, 0x80000000, v83
	v_mov_b32_e32 v29, v82
	v_pk_fma_f32 v[2:3], v[80:81], v[2:3], v[10:11] op_sel_hi:[1,0,1]
	v_pk_fma_f32 v[0:1], v[80:81], v[0:1], v[4:5] op_sel_hi:[1,0,1]
	s_waitcnt vmcnt(1)
	v_pk_fma_f32 v[4:5], v[82:83], v[16:17], v[8:9] op_sel_hi:[1,0,1]
	v_pk_fma_f32 v[6:7], v[82:83], v[18:19], v[6:7] op_sel_hi:[1,0,1]
	v_mov_b32_e32 v8, v19
	s_waitcnt vmcnt(0)
	v_pk_fma_f32 v[10:11], v[82:83], v[20:21], v[2:3] op_sel_hi:[1,0,1]
	v_pk_fma_f32 v[12:13], v[82:83], v[22:23], v[0:1] op_sel_hi:[1,0,1]
	v_mov_b32_e32 v14, v23
	v_pk_fma_f32 v[0:1], v[28:29], v[16:17], v[4:5] op_sel:[0,1,0]
	v_pk_fma_f32 v[2:3], v[28:29], v[8:9], v[6:7] op_sel_hi:[1,0,1]
	v_pk_fma_f32 v[4:5], v[28:29], v[20:21], v[10:11] op_sel:[0,1,0]
	v_pk_fma_f32 v[6:7], v[28:29], v[14:15], v[12:13] op_sel_hi:[1,0,1]
	global_store_dwordx4 v[24:25], v[0:3], off
	global_store_dwordx4 v[24:25], v[4:7], off offset:16
	s_endpgm
	.section	.rodata,"a",@progbits
	.p2align	6, 0x0
	.amdhsa_kernel _ZN9rocsparseL18bsrxmvn_4x4_kernelILj128ELj8E21rocsparse_complex_numIfElifS2_S2_EEvT3_20rocsparse_direction_NS_24const_host_device_scalarIT1_EES3_PKS3_PKT2_SC_S9_PKT4_PKT5_S7_PT6_21rocsparse_index_base_b
		.amdhsa_group_segment_fixed_size 0
		.amdhsa_private_segment_fixed_size 0
		.amdhsa_kernarg_size 96
		.amdhsa_user_sgpr_count 6
		.amdhsa_user_sgpr_private_segment_buffer 1
		.amdhsa_user_sgpr_dispatch_ptr 0
		.amdhsa_user_sgpr_queue_ptr 0
		.amdhsa_user_sgpr_kernarg_segment_ptr 1
		.amdhsa_user_sgpr_dispatch_id 0
		.amdhsa_user_sgpr_flat_scratch_init 0
		.amdhsa_user_sgpr_kernarg_preload_length 0
		.amdhsa_user_sgpr_kernarg_preload_offset 0
		.amdhsa_user_sgpr_private_segment_size 0
		.amdhsa_uses_dynamic_stack 0
		.amdhsa_system_sgpr_private_segment_wavefront_offset 0
		.amdhsa_system_sgpr_workgroup_id_x 1
		.amdhsa_system_sgpr_workgroup_id_y 0
		.amdhsa_system_sgpr_workgroup_id_z 0
		.amdhsa_system_sgpr_workgroup_info 0
		.amdhsa_system_vgpr_workitem_id 0
		.amdhsa_next_free_vgpr 128
		.amdhsa_next_free_sgpr 18
		.amdhsa_accum_offset 128
		.amdhsa_reserve_vcc 1
		.amdhsa_reserve_flat_scratch 0
		.amdhsa_float_round_mode_32 0
		.amdhsa_float_round_mode_16_64 0
		.amdhsa_float_denorm_mode_32 3
		.amdhsa_float_denorm_mode_16_64 3
		.amdhsa_dx10_clamp 1
		.amdhsa_ieee_mode 1
		.amdhsa_fp16_overflow 0
		.amdhsa_tg_split 0
		.amdhsa_exception_fp_ieee_invalid_op 0
		.amdhsa_exception_fp_denorm_src 0
		.amdhsa_exception_fp_ieee_div_zero 0
		.amdhsa_exception_fp_ieee_overflow 0
		.amdhsa_exception_fp_ieee_underflow 0
		.amdhsa_exception_fp_ieee_inexact 0
		.amdhsa_exception_int_div_zero 0
	.end_amdhsa_kernel
	.section	.text._ZN9rocsparseL18bsrxmvn_4x4_kernelILj128ELj8E21rocsparse_complex_numIfElifS2_S2_EEvT3_20rocsparse_direction_NS_24const_host_device_scalarIT1_EES3_PKS3_PKT2_SC_S9_PKT4_PKT5_S7_PT6_21rocsparse_index_base_b,"axG",@progbits,_ZN9rocsparseL18bsrxmvn_4x4_kernelILj128ELj8E21rocsparse_complex_numIfElifS2_S2_EEvT3_20rocsparse_direction_NS_24const_host_device_scalarIT1_EES3_PKS3_PKT2_SC_S9_PKT4_PKT5_S7_PT6_21rocsparse_index_base_b,comdat
.Lfunc_end126:
	.size	_ZN9rocsparseL18bsrxmvn_4x4_kernelILj128ELj8E21rocsparse_complex_numIfElifS2_S2_EEvT3_20rocsparse_direction_NS_24const_host_device_scalarIT1_EES3_PKS3_PKT2_SC_S9_PKT4_PKT5_S7_PT6_21rocsparse_index_base_b, .Lfunc_end126-_ZN9rocsparseL18bsrxmvn_4x4_kernelILj128ELj8E21rocsparse_complex_numIfElifS2_S2_EEvT3_20rocsparse_direction_NS_24const_host_device_scalarIT1_EES3_PKS3_PKT2_SC_S9_PKT4_PKT5_S7_PT6_21rocsparse_index_base_b
                                        ; -- End function
	.section	.AMDGPU.csdata,"",@progbits
; Kernel info:
; codeLenInByte = 7124
; NumSgprs: 22
; NumVgprs: 128
; NumAgprs: 0
; TotalNumVgprs: 128
; ScratchSize: 0
; MemoryBound: 0
; FloatMode: 240
; IeeeMode: 1
; LDSByteSize: 0 bytes/workgroup (compile time only)
; SGPRBlocks: 2
; VGPRBlocks: 15
; NumSGPRsForWavesPerEU: 22
; NumVGPRsForWavesPerEU: 128
; AccumOffset: 128
; Occupancy: 4
; WaveLimiterHint : 1
; COMPUTE_PGM_RSRC2:SCRATCH_EN: 0
; COMPUTE_PGM_RSRC2:USER_SGPR: 6
; COMPUTE_PGM_RSRC2:TRAP_HANDLER: 0
; COMPUTE_PGM_RSRC2:TGID_X_EN: 1
; COMPUTE_PGM_RSRC2:TGID_Y_EN: 0
; COMPUTE_PGM_RSRC2:TGID_Z_EN: 0
; COMPUTE_PGM_RSRC2:TIDIG_COMP_CNT: 0
; COMPUTE_PGM_RSRC3_GFX90A:ACCUM_OFFSET: 31
; COMPUTE_PGM_RSRC3_GFX90A:TG_SPLIT: 0
	.section	.text._ZN9rocsparseL18bsrxmvn_4x4_kernelILj128ELj16E21rocsparse_complex_numIfElifS2_S2_EEvT3_20rocsparse_direction_NS_24const_host_device_scalarIT1_EES3_PKS3_PKT2_SC_S9_PKT4_PKT5_S7_PT6_21rocsparse_index_base_b,"axG",@progbits,_ZN9rocsparseL18bsrxmvn_4x4_kernelILj128ELj16E21rocsparse_complex_numIfElifS2_S2_EEvT3_20rocsparse_direction_NS_24const_host_device_scalarIT1_EES3_PKS3_PKT2_SC_S9_PKT4_PKT5_S7_PT6_21rocsparse_index_base_b,comdat
	.globl	_ZN9rocsparseL18bsrxmvn_4x4_kernelILj128ELj16E21rocsparse_complex_numIfElifS2_S2_EEvT3_20rocsparse_direction_NS_24const_host_device_scalarIT1_EES3_PKS3_PKT2_SC_S9_PKT4_PKT5_S7_PT6_21rocsparse_index_base_b ; -- Begin function _ZN9rocsparseL18bsrxmvn_4x4_kernelILj128ELj16E21rocsparse_complex_numIfElifS2_S2_EEvT3_20rocsparse_direction_NS_24const_host_device_scalarIT1_EES3_PKS3_PKT2_SC_S9_PKT4_PKT5_S7_PT6_21rocsparse_index_base_b
	.p2align	8
	.type	_ZN9rocsparseL18bsrxmvn_4x4_kernelILj128ELj16E21rocsparse_complex_numIfElifS2_S2_EEvT3_20rocsparse_direction_NS_24const_host_device_scalarIT1_EES3_PKS3_PKT2_SC_S9_PKT4_PKT5_S7_PT6_21rocsparse_index_base_b,@function
_ZN9rocsparseL18bsrxmvn_4x4_kernelILj128ELj16E21rocsparse_complex_numIfElifS2_S2_EEvT3_20rocsparse_direction_NS_24const_host_device_scalarIT1_EES3_PKS3_PKT2_SC_S9_PKT4_PKT5_S7_PT6_21rocsparse_index_base_b: ; @_ZN9rocsparseL18bsrxmvn_4x4_kernelILj128ELj16E21rocsparse_complex_numIfElifS2_S2_EEvT3_20rocsparse_direction_NS_24const_host_device_scalarIT1_EES3_PKS3_PKT2_SC_S9_PKT4_PKT5_S7_PT6_21rocsparse_index_base_b
; %bb.0:
	s_load_dwordx2 s[16:17], s[4:5], 0x58
	s_load_dwordx2 s[8:9], s[4:5], 0x8
	;; [unrolled: 1-line block ×3, first 2 shown]
	s_waitcnt lgkmcnt(0)
	s_bitcmp1_b32 s17, 0
	s_cselect_b64 s[0:1], -1, 0
	s_xor_b64 s[10:11], s[0:1], -1
	s_and_b64 vcc, exec, s[0:1]
	v_mov_b32_e32 v80, s8
	s_cbranch_vccnz .LBB127_2
; %bb.1:
	v_pk_mov_b32 v[2:3], s[8:9], s[8:9] op_sel:[0,1]
	flat_load_dword v80, v[2:3]
.LBB127_2:
	v_cndmask_b32_e64 v1, 0, 1, s[10:11]
	v_cmp_ne_u32_e64 s[0:1], 1, v1
	s_andn2_b64 vcc, exec, s[10:11]
	v_mov_b32_e32 v81, s9
	s_cbranch_vccz .LBB127_15
; %bb.3:
	s_and_b64 vcc, exec, s[0:1]
	v_mov_b32_e32 v82, s2
	s_cbranch_vccz .LBB127_16
.LBB127_4:
	s_and_b64 vcc, exec, s[0:1]
	v_mov_b32_e32 v83, s3
	s_cbranch_vccnz .LBB127_6
.LBB127_5:
	v_pk_mov_b32 v[2:3], s[2:3], s[2:3] op_sel:[0,1]
	flat_load_dword v83, v[2:3] offset:4
.LBB127_6:
	s_waitcnt vmcnt(0) lgkmcnt(0)
	v_and_b32_e32 v1, 0x7fffffff, v80
	v_cmp_eq_u32_e32 vcc, 0, v1
	v_cmp_eq_f32_e64 s[0:1], 0, v81
	s_and_b64 s[8:9], vcc, s[0:1]
	s_mov_b64 s[0:1], -1
	s_and_saveexec_b64 s[2:3], s[8:9]
; %bb.7:
	v_and_b32_e32 v1, 0x7fffffff, v83
	v_cmp_neq_f32_e32 vcc, 1.0, v82
	v_cmp_ne_u32_e64 s[0:1], 0, v1
	s_or_b64 s[0:1], vcc, s[0:1]
	s_orn2_b64 s[0:1], s[0:1], exec
; %bb.8:
	s_or_b64 exec, exec, s[2:3]
	s_and_saveexec_b64 s[2:3], s[0:1]
	s_cbranch_execz .LBB127_14
; %bb.9:
	s_load_dwordx2 s[8:9], s[4:5], 0x18
	s_load_dwordx2 s[0:1], s[4:5], 0x0
	v_lshrrev_b32_e32 v1, 4, v0
	v_lshl_or_b32 v84, s6, 3, v1
	s_mov_b64 s[2:3], 0
	s_waitcnt lgkmcnt(0)
	s_cmp_lg_u64 s[8:9], 0
	s_cbranch_scc0 .LBB127_17
; %bb.10:
	s_load_dword s6, s[4:5], 0x10
                                        ; implicit-def: $vgpr1
	s_waitcnt lgkmcnt(0)
	v_cmp_gt_i32_e32 vcc, s6, v84
	s_and_saveexec_b64 s[6:7], vcc
	s_xor_b64 s[6:7], exec, s[6:7]
	s_cbranch_execz .LBB127_12
; %bb.11:
	v_ashrrev_i32_e32 v85, 31, v84
	v_lshlrev_b64 v[2:3], 2, v[84:85]
	v_mov_b32_e32 v1, s9
	v_add_co_u32_e32 v2, vcc, s8, v2
	v_addc_co_u32_e32 v3, vcc, v1, v3, vcc
	global_load_dword v1, v[2:3], off
	s_mov_b64 s[2:3], exec
	s_waitcnt vmcnt(0)
	v_subrev_u32_e32 v1, s16, v1
.LBB127_12:
	s_or_b64 exec, exec, s[6:7]
	s_branch .LBB127_18
.LBB127_13:
	v_cmp_gt_i32_e32 vcc, s0, v84
	s_andn2_b64 s[2:3], s[2:3], exec
	s_and_b64 s[6:7], vcc, exec
	s_or_b64 s[2:3], s[2:3], s[6:7]
	s_and_b64 exec, exec, s[2:3]
	s_cbranch_execnz .LBB127_19
.LBB127_14:
	s_endpgm
.LBB127_15:
	v_pk_mov_b32 v[2:3], s[8:9], s[8:9] op_sel:[0,1]
	flat_load_dword v81, v[2:3] offset:4
	s_and_b64 vcc, exec, s[0:1]
	v_mov_b32_e32 v82, s2
	s_cbranch_vccnz .LBB127_4
.LBB127_16:
	v_pk_mov_b32 v[2:3], s[2:3], s[2:3] op_sel:[0,1]
	flat_load_dword v82, v[2:3]
	s_and_b64 vcc, exec, s[0:1]
	v_mov_b32_e32 v83, s3
	s_cbranch_vccz .LBB127_5
	s_branch .LBB127_6
.LBB127_17:
                                        ; implicit-def: $vgpr1
	s_cbranch_execnz .LBB127_13
.LBB127_18:
	v_mov_b32_e32 v84, v1
	s_and_b64 exec, exec, s[2:3]
	s_cbranch_execz .LBB127_14
.LBB127_19:
	s_load_dwordx8 s[8:15], s[4:5], 0x20
	v_ashrrev_i32_e32 v85, 31, v84
	v_lshlrev_b64 v[2:3], 3, v[84:85]
	v_and_b32_e32 v86, 15, v0
	s_load_dwordx2 s[6:7], s[4:5], 0x40
	s_waitcnt lgkmcnt(0)
	v_mov_b32_e32 v1, s9
	v_add_co_u32_e32 v4, vcc, s8, v2
	v_addc_co_u32_e32 v5, vcc, v1, v3, vcc
	v_add_co_u32_e32 v1, vcc, 8, v4
	global_load_dwordx2 v[12:13], v[4:5], off
	v_addc_co_u32_e32 v4, vcc, 0, v5, vcc
	v_mov_b32_e32 v5, s11
	v_add_co_u32_e32 v2, vcc, s10, v2
	s_cmp_eq_u64 s[10:11], 0
	v_addc_co_u32_e32 v3, vcc, v5, v3, vcc
	s_cselect_b64 vcc, -1, 0
	v_cndmask_b32_e32 v3, v3, v4, vcc
	v_cndmask_b32_e32 v2, v2, v1, vcc
	global_load_dwordx2 v[2:3], v[2:3], off
	v_mov_b32_e32 v4, s15
	s_mov_b32 s17, 0
	v_mov_b32_e32 v99, 0
	s_cmp_eq_u32 s1, 1
	s_waitcnt vmcnt(1)
	v_subrev_co_u32_e32 v0, vcc, s16, v12
	v_subbrev_co_u32_e32 v1, vcc, 0, v13, vcc
	v_add_co_u32_e32 v88, vcc, v0, v86
	v_addc_co_u32_e32 v89, vcc, 0, v1, vcc
	v_lshlrev_b64 v[0:1], 6, v[88:89]
	s_waitcnt vmcnt(0)
	v_subrev_co_u32_e32 v90, vcc, s16, v2
	v_subbrev_co_u32_e32 v91, vcc, 0, v3, vcc
	v_add_co_u32_e32 v92, vcc, s14, v0
	v_addc_co_u32_e32 v93, vcc, v4, v1, vcc
	v_cmp_lt_i64_e64 s[0:1], v[88:89], v[90:91]
	s_cbranch_scc1 .LBB127_31
; %bb.20:
	v_mov_b32_e32 v98, 0
	v_mov_b32_e32 v101, 0
	;; [unrolled: 1-line block ×7, first 2 shown]
	s_and_saveexec_b64 s[8:9], s[0:1]
	s_cbranch_execz .LBB127_30
; %bb.21:
	v_or_b32_e32 v0, 16, v86
	v_mov_b32_e32 v1, s17
	v_subrev_co_u32_e32 v0, vcc, s16, v0
	v_subb_co_u32_e32 v1, vcc, 0, v1, vcc
	v_add_co_u32_e32 v0, vcc, v0, v12
	v_addc_co_u32_e32 v1, vcc, v1, v13, vcc
	v_cmp_gt_i64_e32 vcc, v[0:1], v[90:91]
	v_cndmask_b32_e32 v1, v91, v1, vcc
	v_cndmask_b32_e32 v0, v90, v0, vcc
	v_mov_b32_e32 v4, s17
	v_sub_co_u32_e32 v5, vcc, s16, v86
	v_not_b32_e32 v3, v12
	v_subbrev_co_u32_e32 v4, vcc, 0, v4, vcc
	v_not_b32_e32 v2, v13
	v_add_co_u32_e32 v3, vcc, v5, v3
	v_addc_co_u32_e32 v2, vcc, v4, v2, vcc
	v_add_co_u32_e32 v0, vcc, v3, v0
	v_addc_co_u32_e32 v1, vcc, v2, v1, vcc
	v_lshrrev_b32_e32 v2, 4, v0
	v_add_u32_e32 v2, 1, v2
	v_and_b32_e32 v2, 3, v2
	v_mov_b32_e32 v94, 0
	v_cmp_ne_u32_e32 vcc, 0, v2
	v_mov_b32_e32 v95, v94
	v_mov_b32_e32 v96, v94
	;; [unrolled: 1-line block ×7, first 2 shown]
	v_pk_mov_b32 v[14:15], v[92:93], v[92:93] op_sel:[0,1]
	v_pk_mov_b32 v[16:17], v[88:89], v[88:89] op_sel:[0,1]
	s_and_saveexec_b64 s[2:3], vcc
	s_cbranch_execz .LBB127_25
; %bb.22:
	v_lshlrev_b64 v[4:5], 2, v[88:89]
	v_mov_b32_e32 v3, 0
	v_mov_b32_e32 v6, s13
	v_add_co_u32_e32 v4, vcc, s12, v4
	v_lshlrev_b32_e32 v2, 2, v2
	v_addc_co_u32_e32 v5, vcc, v6, v5, vcc
	s_mov_b64 s[10:11], 0
	s_movk_i32 s14, 0x400
	v_mov_b32_e32 v10, s7
	v_bfrev_b32_e32 v6, 1
	v_pk_mov_b32 v[8:9], v[2:3], v[2:3] op_sel:[0,1]
	v_pk_mov_b32 v[16:17], v[88:89], v[88:89] op_sel:[0,1]
	;; [unrolled: 1-line block ×3, first 2 shown]
	v_mov_b32_e32 v94, v3
	v_mov_b32_e32 v95, v3
	;; [unrolled: 1-line block ×8, first 2 shown]
.LBB127_23:                             ; =>This Inner Loop Header: Depth=1
	global_load_dword v2, v[4:5], off
	global_load_dwordx4 v[18:21], v[14:15], off offset:16
	global_load_dwordx4 v[22:25], v[14:15], off
	s_waitcnt vmcnt(2)
	v_subrev_u32_e32 v2, s16, v2
	v_lshlrev_b32_e32 v26, 2, v2
	v_ashrrev_i32_e32 v27, 31, v26
	v_lshlrev_b64 v[26:27], 3, v[26:27]
	v_add_co_u32_e32 v42, vcc, s6, v26
	v_addc_co_u32_e32 v43, vcc, v10, v27, vcc
	global_load_dwordx4 v[26:29], v[42:43], off
	global_load_dwordx4 v[30:33], v[42:43], off offset:16
	global_load_dwordx4 v[34:37], v[14:15], off offset:32
	;; [unrolled: 1-line block ×3, first 2 shown]
	s_waitcnt vmcnt(4)
	v_mov_b32_e32 v2, v22
	v_mov_b32_e32 v7, v22
	v_add_co_u32_e32 v14, vcc, s14, v14
	v_addc_co_u32_e32 v15, vcc, 0, v15, vcc
	v_add_co_u32_e32 v16, vcc, 16, v16
	v_addc_co_u32_e32 v17, vcc, 0, v17, vcc
	;; [unrolled: 2-line block ×3, first 2 shown]
	v_add_co_u32_e32 v8, vcc, -4, v8
	v_addc_co_u32_e32 v9, vcc, -1, v9, vcc
	v_cmp_eq_u64_e32 vcc, 0, v[8:9]
	s_or_b64 s[10:11], vcc, s[10:11]
	s_waitcnt vmcnt(3)
	v_pk_fma_f32 v[42:43], v[26:27], v[2:3], v[98:99] op_sel_hi:[0,1,1]
	v_mov_b32_e32 v2, v23
	v_pk_fma_f32 v[42:43], v[26:27], v[6:7], v[42:43] op_sel:[1,0,0]
	v_mov_b32_e32 v22, v29
	v_mov_b32_e32 v7, v23
	v_pk_fma_f32 v[42:43], v[28:29], v[2:3], v[42:43] op_sel_hi:[0,1,1]
	v_mov_b32_e32 v2, v24
	v_pk_fma_f32 v[42:43], v[22:23], v[6:7], v[42:43] op_sel_hi:[0,1,1]
	v_mov_b32_e32 v7, v24
	s_waitcnt vmcnt(2)
	v_pk_fma_f32 v[42:43], v[30:31], v[2:3], v[42:43] op_sel_hi:[0,1,1]
	v_mov_b32_e32 v2, v25
	v_pk_fma_f32 v[42:43], v[30:31], v[6:7], v[42:43] op_sel:[1,0,0]
	v_mov_b32_e32 v44, v33
	v_mov_b32_e32 v7, v25
	v_pk_fma_f32 v[24:25], v[32:33], v[2:3], v[42:43] op_sel_hi:[0,1,1]
	v_mov_b32_e32 v2, v18
	v_pk_fma_f32 v[98:99], v[44:45], v[6:7], v[24:25] op_sel_hi:[0,1,1]
	v_pk_fma_f32 v[24:25], v[26:27], v[2:3], v[100:101] op_sel_hi:[0,1,1]
	v_mov_b32_e32 v7, v18
	v_mov_b32_e32 v2, v19
	v_pk_fma_f32 v[24:25], v[26:27], v[6:7], v[24:25] op_sel:[1,0,0]
	v_mov_b32_e32 v7, v19
	v_pk_fma_f32 v[18:19], v[28:29], v[2:3], v[24:25] op_sel_hi:[0,1,1]
	v_mov_b32_e32 v2, v20
	v_pk_fma_f32 v[18:19], v[22:23], v[6:7], v[18:19] op_sel_hi:[0,1,1]
	;; [unrolled: 2-line block ×3, first 2 shown]
	v_mov_b32_e32 v2, v21
	v_pk_fma_f32 v[18:19], v[30:31], v[6:7], v[18:19] op_sel:[1,0,0]
	v_mov_b32_e32 v7, v21
	v_pk_fma_f32 v[18:19], v[32:33], v[2:3], v[18:19] op_sel_hi:[0,1,1]
	s_waitcnt vmcnt(1)
	v_mov_b32_e32 v2, v34
	v_pk_fma_f32 v[100:101], v[44:45], v[6:7], v[18:19] op_sel_hi:[0,1,1]
	v_pk_fma_f32 v[18:19], v[26:27], v[2:3], v[96:97] op_sel_hi:[0,1,1]
	v_mov_b32_e32 v7, v34
	v_mov_b32_e32 v2, v35
	v_pk_fma_f32 v[18:19], v[26:27], v[6:7], v[18:19] op_sel:[1,0,0]
	v_mov_b32_e32 v7, v35
	v_pk_fma_f32 v[18:19], v[28:29], v[2:3], v[18:19] op_sel_hi:[0,1,1]
	v_mov_b32_e32 v2, v36
	v_pk_fma_f32 v[18:19], v[22:23], v[6:7], v[18:19] op_sel_hi:[0,1,1]
	;; [unrolled: 2-line block ×3, first 2 shown]
	v_mov_b32_e32 v2, v37
	v_pk_fma_f32 v[18:19], v[30:31], v[6:7], v[18:19] op_sel:[1,0,0]
	v_mov_b32_e32 v7, v37
	v_pk_fma_f32 v[18:19], v[32:33], v[2:3], v[18:19] op_sel_hi:[0,1,1]
	s_waitcnt vmcnt(0)
	v_mov_b32_e32 v2, v38
	v_pk_fma_f32 v[96:97], v[44:45], v[6:7], v[18:19] op_sel_hi:[0,1,1]
	v_pk_fma_f32 v[18:19], v[26:27], v[2:3], v[94:95] op_sel_hi:[0,1,1]
	v_mov_b32_e32 v7, v38
	v_mov_b32_e32 v2, v39
	v_pk_fma_f32 v[18:19], v[26:27], v[6:7], v[18:19] op_sel:[1,0,0]
	v_mov_b32_e32 v7, v39
	v_pk_fma_f32 v[18:19], v[28:29], v[2:3], v[18:19] op_sel_hi:[0,1,1]
	v_mov_b32_e32 v2, v40
	v_pk_fma_f32 v[18:19], v[22:23], v[6:7], v[18:19] op_sel_hi:[0,1,1]
	;; [unrolled: 2-line block ×3, first 2 shown]
	v_mov_b32_e32 v2, v41
	v_pk_fma_f32 v[18:19], v[30:31], v[6:7], v[18:19] op_sel:[1,0,0]
	v_mov_b32_e32 v7, v41
	v_pk_fma_f32 v[18:19], v[32:33], v[2:3], v[18:19] op_sel_hi:[0,1,1]
	v_pk_fma_f32 v[94:95], v[44:45], v[6:7], v[18:19] op_sel_hi:[0,1,1]
	s_andn2_b64 exec, exec, s[10:11]
	s_cbranch_execnz .LBB127_23
; %bb.24:
	s_or_b64 exec, exec, s[10:11]
.LBB127_25:
	s_or_b64 exec, exec, s[2:3]
	v_cmp_lt_u64_e32 vcc, 47, v[0:1]
	s_and_saveexec_b64 s[10:11], vcc
	s_cbranch_execz .LBB127_29
; %bb.26:
	v_lshlrev_b64 v[0:1], 2, v[16:17]
	v_mov_b32_e32 v2, s13
	v_add_co_u32_e32 v0, vcc, s12, v0
	v_addc_co_u32_e32 v1, vcc, v1, v2, vcc
	v_add_co_u32_e32 v18, vcc, 0x80, v0
	v_addc_co_u32_e32 v19, vcc, 0, v1, vcc
	s_mov_b64 s[14:15], 0
	v_mov_b32_e32 v28, s7
	v_mov_b32_e32 v21, 0
	v_bfrev_b32_e32 v22, 1
.LBB127_27:                             ; =>This Inner Loop Header: Depth=1
	global_load_dword v0, v[18:19], off offset:-128
	s_waitcnt vmcnt(0)
	v_subrev_u32_e32 v0, s16, v0
	v_lshlrev_b32_e32 v4, 2, v0
	v_ashrrev_i32_e32 v5, 31, v4
	v_lshlrev_b64 v[4:5], 3, v[4:5]
	v_add_co_u32_e32 v4, vcc, s6, v4
	v_addc_co_u32_e32 v5, vcc, v28, v5, vcc
	global_load_dwordx4 v[0:3], v[14:15], off offset:48
	global_load_dwordx4 v[24:27], v[14:15], off offset:32
	;; [unrolled: 1-line block ×3, first 2 shown]
	global_load_dwordx4 v[34:37], v[14:15], off
	global_load_dwordx4 v[38:41], v[4:5], off offset:16
	global_load_dwordx4 v[42:45], v[4:5], off
	global_load_dword v6, v[18:19], off offset:-64
	global_load_dwordx4 v[46:49], v[14:15], off offset:1072
	global_load_dwordx4 v[50:53], v[14:15], off offset:1056
	;; [unrolled: 1-line block ×4, first 2 shown]
	s_waitcnt vmcnt(7)
	v_mov_b32_e32 v20, v34
	s_waitcnt vmcnt(4)
	v_subrev_u32_e32 v4, s16, v6
	v_lshlrev_b32_e32 v4, 2, v4
	v_ashrrev_i32_e32 v5, 31, v4
	v_lshlrev_b64 v[4:5], 3, v[4:5]
	v_add_co_u32_e32 v62, vcc, s6, v4
	v_addc_co_u32_e32 v63, vcc, v28, v5, vcc
	global_load_dwordx4 v[4:7], v[62:63], off offset:16
	global_load_dwordx4 v[8:11], v[62:63], off
	v_pk_fma_f32 v[62:63], v[42:43], v[20:21], v[98:99] op_sel_hi:[0,1,1]
	v_mov_b32_e32 v23, v34
	v_pk_fma_f32 v[62:63], v[42:43], v[22:23], v[62:63] op_sel:[1,0,0]
	v_mov_b32_e32 v20, v35
	v_pk_fma_f32 v[62:63], v[44:45], v[20:21], v[62:63] op_sel_hi:[0,1,1]
	v_mov_b32_e32 v34, v45
	v_mov_b32_e32 v23, v35
	v_pk_fma_f32 v[62:63], v[34:35], v[22:23], v[62:63] op_sel_hi:[0,1,1]
	v_mov_b32_e32 v20, v36
	v_pk_fma_f32 v[62:63], v[38:39], v[20:21], v[62:63] op_sel_hi:[0,1,1]
	v_mov_b32_e32 v23, v36
	v_pk_fma_f32 v[62:63], v[38:39], v[22:23], v[62:63] op_sel:[1,0,0]
	v_mov_b32_e32 v20, v37
	v_pk_fma_f32 v[62:63], v[40:41], v[20:21], v[62:63] op_sel_hi:[0,1,1]
	v_mov_b32_e32 v36, v41
	v_mov_b32_e32 v23, v37
	v_pk_fma_f32 v[62:63], v[36:37], v[22:23], v[62:63] op_sel_hi:[0,1,1]
	s_waitcnt vmcnt(2)
	v_mov_b32_e32 v20, v58
	v_mov_b32_e32 v23, v58
	s_waitcnt vmcnt(0)
	v_pk_fma_f32 v[62:63], v[8:9], v[20:21], v[62:63] op_sel_hi:[0,1,1]
	v_mov_b32_e32 v20, v30
	v_pk_fma_f32 v[66:67], v[8:9], v[22:23], v[62:63] op_sel:[1,0,0]
	v_pk_fma_f32 v[62:63], v[42:43], v[20:21], v[100:101] op_sel_hi:[0,1,1]
	v_mov_b32_e32 v23, v30
	v_pk_fma_f32 v[62:63], v[42:43], v[22:23], v[62:63] op_sel:[1,0,0]
	v_mov_b32_e32 v20, v31
	v_pk_fma_f32 v[62:63], v[44:45], v[20:21], v[62:63] op_sel_hi:[0,1,1]
	v_mov_b32_e32 v23, v31
	v_pk_fma_f32 v[30:31], v[34:35], v[22:23], v[62:63] op_sel_hi:[0,1,1]
	v_mov_b32_e32 v20, v32
	v_pk_fma_f32 v[30:31], v[38:39], v[20:21], v[30:31] op_sel_hi:[0,1,1]
	v_mov_b32_e32 v23, v32
	v_pk_fma_f32 v[30:31], v[38:39], v[22:23], v[30:31] op_sel:[1,0,0]
	v_mov_b32_e32 v20, v33
	v_pk_fma_f32 v[30:31], v[40:41], v[20:21], v[30:31] op_sel_hi:[0,1,1]
	v_mov_b32_e32 v23, v33
	v_pk_fma_f32 v[30:31], v[36:37], v[22:23], v[30:31] op_sel_hi:[0,1,1]
	v_mov_b32_e32 v20, v54
	v_pk_fma_f32 v[30:31], v[8:9], v[20:21], v[30:31] op_sel_hi:[0,1,1]
	v_mov_b32_e32 v23, v54
	v_mov_b32_e32 v20, v24
	v_pk_fma_f32 v[68:69], v[8:9], v[22:23], v[30:31] op_sel:[1,0,0]
	v_pk_fma_f32 v[30:31], v[42:43], v[20:21], v[96:97] op_sel_hi:[0,1,1]
	v_mov_b32_e32 v23, v24
	v_pk_fma_f32 v[30:31], v[42:43], v[22:23], v[30:31] op_sel:[1,0,0]
	v_mov_b32_e32 v20, v25
	v_pk_fma_f32 v[30:31], v[44:45], v[20:21], v[30:31] op_sel_hi:[0,1,1]
	v_mov_b32_e32 v23, v25
	v_pk_fma_f32 v[24:25], v[34:35], v[22:23], v[30:31] op_sel_hi:[0,1,1]
	v_mov_b32_e32 v20, v26
	v_pk_fma_f32 v[24:25], v[38:39], v[20:21], v[24:25] op_sel_hi:[0,1,1]
	v_mov_b32_e32 v23, v26
	v_pk_fma_f32 v[24:25], v[38:39], v[22:23], v[24:25] op_sel:[1,0,0]
	v_mov_b32_e32 v20, v27
	v_pk_fma_f32 v[24:25], v[40:41], v[20:21], v[24:25] op_sel_hi:[0,1,1]
	v_mov_b32_e32 v23, v27
	v_pk_fma_f32 v[24:25], v[36:37], v[22:23], v[24:25] op_sel_hi:[0,1,1]
	v_mov_b32_e32 v20, v50
	v_pk_fma_f32 v[24:25], v[8:9], v[20:21], v[24:25] op_sel_hi:[0,1,1]
	v_mov_b32_e32 v23, v50
	v_mov_b32_e32 v20, v0
	v_pk_fma_f32 v[24:25], v[8:9], v[22:23], v[24:25] op_sel:[1,0,0]
	v_pk_fma_f32 v[26:27], v[42:43], v[20:21], v[94:95] op_sel_hi:[0,1,1]
	v_mov_b32_e32 v23, v0
	v_pk_fma_f32 v[26:27], v[42:43], v[22:23], v[26:27] op_sel:[1,0,0]
	v_mov_b32_e32 v20, v1
	v_pk_fma_f32 v[26:27], v[44:45], v[20:21], v[26:27] op_sel_hi:[0,1,1]
	v_mov_b32_e32 v23, v1
	v_pk_fma_f32 v[0:1], v[34:35], v[22:23], v[26:27] op_sel_hi:[0,1,1]
	v_mov_b32_e32 v20, v2
	v_pk_fma_f32 v[0:1], v[38:39], v[20:21], v[0:1] op_sel_hi:[0,1,1]
	v_mov_b32_e32 v23, v2
	v_pk_fma_f32 v[0:1], v[38:39], v[22:23], v[0:1] op_sel:[1,0,0]
	v_mov_b32_e32 v20, v3
	v_pk_fma_f32 v[0:1], v[40:41], v[20:21], v[0:1] op_sel_hi:[0,1,1]
	v_mov_b32_e32 v23, v3
	v_pk_fma_f32 v[0:1], v[36:37], v[22:23], v[0:1] op_sel_hi:[0,1,1]
	v_mov_b32_e32 v20, v46
	v_pk_fma_f32 v[0:1], v[8:9], v[20:21], v[0:1] op_sel_hi:[0,1,1]
	v_mov_b32_e32 v23, v46
	v_pk_fma_f32 v[70:71], v[8:9], v[22:23], v[0:1] op_sel:[1,0,0]
	global_load_dword v0, v[18:19], off
	global_load_dwordx4 v[30:33], v[14:15], off offset:2096
	global_load_dwordx4 v[34:37], v[14:15], off offset:2080
	;; [unrolled: 1-line block ×4, first 2 shown]
	v_mov_b32_e32 v20, v59
	v_mov_b32_e32 v46, v11
	;; [unrolled: 1-line block ×4, first 2 shown]
	s_waitcnt vmcnt(4)
	v_subrev_u32_e32 v0, s16, v0
	v_lshlrev_b32_e32 v0, 2, v0
	v_ashrrev_i32_e32 v1, 31, v0
	v_lshlrev_b64 v[0:1], 3, v[0:1]
	v_add_co_u32_e32 v8, vcc, s6, v0
	v_addc_co_u32_e32 v9, vcc, v28, v1, vcc
	global_load_dwordx4 v[0:3], v[8:9], off offset:16
	global_load_dwordx4 v[62:65], v[8:9], off
	v_pk_fma_f32 v[8:9], v[10:11], v[20:21], v[66:67] op_sel_hi:[0,1,1]
	v_pk_fma_f32 v[8:9], v[46:47], v[22:23], v[8:9] op_sel_hi:[0,1,1]
	v_mov_b32_e32 v20, v60
	v_pk_fma_f32 v[8:9], v[4:5], v[20:21], v[8:9] op_sel_hi:[0,1,1]
	v_mov_b32_e32 v23, v60
	v_pk_fma_f32 v[8:9], v[4:5], v[22:23], v[8:9] op_sel:[1,0,0]
	v_mov_b32_e32 v20, v61
	v_pk_fma_f32 v[8:9], v[6:7], v[20:21], v[8:9] op_sel_hi:[0,1,1]
	v_mov_b32_e32 v23, v61
	v_pk_fma_f32 v[8:9], v[50:51], v[22:23], v[8:9] op_sel_hi:[0,1,1]
	s_waitcnt vmcnt(2)
	v_mov_b32_e32 v20, v42
	v_mov_b32_e32 v23, v42
	s_waitcnt vmcnt(0)
	v_pk_fma_f32 v[8:9], v[62:63], v[20:21], v[8:9] op_sel_hi:[0,1,1]
	v_pk_fma_f32 v[8:9], v[62:63], v[22:23], v[8:9] op_sel:[1,0,0]
	v_mov_b32_e32 v20, v43
	v_pk_fma_f32 v[8:9], v[64:65], v[20:21], v[8:9] op_sel_hi:[0,1,1]
	v_mov_b32_e32 v42, v65
	v_mov_b32_e32 v23, v43
	v_pk_fma_f32 v[8:9], v[42:43], v[22:23], v[8:9] op_sel_hi:[0,1,1]
	v_mov_b32_e32 v20, v44
	v_pk_fma_f32 v[26:27], v[0:1], v[20:21], v[8:9] op_sel_hi:[0,1,1]
	;; [unrolled: 2-line block ×5, first 2 shown]
	v_mov_b32_e32 v23, v56
	v_pk_fma_f32 v[8:9], v[4:5], v[22:23], v[8:9] op_sel:[1,0,0]
	v_mov_b32_e32 v20, v57
	v_pk_fma_f32 v[8:9], v[6:7], v[20:21], v[8:9] op_sel_hi:[0,1,1]
	v_mov_b32_e32 v23, v57
	v_pk_fma_f32 v[8:9], v[50:51], v[22:23], v[8:9] op_sel_hi:[0,1,1]
	;; [unrolled: 2-line block ×3, first 2 shown]
	v_mov_b32_e32 v23, v38
	v_pk_fma_f32 v[8:9], v[62:63], v[22:23], v[8:9] op_sel:[1,0,0]
	v_mov_b32_e32 v20, v39
	v_pk_fma_f32 v[8:9], v[64:65], v[20:21], v[8:9] op_sel_hi:[0,1,1]
	v_mov_b32_e32 v23, v39
	v_pk_fma_f32 v[8:9], v[42:43], v[22:23], v[8:9] op_sel_hi:[0,1,1]
	;; [unrolled: 2-line block ×6, first 2 shown]
	v_mov_b32_e32 v23, v52
	v_pk_fma_f32 v[24:25], v[4:5], v[22:23], v[24:25] op_sel:[1,0,0]
	v_mov_b32_e32 v20, v53
	v_pk_fma_f32 v[24:25], v[6:7], v[20:21], v[24:25] op_sel_hi:[0,1,1]
	v_mov_b32_e32 v23, v53
	v_pk_fma_f32 v[24:25], v[50:51], v[22:23], v[24:25] op_sel_hi:[0,1,1]
	;; [unrolled: 2-line block ×3, first 2 shown]
	v_mov_b32_e32 v23, v34
	v_pk_fma_f32 v[24:25], v[62:63], v[22:23], v[24:25] op_sel:[1,0,0]
	v_mov_b32_e32 v20, v35
	v_pk_fma_f32 v[24:25], v[64:65], v[20:21], v[24:25] op_sel_hi:[0,1,1]
	v_mov_b32_e32 v23, v35
	v_pk_fma_f32 v[24:25], v[42:43], v[22:23], v[24:25] op_sel_hi:[0,1,1]
	;; [unrolled: 2-line block ×6, first 2 shown]
	v_mov_b32_e32 v23, v48
	v_pk_fma_f32 v[4:5], v[4:5], v[22:23], v[10:11] op_sel:[1,0,0]
	v_mov_b32_e32 v20, v49
	v_pk_fma_f32 v[4:5], v[6:7], v[20:21], v[4:5] op_sel_hi:[0,1,1]
	global_load_dword v6, v[18:19], off offset:64
	v_mov_b32_e32 v23, v49
	v_pk_fma_f32 v[4:5], v[50:51], v[22:23], v[4:5] op_sel_hi:[0,1,1]
	v_mov_b32_e32 v20, v30
	v_pk_fma_f32 v[4:5], v[62:63], v[20:21], v[4:5] op_sel_hi:[0,1,1]
	v_mov_b32_e32 v23, v30
	v_pk_fma_f32 v[4:5], v[62:63], v[22:23], v[4:5] op_sel:[1,0,0]
	v_mov_b32_e32 v20, v31
	global_load_dwordx4 v[46:49], v[14:15], off offset:3120
	global_load_dwordx4 v[50:53], v[14:15], off offset:3104
	;; [unrolled: 1-line block ×4, first 2 shown]
	v_pk_fma_f32 v[4:5], v[64:65], v[20:21], v[4:5] op_sel_hi:[0,1,1]
	v_mov_b32_e32 v23, v31
	v_pk_fma_f32 v[4:5], v[42:43], v[22:23], v[4:5] op_sel_hi:[0,1,1]
	v_mov_b32_e32 v20, v32
	v_mov_b32_e32 v23, v44
	v_pk_fma_f32 v[4:5], v[0:1], v[20:21], v[4:5] op_sel_hi:[0,1,1]
	v_mov_b32_e32 v20, v45
	v_mov_b32_e32 v10, v3
	s_waitcnt vmcnt(4)
	v_subrev_u32_e32 v6, s16, v6
	v_lshlrev_b32_e32 v6, 2, v6
	v_ashrrev_i32_e32 v7, 31, v6
	v_lshlrev_b64 v[6:7], 3, v[6:7]
	v_add_co_u32_e32 v6, vcc, s6, v6
	v_addc_co_u32_e32 v7, vcc, v28, v7, vcc
	global_load_dwordx4 v[62:65], v[6:7], off offset:16
	global_load_dwordx4 v[66:69], v[6:7], off
	v_pk_fma_f32 v[6:7], v[0:1], v[22:23], v[26:27] op_sel:[1,0,0]
	v_pk_fma_f32 v[6:7], v[2:3], v[20:21], v[6:7] op_sel_hi:[0,1,1]
	v_mov_b32_e32 v23, v45
	v_pk_fma_f32 v[6:7], v[10:11], v[22:23], v[6:7] op_sel_hi:[0,1,1]
	s_waitcnt vmcnt(2)
	v_mov_b32_e32 v20, v58
	v_mov_b32_e32 v23, v58
	v_add_co_u32_e32 v16, vcc, 64, v16
	v_addc_co_u32_e32 v17, vcc, 0, v17, vcc
	v_add_co_u32_e32 v18, vcc, 0x100, v18
	v_addc_co_u32_e32 v19, vcc, 0, v19, vcc
	v_cmp_ge_i64_e64 s[2:3], v[16:17], v[90:91]
	v_add_co_u32_e32 v14, vcc, 0x1000, v14
	v_addc_co_u32_e32 v15, vcc, 0, v15, vcc
	s_or_b64 s[14:15], s[2:3], s[14:15]
	s_waitcnt vmcnt(1)
	v_mov_b32_e32 v30, v65
	s_waitcnt vmcnt(0)
	v_pk_fma_f32 v[6:7], v[66:67], v[20:21], v[6:7] op_sel_hi:[0,1,1]
	v_pk_fma_f32 v[6:7], v[66:67], v[22:23], v[6:7] op_sel:[1,0,0]
	v_mov_b32_e32 v20, v59
	v_pk_fma_f32 v[6:7], v[68:69], v[20:21], v[6:7] op_sel_hi:[0,1,1]
	v_mov_b32_e32 v26, v69
	v_mov_b32_e32 v23, v59
	v_pk_fma_f32 v[6:7], v[26:27], v[22:23], v[6:7] op_sel_hi:[0,1,1]
	v_mov_b32_e32 v20, v60
	v_pk_fma_f32 v[6:7], v[62:63], v[20:21], v[6:7] op_sel_hi:[0,1,1]
	v_mov_b32_e32 v23, v60
	v_pk_fma_f32 v[6:7], v[62:63], v[22:23], v[6:7] op_sel:[1,0,0]
	v_mov_b32_e32 v20, v61
	v_pk_fma_f32 v[6:7], v[64:65], v[20:21], v[6:7] op_sel_hi:[0,1,1]
	v_mov_b32_e32 v23, v61
	v_pk_fma_f32 v[98:99], v[30:31], v[22:23], v[6:7] op_sel_hi:[0,1,1]
	v_mov_b32_e32 v23, v40
	v_pk_fma_f32 v[6:7], v[0:1], v[22:23], v[8:9] op_sel:[1,0,0]
	v_mov_b32_e32 v20, v41
	v_pk_fma_f32 v[6:7], v[2:3], v[20:21], v[6:7] op_sel_hi:[0,1,1]
	v_mov_b32_e32 v23, v41
	v_pk_fma_f32 v[6:7], v[10:11], v[22:23], v[6:7] op_sel_hi:[0,1,1]
	v_mov_b32_e32 v20, v54
	v_pk_fma_f32 v[6:7], v[66:67], v[20:21], v[6:7] op_sel_hi:[0,1,1]
	v_mov_b32_e32 v23, v54
	v_pk_fma_f32 v[6:7], v[66:67], v[22:23], v[6:7] op_sel:[1,0,0]
	v_mov_b32_e32 v20, v55
	v_pk_fma_f32 v[6:7], v[68:69], v[20:21], v[6:7] op_sel_hi:[0,1,1]
	v_mov_b32_e32 v23, v55
	v_pk_fma_f32 v[6:7], v[26:27], v[22:23], v[6:7] op_sel_hi:[0,1,1]
	v_mov_b32_e32 v20, v56
	v_pk_fma_f32 v[6:7], v[62:63], v[20:21], v[6:7] op_sel_hi:[0,1,1]
	v_mov_b32_e32 v23, v56
	v_pk_fma_f32 v[6:7], v[62:63], v[22:23], v[6:7] op_sel:[1,0,0]
	v_mov_b32_e32 v20, v57
	v_pk_fma_f32 v[6:7], v[64:65], v[20:21], v[6:7] op_sel_hi:[0,1,1]
	v_mov_b32_e32 v23, v57
	v_pk_fma_f32 v[100:101], v[30:31], v[22:23], v[6:7] op_sel_hi:[0,1,1]
	v_mov_b32_e32 v23, v36
	v_pk_fma_f32 v[6:7], v[0:1], v[22:23], v[24:25] op_sel:[1,0,0]
	v_mov_b32_e32 v20, v37
	v_pk_fma_f32 v[6:7], v[2:3], v[20:21], v[6:7] op_sel_hi:[0,1,1]
	v_mov_b32_e32 v23, v37
	v_pk_fma_f32 v[6:7], v[10:11], v[22:23], v[6:7] op_sel_hi:[0,1,1]
	v_mov_b32_e32 v20, v50
	v_pk_fma_f32 v[6:7], v[66:67], v[20:21], v[6:7] op_sel_hi:[0,1,1]
	v_mov_b32_e32 v23, v50
	v_pk_fma_f32 v[6:7], v[66:67], v[22:23], v[6:7] op_sel:[1,0,0]
	v_mov_b32_e32 v20, v51
	v_pk_fma_f32 v[6:7], v[68:69], v[20:21], v[6:7] op_sel_hi:[0,1,1]
	;; [unrolled: 22-line block ×3, first 2 shown]
	v_mov_b32_e32 v23, v47
	v_pk_fma_f32 v[0:1], v[26:27], v[22:23], v[0:1] op_sel_hi:[0,1,1]
	v_mov_b32_e32 v20, v48
	v_pk_fma_f32 v[0:1], v[62:63], v[20:21], v[0:1] op_sel_hi:[0,1,1]
	v_mov_b32_e32 v23, v48
	v_pk_fma_f32 v[0:1], v[62:63], v[22:23], v[0:1] op_sel:[1,0,0]
	v_mov_b32_e32 v20, v49
	v_pk_fma_f32 v[0:1], v[64:65], v[20:21], v[0:1] op_sel_hi:[0,1,1]
	v_mov_b32_e32 v23, v49
	v_pk_fma_f32 v[94:95], v[30:31], v[22:23], v[0:1] op_sel_hi:[0,1,1]
	s_andn2_b64 exec, exec, s[14:15]
	s_cbranch_execnz .LBB127_27
; %bb.28:
	s_or_b64 exec, exec, s[14:15]
.LBB127_29:
	s_or_b64 exec, exec, s[10:11]
.LBB127_30:
	s_or_b64 exec, exec, s[8:9]
	s_cbranch_execz .LBB127_32
	s_branch .LBB127_43
.LBB127_31:
                                        ; implicit-def: $vgpr99
                                        ; implicit-def: $vgpr101
                                        ; implicit-def: $vgpr97
                                        ; implicit-def: $vgpr95
.LBB127_32:
	v_mov_b32_e32 v99, 0
	v_mov_b32_e32 v98, 0
	;; [unrolled: 1-line block ×8, first 2 shown]
	s_and_saveexec_b64 s[2:3], s[0:1]
	s_cbranch_execz .LBB127_42
; %bb.33:
	v_or_b32_e32 v0, 16, v86
	v_mov_b32_e32 v1, s17
	v_subrev_co_u32_e32 v0, vcc, s16, v0
	v_subb_co_u32_e32 v1, vcc, 0, v1, vcc
	v_add_co_u32_e32 v0, vcc, v0, v12
	v_addc_co_u32_e32 v1, vcc, v1, v13, vcc
	v_cmp_gt_i64_e32 vcc, v[0:1], v[90:91]
	v_cndmask_b32_e32 v1, v91, v1, vcc
	v_cndmask_b32_e32 v0, v90, v0, vcc
	v_mov_b32_e32 v4, s17
	v_sub_co_u32_e32 v5, vcc, s16, v86
	v_not_b32_e32 v3, v12
	v_subbrev_co_u32_e32 v4, vcc, 0, v4, vcc
	v_not_b32_e32 v2, v13
	v_add_co_u32_e32 v3, vcc, v5, v3
	v_addc_co_u32_e32 v2, vcc, v4, v2, vcc
	v_add_co_u32_e32 v0, vcc, v3, v0
	v_addc_co_u32_e32 v1, vcc, v2, v1, vcc
	v_lshrrev_b32_e32 v2, 4, v0
	v_add_u32_e32 v2, 1, v2
	v_and_b32_e32 v2, 3, v2
	v_mov_b32_e32 v94, 0
	v_cmp_ne_u32_e32 vcc, 0, v2
	v_mov_b32_e32 v95, v94
	v_mov_b32_e32 v96, v94
	;; [unrolled: 1-line block ×7, first 2 shown]
	s_and_saveexec_b64 s[0:1], vcc
	s_cbranch_execz .LBB127_37
; %bb.34:
	v_lshlrev_b64 v[4:5], 2, v[88:89]
	v_mov_b32_e32 v3, 0
	v_mov_b32_e32 v6, s13
	v_add_co_u32_e32 v4, vcc, s12, v4
	v_lshlrev_b32_e32 v2, 2, v2
	v_addc_co_u32_e32 v5, vcc, v6, v5, vcc
	s_mov_b64 s[8:9], 0
	s_movk_i32 s10, 0x400
	v_mov_b32_e32 v10, s7
	v_bfrev_b32_e32 v6, 1
	v_pk_mov_b32 v[8:9], v[2:3], v[2:3] op_sel:[0,1]
	v_mov_b32_e32 v94, v3
	v_mov_b32_e32 v95, v3
	;; [unrolled: 1-line block ×8, first 2 shown]
.LBB127_35:                             ; =>This Inner Loop Header: Depth=1
	global_load_dword v2, v[4:5], off
	global_load_dwordx4 v[12:15], v[92:93], off offset:32
	global_load_dwordx4 v[16:19], v[92:93], off offset:16
	global_load_dwordx4 v[20:23], v[92:93], off
	s_waitcnt vmcnt(3)
	v_subrev_u32_e32 v2, s16, v2
	v_lshlrev_b32_e32 v24, 2, v2
	v_ashrrev_i32_e32 v25, 31, v24
	v_lshlrev_b64 v[24:25], 3, v[24:25]
	v_add_co_u32_e32 v36, vcc, s6, v24
	v_addc_co_u32_e32 v37, vcc, v10, v25, vcc
	global_load_dwordx4 v[24:27], v[36:37], off
	global_load_dwordx4 v[28:31], v[36:37], off offset:16
	global_load_dwordx4 v[32:35], v[92:93], off offset:48
	s_waitcnt vmcnt(3)
	v_mov_b32_e32 v2, v20
	v_mov_b32_e32 v7, v20
	v_add_co_u32_e32 v92, vcc, s10, v92
	v_addc_co_u32_e32 v93, vcc, 0, v93, vcc
	v_add_co_u32_e32 v88, vcc, 16, v88
	v_addc_co_u32_e32 v89, vcc, 0, v89, vcc
	v_add_co_u32_e32 v4, vcc, 64, v4
	v_addc_co_u32_e32 v5, vcc, 0, v5, vcc
	v_add_co_u32_e32 v8, vcc, -4, v8
	v_addc_co_u32_e32 v9, vcc, -1, v9, vcc
	v_cmp_eq_u64_e32 vcc, 0, v[8:9]
	s_or_b64 s[8:9], vcc, s[8:9]
	s_waitcnt vmcnt(2)
	v_pk_fma_f32 v[36:37], v[24:25], v[2:3], v[98:99] op_sel_hi:[0,1,1]
	v_mov_b32_e32 v2, v16
	v_pk_fma_f32 v[36:37], v[24:25], v[6:7], v[36:37] op_sel:[1,0,0]
	v_mov_b32_e32 v20, v27
	v_mov_b32_e32 v7, v16
	v_pk_fma_f32 v[36:37], v[26:27], v[2:3], v[36:37] op_sel_hi:[0,1,1]
	v_mov_b32_e32 v2, v12
	v_pk_fma_f32 v[36:37], v[20:21], v[6:7], v[36:37] op_sel_hi:[0,1,1]
	v_mov_b32_e32 v7, v12
	s_waitcnt vmcnt(1)
	v_pk_fma_f32 v[36:37], v[28:29], v[2:3], v[36:37] op_sel_hi:[0,1,1]
	s_waitcnt vmcnt(0)
	v_mov_b32_e32 v2, v32
	v_pk_fma_f32 v[36:37], v[28:29], v[6:7], v[36:37] op_sel:[1,0,0]
	v_mov_b32_e32 v38, v31
	v_mov_b32_e32 v7, v32
	v_pk_fma_f32 v[36:37], v[30:31], v[2:3], v[36:37] op_sel_hi:[0,1,1]
	v_mov_b32_e32 v2, v21
	v_pk_fma_f32 v[98:99], v[38:39], v[6:7], v[36:37] op_sel_hi:[0,1,1]
	v_pk_fma_f32 v[36:37], v[24:25], v[2:3], v[100:101] op_sel_hi:[0,1,1]
	v_mov_b32_e32 v7, v21
	v_mov_b32_e32 v2, v17
	v_pk_fma_f32 v[36:37], v[24:25], v[6:7], v[36:37] op_sel:[1,0,0]
	v_mov_b32_e32 v7, v17
	v_pk_fma_f32 v[16:17], v[26:27], v[2:3], v[36:37] op_sel_hi:[0,1,1]
	v_mov_b32_e32 v2, v13
	v_pk_fma_f32 v[16:17], v[20:21], v[6:7], v[16:17] op_sel_hi:[0,1,1]
	v_mov_b32_e32 v7, v13
	v_pk_fma_f32 v[12:13], v[28:29], v[2:3], v[16:17] op_sel_hi:[0,1,1]
	v_mov_b32_e32 v2, v33
	v_pk_fma_f32 v[12:13], v[28:29], v[6:7], v[12:13] op_sel:[1,0,0]
	v_mov_b32_e32 v7, v33
	v_pk_fma_f32 v[12:13], v[30:31], v[2:3], v[12:13] op_sel_hi:[0,1,1]
	v_mov_b32_e32 v2, v22
	v_pk_fma_f32 v[100:101], v[38:39], v[6:7], v[12:13] op_sel_hi:[0,1,1]
	v_pk_fma_f32 v[12:13], v[24:25], v[2:3], v[96:97] op_sel_hi:[0,1,1]
	v_mov_b32_e32 v7, v22
	v_mov_b32_e32 v2, v18
	v_pk_fma_f32 v[12:13], v[24:25], v[6:7], v[12:13] op_sel:[1,0,0]
	v_mov_b32_e32 v7, v18
	v_pk_fma_f32 v[12:13], v[26:27], v[2:3], v[12:13] op_sel_hi:[0,1,1]
	v_mov_b32_e32 v2, v14
	v_pk_fma_f32 v[12:13], v[20:21], v[6:7], v[12:13] op_sel_hi:[0,1,1]
	v_mov_b32_e32 v7, v14
	v_pk_fma_f32 v[12:13], v[28:29], v[2:3], v[12:13] op_sel_hi:[0,1,1]
	v_mov_b32_e32 v2, v34
	v_pk_fma_f32 v[12:13], v[28:29], v[6:7], v[12:13] op_sel:[1,0,0]
	;; [unrolled: 16-line block ×3, first 2 shown]
	v_mov_b32_e32 v7, v35
	v_pk_fma_f32 v[12:13], v[30:31], v[2:3], v[12:13] op_sel_hi:[0,1,1]
	v_pk_fma_f32 v[94:95], v[38:39], v[6:7], v[12:13] op_sel_hi:[0,1,1]
	s_andn2_b64 exec, exec, s[8:9]
	s_cbranch_execnz .LBB127_35
; %bb.36:
	s_or_b64 exec, exec, s[8:9]
.LBB127_37:
	s_or_b64 exec, exec, s[0:1]
	v_cmp_lt_u64_e32 vcc, 47, v[0:1]
	s_and_saveexec_b64 s[8:9], vcc
	s_cbranch_execz .LBB127_41
; %bb.38:
	v_lshlrev_b64 v[0:1], 2, v[88:89]
	v_mov_b32_e32 v2, s13
	v_add_co_u32_e32 v0, vcc, s12, v0
	v_addc_co_u32_e32 v1, vcc, v1, v2, vcc
	v_add_co_u32_e32 v102, vcc, 0x80, v0
	v_addc_co_u32_e32 v103, vcc, 0, v1, vcc
	s_mov_b64 s[10:11], 0
	v_mov_b32_e32 v85, s7
	v_mov_b32_e32 v105, 0
	v_bfrev_b32_e32 v106, 1
.LBB127_39:                             ; =>This Inner Loop Header: Depth=1
	global_load_dword v56, v[102:103], off offset:-128
	global_load_dword v57, v[102:103], off offset:-64
	global_load_dwordx4 v[44:47], v[92:93], off
	global_load_dword v58, v[102:103], off
	global_load_dword v59, v[102:103], off offset:64
	global_load_dwordx4 v[110:113], v[92:93], off offset:16
	global_load_dwordx4 v[48:51], v[92:93], off offset:48
	;; [unrolled: 1-line block ×15, first 2 shown]
	v_add_co_u32_e32 v88, vcc, 64, v88
	v_addc_co_u32_e32 v89, vcc, 0, v89, vcc
	v_add_co_u32_e32 v102, vcc, 0x100, v102
	v_addc_co_u32_e32 v103, vcc, 0, v103, vcc
	;; [unrolled: 2-line block ×3, first 2 shown]
	v_cmp_ge_i64_e64 s[0:1], v[88:89], v[90:91]
	s_or_b64 s[10:11], s[0:1], s[10:11]
	s_waitcnt vmcnt(19)
	v_subrev_u32_e32 v56, s16, v56
	s_waitcnt vmcnt(18)
	v_subrev_u32_e32 v57, s16, v57
	v_lshlrev_b32_e32 v56, 2, v56
	s_waitcnt vmcnt(17)
	v_mov_b32_e32 v104, v44
	v_mov_b32_e32 v107, v44
	s_waitcnt vmcnt(16)
	v_subrev_u32_e32 v44, s16, v58
	v_lshlrev_b32_e32 v58, 2, v57
	v_ashrrev_i32_e32 v57, 31, v56
	s_waitcnt vmcnt(15)
	v_subrev_u32_e32 v59, s16, v59
	v_lshlrev_b64 v[56:57], 3, v[56:57]
	v_lshlrev_b32_e32 v62, 2, v59
	v_ashrrev_i32_e32 v59, 31, v58
	v_add_co_u32_e32 v56, vcc, s6, v56
	v_lshlrev_b32_e32 v60, 2, v44
	v_lshlrev_b64 v[58:59], 3, v[58:59]
	v_addc_co_u32_e32 v57, vcc, v85, v57, vcc
	v_ashrrev_i32_e32 v61, 31, v60
	v_add_co_u32_e32 v58, vcc, s6, v58
	v_lshlrev_b64 v[60:61], 3, v[60:61]
	v_addc_co_u32_e32 v59, vcc, v85, v59, vcc
	v_ashrrev_i32_e32 v63, 31, v62
	v_add_co_u32_e32 v108, vcc, s6, v60
	v_lshlrev_b64 v[62:63], 3, v[62:63]
	v_addc_co_u32_e32 v109, vcc, v85, v61, vcc
	v_add_co_u32_e32 v126, vcc, s6, v62
	v_addc_co_u32_e32 v127, vcc, v85, v63, vcc
	global_load_dwordx4 v[118:121], v[56:57], off
	global_load_dwordx4 v[122:125], v[56:57], off offset:16
	global_load_dwordx4 v[76:79], v[58:59], off
	global_load_dwordx4 v[72:75], v[58:59], off offset:16
	;; [unrolled: 2-line block ×3, first 2 shown]
	global_load_dwordx4 v[60:63], v[126:127], off
                                        ; kill: killed $vgpr58 killed $vgpr59
                                        ; kill: killed $vgpr108 killed $vgpr109
                                        ; kill: killed $vgpr56 killed $vgpr57
	s_nop 0
	global_load_dwordx4 v[56:59], v[126:127], off offset:16
	s_waitcnt vmcnt(7)
	v_pk_fma_f32 v[108:109], v[118:119], v[104:105], v[98:99] op_sel_hi:[0,1,1]
	v_mov_b32_e32 v104, v110
	v_pk_fma_f32 v[108:109], v[118:119], v[106:107], v[108:109] op_sel:[1,0,0]
	v_mov_b32_e32 v126, v121
	v_mov_b32_e32 v107, v110
	v_pk_fma_f32 v[108:109], v[120:121], v[104:105], v[108:109] op_sel_hi:[0,1,1]
	v_mov_b32_e32 v104, v114
	v_pk_fma_f32 v[108:109], v[126:127], v[106:107], v[108:109] op_sel_hi:[0,1,1]
	v_mov_b32_e32 v107, v114
	s_waitcnt vmcnt(6)
	v_pk_fma_f32 v[108:109], v[122:123], v[104:105], v[108:109] op_sel_hi:[0,1,1]
	v_mov_b32_e32 v104, v48
	v_pk_fma_f32 v[108:109], v[122:123], v[106:107], v[108:109] op_sel:[1,0,0]
	v_mov_b32_e32 v98, v125
	v_mov_b32_e32 v107, v48
	v_pk_fma_f32 v[108:109], v[124:125], v[104:105], v[108:109] op_sel_hi:[0,1,1]
	v_mov_b32_e32 v104, v52
	v_pk_fma_f32 v[108:109], v[98:99], v[106:107], v[108:109] op_sel_hi:[0,1,1]
	v_mov_b32_e32 v107, v52
	s_waitcnt vmcnt(5)
	v_pk_fma_f32 v[108:109], v[76:77], v[104:105], v[108:109] op_sel_hi:[0,1,1]
	v_mov_b32_e32 v104, v45
	v_pk_fma_f32 v[108:109], v[76:77], v[106:107], v[108:109] op_sel:[1,0,0]
	v_pk_fma_f32 v[100:101], v[118:119], v[104:105], v[100:101] op_sel_hi:[0,1,1]
	v_mov_b32_e32 v107, v45
	v_mov_b32_e32 v104, v111
	v_pk_fma_f32 v[100:101], v[118:119], v[106:107], v[100:101] op_sel:[1,0,0]
	v_mov_b32_e32 v107, v111
	v_pk_fma_f32 v[100:101], v[120:121], v[104:105], v[100:101] op_sel_hi:[0,1,1]
	v_mov_b32_e32 v104, v115
	v_pk_fma_f32 v[100:101], v[126:127], v[106:107], v[100:101] op_sel_hi:[0,1,1]
	;; [unrolled: 2-line block ×3, first 2 shown]
	v_mov_b32_e32 v104, v49
	v_pk_fma_f32 v[100:101], v[122:123], v[106:107], v[100:101] op_sel:[1,0,0]
	v_mov_b32_e32 v107, v49
	v_pk_fma_f32 v[48:49], v[124:125], v[104:105], v[100:101] op_sel_hi:[0,1,1]
	v_mov_b32_e32 v104, v53
	v_pk_fma_f32 v[48:49], v[98:99], v[106:107], v[48:49] op_sel_hi:[0,1,1]
	v_mov_b32_e32 v107, v53
	v_pk_fma_f32 v[48:49], v[76:77], v[104:105], v[48:49] op_sel_hi:[0,1,1]
	v_mov_b32_e32 v104, v46
	v_pk_fma_f32 v[52:53], v[76:77], v[106:107], v[48:49] op_sel:[1,0,0]
	v_pk_fma_f32 v[48:49], v[118:119], v[104:105], v[96:97] op_sel_hi:[0,1,1]
	v_mov_b32_e32 v107, v46
	v_mov_b32_e32 v104, v112
	v_pk_fma_f32 v[48:49], v[118:119], v[106:107], v[48:49] op_sel:[1,0,0]
	v_mov_b32_e32 v107, v112
	v_pk_fma_f32 v[48:49], v[120:121], v[104:105], v[48:49] op_sel_hi:[0,1,1]
	v_mov_b32_e32 v104, v116
	v_pk_fma_f32 v[48:49], v[126:127], v[106:107], v[48:49] op_sel_hi:[0,1,1]
	;; [unrolled: 2-line block ×3, first 2 shown]
	v_mov_b32_e32 v104, v50
	v_pk_fma_f32 v[48:49], v[122:123], v[106:107], v[48:49] op_sel:[1,0,0]
	v_mov_b32_e32 v107, v50
	v_pk_fma_f32 v[48:49], v[124:125], v[104:105], v[48:49] op_sel_hi:[0,1,1]
	v_mov_b32_e32 v104, v54
	v_pk_fma_f32 v[48:49], v[98:99], v[106:107], v[48:49] op_sel_hi:[0,1,1]
	;; [unrolled: 2-line block ×3, first 2 shown]
	v_mov_b32_e32 v104, v47
	v_pk_fma_f32 v[48:49], v[76:77], v[106:107], v[48:49] op_sel:[1,0,0]
	v_pk_fma_f32 v[94:95], v[118:119], v[104:105], v[94:95] op_sel_hi:[0,1,1]
	v_mov_b32_e32 v107, v47
	v_mov_b32_e32 v104, v113
	v_pk_fma_f32 v[46:47], v[118:119], v[106:107], v[94:95] op_sel:[1,0,0]
	v_pk_fma_f32 v[46:47], v[120:121], v[104:105], v[46:47] op_sel_hi:[0,1,1]
	v_mov_b32_e32 v107, v113
	v_pk_fma_f32 v[100:101], v[126:127], v[106:107], v[46:47] op_sel_hi:[0,1,1]
	v_mov_b32_e32 v104, v117
	v_mov_b32_e32 v107, v117
	v_pk_fma_f32 v[100:101], v[122:123], v[104:105], v[100:101] op_sel_hi:[0,1,1]
	v_mov_b32_e32 v104, v51
	v_pk_fma_f32 v[100:101], v[122:123], v[106:107], v[100:101] op_sel:[1,0,0]
	v_pk_fma_f32 v[100:101], v[124:125], v[104:105], v[100:101] op_sel_hi:[0,1,1]
	v_mov_b32_e32 v107, v51
	v_mov_b32_e32 v104, v55
	v_pk_fma_f32 v[98:99], v[98:99], v[106:107], v[100:101] op_sel_hi:[0,1,1]
	v_mov_b32_e32 v107, v55
	v_pk_fma_f32 v[98:99], v[76:77], v[104:105], v[98:99] op_sel_hi:[0,1,1]
	v_mov_b32_e32 v104, v40
	v_mov_b32_e32 v44, v79
	v_pk_fma_f32 v[76:77], v[76:77], v[106:107], v[98:99] op_sel:[1,0,0]
	v_pk_fma_f32 v[98:99], v[78:79], v[104:105], v[108:109] op_sel_hi:[0,1,1]
	v_mov_b32_e32 v107, v40
	v_mov_b32_e32 v104, v36
	v_pk_fma_f32 v[98:99], v[44:45], v[106:107], v[98:99] op_sel_hi:[0,1,1]
	v_mov_b32_e32 v107, v36
	s_waitcnt vmcnt(4)
	v_pk_fma_f32 v[98:99], v[72:73], v[104:105], v[98:99] op_sel_hi:[0,1,1]
	v_mov_b32_e32 v104, v28
	v_pk_fma_f32 v[98:99], v[72:73], v[106:107], v[98:99] op_sel:[1,0,0]
	v_mov_b32_e32 v96, v75
	v_mov_b32_e32 v107, v28
	v_pk_fma_f32 v[98:99], v[74:75], v[104:105], v[98:99] op_sel_hi:[0,1,1]
	v_mov_b32_e32 v104, v32
	v_pk_fma_f32 v[98:99], v[96:97], v[106:107], v[98:99] op_sel_hi:[0,1,1]
	v_mov_b32_e32 v107, v32
	s_waitcnt vmcnt(3)
	v_pk_fma_f32 v[98:99], v[68:69], v[104:105], v[98:99] op_sel_hi:[0,1,1]
	v_mov_b32_e32 v104, v24
	v_pk_fma_f32 v[98:99], v[68:69], v[106:107], v[98:99] op_sel:[1,0,0]
	v_mov_b32_e32 v94, v71
	v_mov_b32_e32 v107, v24
	v_pk_fma_f32 v[98:99], v[70:71], v[104:105], v[98:99] op_sel_hi:[0,1,1]
	v_mov_b32_e32 v104, v16
	v_pk_fma_f32 v[98:99], v[94:95], v[106:107], v[98:99] op_sel_hi:[0,1,1]
	s_waitcnt vmcnt(2)
	v_pk_fma_f32 v[98:99], v[64:65], v[104:105], v[98:99] op_sel_hi:[0,1,1]
	v_mov_b32_e32 v104, v41
	v_mov_b32_e32 v107, v41
	v_pk_fma_f32 v[40:41], v[78:79], v[104:105], v[52:53] op_sel_hi:[0,1,1]
	v_mov_b32_e32 v104, v37
	v_pk_fma_f32 v[40:41], v[44:45], v[106:107], v[40:41] op_sel_hi:[0,1,1]
	v_mov_b32_e32 v107, v37
	v_pk_fma_f32 v[36:37], v[72:73], v[104:105], v[40:41] op_sel_hi:[0,1,1]
	v_mov_b32_e32 v104, v29
	v_pk_fma_f32 v[36:37], v[72:73], v[106:107], v[36:37] op_sel:[1,0,0]
	v_mov_b32_e32 v107, v29
	v_pk_fma_f32 v[28:29], v[74:75], v[104:105], v[36:37] op_sel_hi:[0,1,1]
	v_mov_b32_e32 v104, v33
	v_pk_fma_f32 v[28:29], v[96:97], v[106:107], v[28:29] op_sel_hi:[0,1,1]
	v_mov_b32_e32 v107, v33
	v_pk_fma_f32 v[28:29], v[68:69], v[104:105], v[28:29] op_sel_hi:[0,1,1]
	v_mov_b32_e32 v104, v25
	v_pk_fma_f32 v[28:29], v[68:69], v[106:107], v[28:29] op_sel:[1,0,0]
	v_mov_b32_e32 v107, v25
	v_pk_fma_f32 v[24:25], v[70:71], v[104:105], v[28:29] op_sel_hi:[0,1,1]
	v_mov_b32_e32 v104, v17
	v_pk_fma_f32 v[24:25], v[94:95], v[106:107], v[24:25] op_sel_hi:[0,1,1]
	v_pk_fma_f32 v[24:25], v[64:65], v[104:105], v[24:25] op_sel_hi:[0,1,1]
	v_mov_b32_e32 v104, v42
	v_mov_b32_e32 v107, v42
	v_pk_fma_f32 v[28:29], v[78:79], v[104:105], v[48:49] op_sel_hi:[0,1,1]
	v_mov_b32_e32 v104, v38
	v_pk_fma_f32 v[28:29], v[44:45], v[106:107], v[28:29] op_sel_hi:[0,1,1]
	v_mov_b32_e32 v107, v38
	v_pk_fma_f32 v[28:29], v[72:73], v[104:105], v[28:29] op_sel_hi:[0,1,1]
	v_mov_b32_e32 v104, v30
	v_pk_fma_f32 v[28:29], v[72:73], v[106:107], v[28:29] op_sel:[1,0,0]
	v_mov_b32_e32 v107, v30
	v_pk_fma_f32 v[28:29], v[74:75], v[104:105], v[28:29] op_sel_hi:[0,1,1]
	v_mov_b32_e32 v104, v34
	v_pk_fma_f32 v[28:29], v[96:97], v[106:107], v[28:29] op_sel_hi:[0,1,1]
	v_mov_b32_e32 v107, v34
	v_pk_fma_f32 v[28:29], v[68:69], v[104:105], v[28:29] op_sel_hi:[0,1,1]
	v_mov_b32_e32 v104, v26
	v_pk_fma_f32 v[28:29], v[68:69], v[106:107], v[28:29] op_sel:[1,0,0]
	v_mov_b32_e32 v107, v26
	v_pk_fma_f32 v[28:29], v[70:71], v[104:105], v[28:29] op_sel_hi:[0,1,1]
	v_mov_b32_e32 v104, v18
	v_pk_fma_f32 v[28:29], v[94:95], v[106:107], v[28:29] op_sel_hi:[0,1,1]
	;; [unrolled: 22-line block ×3, first 2 shown]
	v_mov_b32_e32 v107, v16
	v_pk_fma_f32 v[26:27], v[64:65], v[104:105], v[26:27] op_sel_hi:[0,1,1]
	v_pk_fma_f32 v[30:31], v[64:65], v[106:107], v[98:99] op_sel:[1,0,0]
	v_mov_b32_e32 v104, v8
	v_mov_b32_e32 v46, v67
	;; [unrolled: 1-line block ×3, first 2 shown]
	v_pk_fma_f32 v[30:31], v[66:67], v[104:105], v[30:31] op_sel_hi:[0,1,1]
	v_mov_b32_e32 v104, v20
	v_pk_fma_f32 v[30:31], v[46:47], v[106:107], v[30:31] op_sel_hi:[0,1,1]
	v_mov_b32_e32 v107, v20
	s_waitcnt vmcnt(1)
	v_pk_fma_f32 v[30:31], v[60:61], v[104:105], v[30:31] op_sel_hi:[0,1,1]
	v_mov_b32_e32 v104, v12
	v_pk_fma_f32 v[30:31], v[60:61], v[106:107], v[30:31] op_sel:[1,0,0]
	v_mov_b32_e32 v54, v63
	v_mov_b32_e32 v107, v12
	v_pk_fma_f32 v[30:31], v[62:63], v[104:105], v[30:31] op_sel_hi:[0,1,1]
	v_mov_b32_e32 v104, v4
	v_pk_fma_f32 v[30:31], v[54:55], v[106:107], v[30:31] op_sel_hi:[0,1,1]
	v_mov_b32_e32 v107, v4
	s_waitcnt vmcnt(0)
	v_pk_fma_f32 v[30:31], v[56:57], v[104:105], v[30:31] op_sel_hi:[0,1,1]
	v_mov_b32_e32 v104, v0
	v_pk_fma_f32 v[30:31], v[56:57], v[106:107], v[30:31] op_sel:[1,0,0]
	v_mov_b32_e32 v50, v59
	v_mov_b32_e32 v107, v0
	v_pk_fma_f32 v[30:31], v[58:59], v[104:105], v[30:31] op_sel_hi:[0,1,1]
	v_pk_fma_f32 v[98:99], v[50:51], v[106:107], v[30:31] op_sel_hi:[0,1,1]
	v_mov_b32_e32 v107, v17
	v_mov_b32_e32 v104, v9
	v_pk_fma_f32 v[16:17], v[64:65], v[106:107], v[24:25] op_sel:[1,0,0]
	v_mov_b32_e32 v107, v9
	v_pk_fma_f32 v[8:9], v[66:67], v[104:105], v[16:17] op_sel_hi:[0,1,1]
	v_mov_b32_e32 v104, v21
	v_pk_fma_f32 v[8:9], v[46:47], v[106:107], v[8:9] op_sel_hi:[0,1,1]
	v_mov_b32_e32 v107, v21
	v_pk_fma_f32 v[8:9], v[60:61], v[104:105], v[8:9] op_sel_hi:[0,1,1]
	v_mov_b32_e32 v104, v13
	v_pk_fma_f32 v[8:9], v[60:61], v[106:107], v[8:9] op_sel:[1,0,0]
	v_mov_b32_e32 v107, v13
	v_pk_fma_f32 v[8:9], v[62:63], v[104:105], v[8:9] op_sel_hi:[0,1,1]
	v_mov_b32_e32 v104, v5
	v_pk_fma_f32 v[8:9], v[54:55], v[106:107], v[8:9] op_sel_hi:[0,1,1]
	v_mov_b32_e32 v107, v5
	v_pk_fma_f32 v[4:5], v[56:57], v[104:105], v[8:9] op_sel_hi:[0,1,1]
	v_mov_b32_e32 v104, v1
	v_pk_fma_f32 v[4:5], v[56:57], v[106:107], v[4:5] op_sel:[1,0,0]
	v_mov_b32_e32 v107, v1
	v_pk_fma_f32 v[0:1], v[58:59], v[104:105], v[4:5] op_sel_hi:[0,1,1]
	v_pk_fma_f32 v[100:101], v[50:51], v[106:107], v[0:1] op_sel_hi:[0,1,1]
	v_mov_b32_e32 v107, v18
	v_mov_b32_e32 v104, v10
	v_pk_fma_f32 v[0:1], v[64:65], v[106:107], v[28:29] op_sel:[1,0,0]
	v_mov_b32_e32 v107, v10
	v_pk_fma_f32 v[0:1], v[66:67], v[104:105], v[0:1] op_sel_hi:[0,1,1]
	v_mov_b32_e32 v104, v22
	v_pk_fma_f32 v[0:1], v[46:47], v[106:107], v[0:1] op_sel_hi:[0,1,1]
	v_mov_b32_e32 v107, v22
	v_pk_fma_f32 v[0:1], v[60:61], v[104:105], v[0:1] op_sel_hi:[0,1,1]
	v_mov_b32_e32 v104, v14
	v_pk_fma_f32 v[0:1], v[60:61], v[106:107], v[0:1] op_sel:[1,0,0]
	v_mov_b32_e32 v107, v14
	v_pk_fma_f32 v[0:1], v[62:63], v[104:105], v[0:1] op_sel_hi:[0,1,1]
	v_mov_b32_e32 v104, v6
	v_pk_fma_f32 v[0:1], v[54:55], v[106:107], v[0:1] op_sel_hi:[0,1,1]
	v_mov_b32_e32 v107, v6
	v_pk_fma_f32 v[0:1], v[56:57], v[104:105], v[0:1] op_sel_hi:[0,1,1]
	v_mov_b32_e32 v104, v2
	v_pk_fma_f32 v[0:1], v[56:57], v[106:107], v[0:1] op_sel:[1,0,0]
	;; [unrolled: 22-line block ×3, first 2 shown]
	v_mov_b32_e32 v107, v3
	v_pk_fma_f32 v[0:1], v[58:59], v[104:105], v[0:1] op_sel_hi:[0,1,1]
	v_pk_fma_f32 v[94:95], v[50:51], v[106:107], v[0:1] op_sel_hi:[0,1,1]
	s_andn2_b64 exec, exec, s[10:11]
	s_cbranch_execnz .LBB127_39
; %bb.40:
	s_or_b64 exec, exec, s[10:11]
.LBB127_41:
	s_or_b64 exec, exec, s[8:9]
.LBB127_42:
	s_or_b64 exec, exec, s[2:3]
.LBB127_43:
	v_mov_b32_dpp v6, v101 row_shr:1 row_mask:0xf bank_mask:0xf
	v_add_f32_e32 v6, v101, v6
	v_mov_b32_dpp v0, v98 row_shr:1 row_mask:0xf bank_mask:0xf
	v_mov_b32_dpp v2, v99 row_shr:1 row_mask:0xf bank_mask:0xf
	;; [unrolled: 1-line block ×3, first 2 shown]
	v_add_f32_e32 v6, v6, v7
	v_mov_b32_dpp v4, v100 row_shr:1 row_mask:0xf bank_mask:0xf
	v_add_f32_e32 v0, v98, v0
	v_mov_b32_dpp v7, v6 row_shr:4 row_mask:0xf bank_mask:0xe
	;; [unrolled: 2-line block ×3, first 2 shown]
	v_add_f32_e32 v6, v96, v6
	v_add_f32_e32 v2, v99, v2
	;; [unrolled: 1-line block ×3, first 2 shown]
	v_mov_b32_dpp v8, v6 row_shr:2 row_mask:0xf bank_mask:0xf
	v_add_f32_e32 v6, v6, v8
	v_mov_b32_dpp v1, v0 row_shr:2 row_mask:0xf bank_mask:0xf
	v_mov_b32_dpp v3, v2 row_shr:2 row_mask:0xf bank_mask:0xf
	;; [unrolled: 1-line block ×3, first 2 shown]
	v_add_f32_e32 v10, v6, v8
	v_mov_b32_dpp v6, v97 row_shr:1 row_mask:0xf bank_mask:0xf
	v_add_f32_e32 v6, v97, v6
	v_mov_b32_dpp v5, v4 row_shr:2 row_mask:0xf bank_mask:0xf
	;; [unrolled: 2-line block ×3, first 2 shown]
	v_add_f32_e32 v6, v6, v8
	v_add_f32_e32 v2, v2, v3
	;; [unrolled: 1-line block ×3, first 2 shown]
	v_mov_b32_dpp v8, v6 row_shr:4 row_mask:0xf bank_mask:0xe
	v_add_f32_e32 v13, v6, v8
	v_mov_b32_dpp v6, v94 row_shr:1 row_mask:0xf bank_mask:0xf
	v_add_f32_e32 v6, v94, v6
	v_mov_b32_dpp v1, v0 row_shr:4 row_mask:0xf bank_mask:0xe
	v_mov_b32_dpp v3, v2 row_shr:4 row_mask:0xf bank_mask:0xe
	;; [unrolled: 1-line block ×3, first 2 shown]
	v_add_f32_e32 v6, v6, v8
	v_mov_b32_dpp v5, v4 row_shr:4 row_mask:0xf bank_mask:0xe
	v_add_f32_e32 v0, v0, v1
	v_mov_b32_dpp v8, v6 row_shr:4 row_mask:0xf bank_mask:0xe
	;; [unrolled: 2-line block ×3, first 2 shown]
	v_add_f32_e32 v6, v95, v6
	v_add_f32_e32 v2, v2, v3
	;; [unrolled: 1-line block ×3, first 2 shown]
	v_mov_b32_dpp v8, v6 row_shr:2 row_mask:0xf bank_mask:0xf
	v_add_f32_e32 v6, v6, v8
	v_mov_b32_dpp v1, v0 row_shr:8 row_mask:0xf bank_mask:0xc
	v_mov_b32_dpp v3, v2 row_shr:8 row_mask:0xf bank_mask:0xc
	;; [unrolled: 1-line block ×3, first 2 shown]
	v_add_f32_e32 v18, v6, v8
	v_mov_b32_dpp v5, v4 row_shr:8 row_mask:0xf bank_mask:0xc
	v_mov_b32_dpp v9, v7 row_shr:8 row_mask:0xf bank_mask:0xc
	;; [unrolled: 1-line block ×6, first 2 shown]
	v_cmp_eq_u32_e32 vcc, 15, v86
	s_and_b64 exec, exec, vcc
	s_cbranch_execz .LBB127_14
; %bb.44:
	s_load_dwordx2 s[2:3], s[4:5], 0x50
	v_add_f32_e32 v8, v0, v1
	v_and_b32_e32 v1, 0x7fffffff, v82
	v_cmp_eq_u32_e32 vcc, 0, v1
	v_cmp_eq_f32_e64 s[0:1], 0, v83
	v_add_f32_e32 v14, v2, v3
	v_add_f32_e32 v6, v4, v5
	;; [unrolled: 1-line block ×7, first 2 shown]
	s_and_b64 s[0:1], vcc, s[0:1]
	v_lshlrev_b32_e32 v16, 2, v84
	s_and_saveexec_b64 s[4:5], s[0:1]
	s_xor_b64 s[0:1], exec, s[4:5]
	s_cbranch_execz .LBB127_46
; %bb.45:
	v_xor_b32_e32 v18, 0x80000000, v81
	v_ashrrev_i32_e32 v17, 31, v16
	v_mov_b32_e32 v19, v80
	v_lshlrev_b64 v[16:17], 3, v[16:17]
	v_pk_mul_f32 v[14:15], v[14:15], v[18:19] op_sel_hi:[0,1]
	s_waitcnt lgkmcnt(0)
	v_mov_b32_e32 v1, s3
	v_add_co_u32_e32 v20, vcc, s2, v16
	v_pk_fma_f32 v[14:15], v[80:81], v[8:9], v[14:15] op_sel_hi:[1,0,1]
	v_pk_mul_f32 v[8:9], v[12:13], v[18:19] op_sel_hi:[0,1]
	v_addc_co_u32_e32 v21, vcc, v1, v17, vcc
	v_pk_fma_f32 v[16:17], v[80:81], v[6:7], v[8:9] op_sel_hi:[1,0,1]
	v_pk_mul_f32 v[6:7], v[10:11], v[18:19] op_sel_hi:[0,1]
	v_pk_mul_f32 v[4:5], v[4:5], v[18:19] op_sel_hi:[0,1]
	v_pk_fma_f32 v[2:3], v[80:81], v[2:3], v[6:7] op_sel_hi:[1,0,1]
	v_pk_fma_f32 v[4:5], v[80:81], v[0:1], v[4:5] op_sel_hi:[1,0,1]
	global_store_dwordx4 v[20:21], v[14:17], off
	global_store_dwordx4 v[20:21], v[2:5], off offset:16
                                        ; implicit-def: $vgpr81
                                        ; implicit-def: $vgpr82
                                        ; implicit-def: $vgpr8
                                        ; implicit-def: $vgpr14
                                        ; implicit-def: $vgpr6
                                        ; implicit-def: $vgpr12
                                        ; implicit-def: $vgpr2
                                        ; implicit-def: $vgpr10
                                        ; implicit-def: $vgpr0
                                        ; implicit-def: $vgpr4
                                        ; implicit-def: $vgpr16
.LBB127_46:
	s_andn2_saveexec_b64 s[0:1], s[0:1]
	s_cbranch_execz .LBB127_14
; %bb.47:
	v_ashrrev_i32_e32 v17, 31, v16
	v_lshlrev_b64 v[16:17], 3, v[16:17]
	s_waitcnt lgkmcnt(0)
	v_mov_b32_e32 v1, s3
	v_add_co_u32_e32 v24, vcc, s2, v16
	v_addc_co_u32_e32 v25, vcc, v1, v17, vcc
	global_load_dwordx4 v[16:19], v[24:25], off
	global_load_dwordx4 v[20:23], v[24:25], off offset:16
	v_xor_b32_e32 v26, 0x80000000, v81
	v_mov_b32_e32 v27, v80
	v_pk_mul_f32 v[14:15], v[14:15], v[26:27] op_sel_hi:[0,1]
	v_pk_mul_f32 v[12:13], v[12:13], v[26:27] op_sel_hi:[0,1]
	;; [unrolled: 1-line block ×4, first 2 shown]
	v_pk_fma_f32 v[8:9], v[80:81], v[8:9], v[14:15] op_sel_hi:[1,0,1]
	v_pk_fma_f32 v[6:7], v[80:81], v[6:7], v[12:13] op_sel_hi:[1,0,1]
	v_xor_b32_e32 v28, 0x80000000, v83
	v_mov_b32_e32 v29, v82
	v_pk_fma_f32 v[2:3], v[80:81], v[2:3], v[10:11] op_sel_hi:[1,0,1]
	v_pk_fma_f32 v[0:1], v[80:81], v[0:1], v[4:5] op_sel_hi:[1,0,1]
	s_waitcnt vmcnt(1)
	v_pk_fma_f32 v[4:5], v[82:83], v[16:17], v[8:9] op_sel_hi:[1,0,1]
	v_pk_fma_f32 v[6:7], v[82:83], v[18:19], v[6:7] op_sel_hi:[1,0,1]
	v_mov_b32_e32 v8, v19
	s_waitcnt vmcnt(0)
	v_pk_fma_f32 v[10:11], v[82:83], v[20:21], v[2:3] op_sel_hi:[1,0,1]
	v_pk_fma_f32 v[12:13], v[82:83], v[22:23], v[0:1] op_sel_hi:[1,0,1]
	v_mov_b32_e32 v14, v23
	v_pk_fma_f32 v[0:1], v[28:29], v[16:17], v[4:5] op_sel:[0,1,0]
	v_pk_fma_f32 v[2:3], v[28:29], v[8:9], v[6:7] op_sel_hi:[1,0,1]
	v_pk_fma_f32 v[4:5], v[28:29], v[20:21], v[10:11] op_sel:[0,1,0]
	v_pk_fma_f32 v[6:7], v[28:29], v[14:15], v[12:13] op_sel_hi:[1,0,1]
	global_store_dwordx4 v[24:25], v[0:3], off
	global_store_dwordx4 v[24:25], v[4:7], off offset:16
	s_endpgm
	.section	.rodata,"a",@progbits
	.p2align	6, 0x0
	.amdhsa_kernel _ZN9rocsparseL18bsrxmvn_4x4_kernelILj128ELj16E21rocsparse_complex_numIfElifS2_S2_EEvT3_20rocsparse_direction_NS_24const_host_device_scalarIT1_EES3_PKS3_PKT2_SC_S9_PKT4_PKT5_S7_PT6_21rocsparse_index_base_b
		.amdhsa_group_segment_fixed_size 0
		.amdhsa_private_segment_fixed_size 0
		.amdhsa_kernarg_size 96
		.amdhsa_user_sgpr_count 6
		.amdhsa_user_sgpr_private_segment_buffer 1
		.amdhsa_user_sgpr_dispatch_ptr 0
		.amdhsa_user_sgpr_queue_ptr 0
		.amdhsa_user_sgpr_kernarg_segment_ptr 1
		.amdhsa_user_sgpr_dispatch_id 0
		.amdhsa_user_sgpr_flat_scratch_init 0
		.amdhsa_user_sgpr_kernarg_preload_length 0
		.amdhsa_user_sgpr_kernarg_preload_offset 0
		.amdhsa_user_sgpr_private_segment_size 0
		.amdhsa_uses_dynamic_stack 0
		.amdhsa_system_sgpr_private_segment_wavefront_offset 0
		.amdhsa_system_sgpr_workgroup_id_x 1
		.amdhsa_system_sgpr_workgroup_id_y 0
		.amdhsa_system_sgpr_workgroup_id_z 0
		.amdhsa_system_sgpr_workgroup_info 0
		.amdhsa_system_vgpr_workitem_id 0
		.amdhsa_next_free_vgpr 128
		.amdhsa_next_free_sgpr 18
		.amdhsa_accum_offset 128
		.amdhsa_reserve_vcc 1
		.amdhsa_reserve_flat_scratch 0
		.amdhsa_float_round_mode_32 0
		.amdhsa_float_round_mode_16_64 0
		.amdhsa_float_denorm_mode_32 3
		.amdhsa_float_denorm_mode_16_64 3
		.amdhsa_dx10_clamp 1
		.amdhsa_ieee_mode 1
		.amdhsa_fp16_overflow 0
		.amdhsa_tg_split 0
		.amdhsa_exception_fp_ieee_invalid_op 0
		.amdhsa_exception_fp_denorm_src 0
		.amdhsa_exception_fp_ieee_div_zero 0
		.amdhsa_exception_fp_ieee_overflow 0
		.amdhsa_exception_fp_ieee_underflow 0
		.amdhsa_exception_fp_ieee_inexact 0
		.amdhsa_exception_int_div_zero 0
	.end_amdhsa_kernel
	.section	.text._ZN9rocsparseL18bsrxmvn_4x4_kernelILj128ELj16E21rocsparse_complex_numIfElifS2_S2_EEvT3_20rocsparse_direction_NS_24const_host_device_scalarIT1_EES3_PKS3_PKT2_SC_S9_PKT4_PKT5_S7_PT6_21rocsparse_index_base_b,"axG",@progbits,_ZN9rocsparseL18bsrxmvn_4x4_kernelILj128ELj16E21rocsparse_complex_numIfElifS2_S2_EEvT3_20rocsparse_direction_NS_24const_host_device_scalarIT1_EES3_PKS3_PKT2_SC_S9_PKT4_PKT5_S7_PT6_21rocsparse_index_base_b,comdat
.Lfunc_end127:
	.size	_ZN9rocsparseL18bsrxmvn_4x4_kernelILj128ELj16E21rocsparse_complex_numIfElifS2_S2_EEvT3_20rocsparse_direction_NS_24const_host_device_scalarIT1_EES3_PKS3_PKT2_SC_S9_PKT4_PKT5_S7_PT6_21rocsparse_index_base_b, .Lfunc_end127-_ZN9rocsparseL18bsrxmvn_4x4_kernelILj128ELj16E21rocsparse_complex_numIfElifS2_S2_EEvT3_20rocsparse_direction_NS_24const_host_device_scalarIT1_EES3_PKS3_PKT2_SC_S9_PKT4_PKT5_S7_PT6_21rocsparse_index_base_b
                                        ; -- End function
	.section	.AMDGPU.csdata,"",@progbits
; Kernel info:
; codeLenInByte = 7228
; NumSgprs: 22
; NumVgprs: 128
; NumAgprs: 0
; TotalNumVgprs: 128
; ScratchSize: 0
; MemoryBound: 0
; FloatMode: 240
; IeeeMode: 1
; LDSByteSize: 0 bytes/workgroup (compile time only)
; SGPRBlocks: 2
; VGPRBlocks: 15
; NumSGPRsForWavesPerEU: 22
; NumVGPRsForWavesPerEU: 128
; AccumOffset: 128
; Occupancy: 4
; WaveLimiterHint : 1
; COMPUTE_PGM_RSRC2:SCRATCH_EN: 0
; COMPUTE_PGM_RSRC2:USER_SGPR: 6
; COMPUTE_PGM_RSRC2:TRAP_HANDLER: 0
; COMPUTE_PGM_RSRC2:TGID_X_EN: 1
; COMPUTE_PGM_RSRC2:TGID_Y_EN: 0
; COMPUTE_PGM_RSRC2:TGID_Z_EN: 0
; COMPUTE_PGM_RSRC2:TIDIG_COMP_CNT: 0
; COMPUTE_PGM_RSRC3_GFX90A:ACCUM_OFFSET: 31
; COMPUTE_PGM_RSRC3_GFX90A:TG_SPLIT: 0
	.section	.text._ZN9rocsparseL18bsrxmvn_4x4_kernelILj128ELj32E21rocsparse_complex_numIfElifS2_S2_EEvT3_20rocsparse_direction_NS_24const_host_device_scalarIT1_EES3_PKS3_PKT2_SC_S9_PKT4_PKT5_S7_PT6_21rocsparse_index_base_b,"axG",@progbits,_ZN9rocsparseL18bsrxmvn_4x4_kernelILj128ELj32E21rocsparse_complex_numIfElifS2_S2_EEvT3_20rocsparse_direction_NS_24const_host_device_scalarIT1_EES3_PKS3_PKT2_SC_S9_PKT4_PKT5_S7_PT6_21rocsparse_index_base_b,comdat
	.globl	_ZN9rocsparseL18bsrxmvn_4x4_kernelILj128ELj32E21rocsparse_complex_numIfElifS2_S2_EEvT3_20rocsparse_direction_NS_24const_host_device_scalarIT1_EES3_PKS3_PKT2_SC_S9_PKT4_PKT5_S7_PT6_21rocsparse_index_base_b ; -- Begin function _ZN9rocsparseL18bsrxmvn_4x4_kernelILj128ELj32E21rocsparse_complex_numIfElifS2_S2_EEvT3_20rocsparse_direction_NS_24const_host_device_scalarIT1_EES3_PKS3_PKT2_SC_S9_PKT4_PKT5_S7_PT6_21rocsparse_index_base_b
	.p2align	8
	.type	_ZN9rocsparseL18bsrxmvn_4x4_kernelILj128ELj32E21rocsparse_complex_numIfElifS2_S2_EEvT3_20rocsparse_direction_NS_24const_host_device_scalarIT1_EES3_PKS3_PKT2_SC_S9_PKT4_PKT5_S7_PT6_21rocsparse_index_base_b,@function
_ZN9rocsparseL18bsrxmvn_4x4_kernelILj128ELj32E21rocsparse_complex_numIfElifS2_S2_EEvT3_20rocsparse_direction_NS_24const_host_device_scalarIT1_EES3_PKS3_PKT2_SC_S9_PKT4_PKT5_S7_PT6_21rocsparse_index_base_b: ; @_ZN9rocsparseL18bsrxmvn_4x4_kernelILj128ELj32E21rocsparse_complex_numIfElifS2_S2_EEvT3_20rocsparse_direction_NS_24const_host_device_scalarIT1_EES3_PKS3_PKT2_SC_S9_PKT4_PKT5_S7_PT6_21rocsparse_index_base_b
; %bb.0:
	s_load_dwordx2 s[16:17], s[4:5], 0x58
	s_load_dwordx2 s[8:9], s[4:5], 0x8
	;; [unrolled: 1-line block ×3, first 2 shown]
	s_waitcnt lgkmcnt(0)
	s_bitcmp1_b32 s17, 0
	s_cselect_b64 s[0:1], -1, 0
	s_xor_b64 s[10:11], s[0:1], -1
	s_and_b64 vcc, exec, s[0:1]
	v_mov_b32_e32 v80, s8
	s_cbranch_vccnz .LBB128_2
; %bb.1:
	v_pk_mov_b32 v[2:3], s[8:9], s[8:9] op_sel:[0,1]
	flat_load_dword v80, v[2:3]
.LBB128_2:
	v_cndmask_b32_e64 v1, 0, 1, s[10:11]
	v_cmp_ne_u32_e64 s[0:1], 1, v1
	s_andn2_b64 vcc, exec, s[10:11]
	v_mov_b32_e32 v81, s9
	s_cbranch_vccz .LBB128_15
; %bb.3:
	s_and_b64 vcc, exec, s[0:1]
	v_mov_b32_e32 v82, s2
	s_cbranch_vccz .LBB128_16
.LBB128_4:
	s_and_b64 vcc, exec, s[0:1]
	v_mov_b32_e32 v83, s3
	s_cbranch_vccnz .LBB128_6
.LBB128_5:
	v_pk_mov_b32 v[2:3], s[2:3], s[2:3] op_sel:[0,1]
	flat_load_dword v83, v[2:3] offset:4
.LBB128_6:
	s_waitcnt vmcnt(0) lgkmcnt(0)
	v_and_b32_e32 v1, 0x7fffffff, v80
	v_cmp_eq_u32_e32 vcc, 0, v1
	v_cmp_eq_f32_e64 s[0:1], 0, v81
	s_and_b64 s[8:9], vcc, s[0:1]
	s_mov_b64 s[0:1], -1
	s_and_saveexec_b64 s[2:3], s[8:9]
; %bb.7:
	v_and_b32_e32 v1, 0x7fffffff, v83
	v_cmp_neq_f32_e32 vcc, 1.0, v82
	v_cmp_ne_u32_e64 s[0:1], 0, v1
	s_or_b64 s[0:1], vcc, s[0:1]
	s_orn2_b64 s[0:1], s[0:1], exec
; %bb.8:
	s_or_b64 exec, exec, s[2:3]
	s_and_saveexec_b64 s[2:3], s[0:1]
	s_cbranch_execz .LBB128_14
; %bb.9:
	s_load_dwordx2 s[8:9], s[4:5], 0x18
	s_load_dwordx2 s[0:1], s[4:5], 0x0
	v_lshrrev_b32_e32 v1, 5, v0
	v_lshl_or_b32 v84, s6, 2, v1
	s_mov_b64 s[2:3], 0
	s_waitcnt lgkmcnt(0)
	s_cmp_lg_u64 s[8:9], 0
	s_cbranch_scc0 .LBB128_17
; %bb.10:
	s_load_dword s6, s[4:5], 0x10
                                        ; implicit-def: $vgpr1
	s_waitcnt lgkmcnt(0)
	v_cmp_gt_i32_e32 vcc, s6, v84
	s_and_saveexec_b64 s[6:7], vcc
	s_xor_b64 s[6:7], exec, s[6:7]
	s_cbranch_execz .LBB128_12
; %bb.11:
	v_ashrrev_i32_e32 v85, 31, v84
	v_lshlrev_b64 v[2:3], 2, v[84:85]
	v_mov_b32_e32 v1, s9
	v_add_co_u32_e32 v2, vcc, s8, v2
	v_addc_co_u32_e32 v3, vcc, v1, v3, vcc
	global_load_dword v1, v[2:3], off
	s_mov_b64 s[2:3], exec
	s_waitcnt vmcnt(0)
	v_subrev_u32_e32 v1, s16, v1
.LBB128_12:
	s_or_b64 exec, exec, s[6:7]
	s_branch .LBB128_18
.LBB128_13:
	v_cmp_gt_i32_e32 vcc, s0, v84
	s_andn2_b64 s[2:3], s[2:3], exec
	s_and_b64 s[6:7], vcc, exec
	s_or_b64 s[2:3], s[2:3], s[6:7]
	s_and_b64 exec, exec, s[2:3]
	s_cbranch_execnz .LBB128_19
.LBB128_14:
	s_endpgm
.LBB128_15:
	v_pk_mov_b32 v[2:3], s[8:9], s[8:9] op_sel:[0,1]
	flat_load_dword v81, v[2:3] offset:4
	s_and_b64 vcc, exec, s[0:1]
	v_mov_b32_e32 v82, s2
	s_cbranch_vccnz .LBB128_4
.LBB128_16:
	v_pk_mov_b32 v[2:3], s[2:3], s[2:3] op_sel:[0,1]
	flat_load_dword v82, v[2:3]
	s_and_b64 vcc, exec, s[0:1]
	v_mov_b32_e32 v83, s3
	s_cbranch_vccz .LBB128_5
	s_branch .LBB128_6
.LBB128_17:
                                        ; implicit-def: $vgpr1
	s_cbranch_execnz .LBB128_13
.LBB128_18:
	v_mov_b32_e32 v84, v1
	s_and_b64 exec, exec, s[2:3]
	s_cbranch_execz .LBB128_14
.LBB128_19:
	s_load_dwordx8 s[8:15], s[4:5], 0x20
	v_ashrrev_i32_e32 v85, 31, v84
	v_lshlrev_b64 v[2:3], 3, v[84:85]
	v_and_b32_e32 v86, 31, v0
	s_load_dwordx2 s[6:7], s[4:5], 0x40
	s_waitcnt lgkmcnt(0)
	v_mov_b32_e32 v1, s9
	v_add_co_u32_e32 v4, vcc, s8, v2
	v_addc_co_u32_e32 v5, vcc, v1, v3, vcc
	v_add_co_u32_e32 v1, vcc, 8, v4
	global_load_dwordx2 v[12:13], v[4:5], off
	v_addc_co_u32_e32 v4, vcc, 0, v5, vcc
	v_mov_b32_e32 v5, s11
	v_add_co_u32_e32 v2, vcc, s10, v2
	s_cmp_eq_u64 s[10:11], 0
	v_addc_co_u32_e32 v3, vcc, v5, v3, vcc
	s_cselect_b64 vcc, -1, 0
	v_cndmask_b32_e32 v3, v3, v4, vcc
	v_cndmask_b32_e32 v2, v2, v1, vcc
	global_load_dwordx2 v[2:3], v[2:3], off
	v_mov_b32_e32 v4, s15
	s_mov_b32 s17, 0
	v_mov_b32_e32 v99, 0
	s_cmp_eq_u32 s1, 1
	s_waitcnt vmcnt(1)
	v_subrev_co_u32_e32 v0, vcc, s16, v12
	v_subbrev_co_u32_e32 v1, vcc, 0, v13, vcc
	v_add_co_u32_e32 v88, vcc, v0, v86
	v_addc_co_u32_e32 v89, vcc, 0, v1, vcc
	v_lshlrev_b64 v[0:1], 6, v[88:89]
	s_waitcnt vmcnt(0)
	v_subrev_co_u32_e32 v90, vcc, s16, v2
	v_subbrev_co_u32_e32 v91, vcc, 0, v3, vcc
	v_add_co_u32_e32 v92, vcc, s14, v0
	v_addc_co_u32_e32 v93, vcc, v4, v1, vcc
	v_cmp_lt_i64_e64 s[0:1], v[88:89], v[90:91]
	s_cbranch_scc1 .LBB128_31
; %bb.20:
	v_mov_b32_e32 v98, 0
	v_mov_b32_e32 v101, 0
	;; [unrolled: 1-line block ×7, first 2 shown]
	s_and_saveexec_b64 s[8:9], s[0:1]
	s_cbranch_execz .LBB128_30
; %bb.21:
	v_or_b32_e32 v0, 32, v86
	v_mov_b32_e32 v1, s17
	v_subrev_co_u32_e32 v0, vcc, s16, v0
	v_subb_co_u32_e32 v1, vcc, 0, v1, vcc
	v_add_co_u32_e32 v0, vcc, v0, v12
	v_addc_co_u32_e32 v1, vcc, v1, v13, vcc
	v_cmp_gt_i64_e32 vcc, v[0:1], v[90:91]
	v_cndmask_b32_e32 v1, v91, v1, vcc
	v_cndmask_b32_e32 v0, v90, v0, vcc
	v_mov_b32_e32 v4, s17
	v_sub_co_u32_e32 v5, vcc, s16, v86
	v_not_b32_e32 v3, v12
	v_subbrev_co_u32_e32 v4, vcc, 0, v4, vcc
	v_not_b32_e32 v2, v13
	v_add_co_u32_e32 v3, vcc, v5, v3
	v_addc_co_u32_e32 v2, vcc, v4, v2, vcc
	v_add_co_u32_e32 v0, vcc, v3, v0
	v_addc_co_u32_e32 v1, vcc, v2, v1, vcc
	v_lshrrev_b32_e32 v2, 5, v0
	v_add_u32_e32 v2, 1, v2
	v_and_b32_e32 v2, 3, v2
	v_mov_b32_e32 v94, 0
	v_cmp_ne_u32_e32 vcc, 0, v2
	v_mov_b32_e32 v95, v94
	v_mov_b32_e32 v96, v94
	;; [unrolled: 1-line block ×7, first 2 shown]
	v_pk_mov_b32 v[14:15], v[92:93], v[92:93] op_sel:[0,1]
	v_pk_mov_b32 v[16:17], v[88:89], v[88:89] op_sel:[0,1]
	s_and_saveexec_b64 s[10:11], vcc
	s_cbranch_execz .LBB128_25
; %bb.22:
	v_lshlrev_b64 v[4:5], 2, v[88:89]
	v_mov_b32_e32 v3, 0
	v_mov_b32_e32 v6, s13
	v_add_co_u32_e32 v4, vcc, s12, v4
	v_lshlrev_b32_e32 v2, 2, v2
	v_addc_co_u32_e32 v5, vcc, v6, v5, vcc
	s_mov_b64 s[14:15], 0
	s_movk_i32 s18, 0x800
	v_mov_b32_e32 v10, s7
	v_bfrev_b32_e32 v6, 1
	v_pk_mov_b32 v[8:9], v[2:3], v[2:3] op_sel:[0,1]
	v_pk_mov_b32 v[16:17], v[88:89], v[88:89] op_sel:[0,1]
	;; [unrolled: 1-line block ×3, first 2 shown]
	v_mov_b32_e32 v94, v3
	v_mov_b32_e32 v95, v3
	;; [unrolled: 1-line block ×8, first 2 shown]
.LBB128_23:                             ; =>This Inner Loop Header: Depth=1
	global_load_dword v2, v[4:5], off
	global_load_dwordx4 v[18:21], v[14:15], off offset:16
	global_load_dwordx4 v[22:25], v[14:15], off
	v_add_co_u32_e64 v16, s[2:3], 32, v16
	v_addc_co_u32_e64 v17, s[2:3], 0, v17, s[2:3]
	v_add_co_u32_e64 v8, s[2:3], -4, v8
	v_addc_co_u32_e64 v9, s[2:3], -1, v9, s[2:3]
	v_cmp_eq_u64_e64 s[2:3], 0, v[8:9]
	s_or_b64 s[14:15], s[2:3], s[14:15]
	s_waitcnt vmcnt(2)
	v_subrev_u32_e32 v2, s16, v2
	v_lshlrev_b32_e32 v26, 2, v2
	v_ashrrev_i32_e32 v27, 31, v26
	v_lshlrev_b64 v[26:27], 3, v[26:27]
	v_add_co_u32_e32 v42, vcc, s6, v26
	v_addc_co_u32_e32 v43, vcc, v10, v27, vcc
	global_load_dwordx4 v[26:29], v[42:43], off
	global_load_dwordx4 v[30:33], v[42:43], off offset:16
	global_load_dwordx4 v[34:37], v[14:15], off offset:32
	;; [unrolled: 1-line block ×3, first 2 shown]
	s_waitcnt vmcnt(4)
	v_mov_b32_e32 v2, v22
	v_mov_b32_e32 v7, v22
	v_add_co_u32_e32 v14, vcc, s18, v14
	v_addc_co_u32_e32 v15, vcc, 0, v15, vcc
	v_add_co_u32_e32 v4, vcc, 0x80, v4
	v_addc_co_u32_e32 v5, vcc, 0, v5, vcc
	s_waitcnt vmcnt(3)
	v_pk_fma_f32 v[42:43], v[26:27], v[2:3], v[98:99] op_sel_hi:[0,1,1]
	v_mov_b32_e32 v2, v23
	v_pk_fma_f32 v[42:43], v[26:27], v[6:7], v[42:43] op_sel:[1,0,0]
	v_mov_b32_e32 v22, v29
	v_mov_b32_e32 v7, v23
	v_pk_fma_f32 v[42:43], v[28:29], v[2:3], v[42:43] op_sel_hi:[0,1,1]
	v_mov_b32_e32 v2, v24
	v_pk_fma_f32 v[42:43], v[22:23], v[6:7], v[42:43] op_sel_hi:[0,1,1]
	v_mov_b32_e32 v7, v24
	s_waitcnt vmcnt(2)
	v_pk_fma_f32 v[42:43], v[30:31], v[2:3], v[42:43] op_sel_hi:[0,1,1]
	v_mov_b32_e32 v2, v25
	v_pk_fma_f32 v[42:43], v[30:31], v[6:7], v[42:43] op_sel:[1,0,0]
	v_mov_b32_e32 v44, v33
	v_mov_b32_e32 v7, v25
	v_pk_fma_f32 v[24:25], v[32:33], v[2:3], v[42:43] op_sel_hi:[0,1,1]
	v_mov_b32_e32 v2, v18
	v_pk_fma_f32 v[98:99], v[44:45], v[6:7], v[24:25] op_sel_hi:[0,1,1]
	v_pk_fma_f32 v[24:25], v[26:27], v[2:3], v[100:101] op_sel_hi:[0,1,1]
	v_mov_b32_e32 v7, v18
	v_mov_b32_e32 v2, v19
	v_pk_fma_f32 v[24:25], v[26:27], v[6:7], v[24:25] op_sel:[1,0,0]
	v_mov_b32_e32 v7, v19
	v_pk_fma_f32 v[18:19], v[28:29], v[2:3], v[24:25] op_sel_hi:[0,1,1]
	v_mov_b32_e32 v2, v20
	v_pk_fma_f32 v[18:19], v[22:23], v[6:7], v[18:19] op_sel_hi:[0,1,1]
	;; [unrolled: 2-line block ×3, first 2 shown]
	v_mov_b32_e32 v2, v21
	v_pk_fma_f32 v[18:19], v[30:31], v[6:7], v[18:19] op_sel:[1,0,0]
	v_mov_b32_e32 v7, v21
	v_pk_fma_f32 v[18:19], v[32:33], v[2:3], v[18:19] op_sel_hi:[0,1,1]
	s_waitcnt vmcnt(1)
	v_mov_b32_e32 v2, v34
	v_pk_fma_f32 v[100:101], v[44:45], v[6:7], v[18:19] op_sel_hi:[0,1,1]
	v_pk_fma_f32 v[18:19], v[26:27], v[2:3], v[96:97] op_sel_hi:[0,1,1]
	v_mov_b32_e32 v7, v34
	v_mov_b32_e32 v2, v35
	v_pk_fma_f32 v[18:19], v[26:27], v[6:7], v[18:19] op_sel:[1,0,0]
	v_mov_b32_e32 v7, v35
	v_pk_fma_f32 v[18:19], v[28:29], v[2:3], v[18:19] op_sel_hi:[0,1,1]
	v_mov_b32_e32 v2, v36
	v_pk_fma_f32 v[18:19], v[22:23], v[6:7], v[18:19] op_sel_hi:[0,1,1]
	;; [unrolled: 2-line block ×3, first 2 shown]
	v_mov_b32_e32 v2, v37
	v_pk_fma_f32 v[18:19], v[30:31], v[6:7], v[18:19] op_sel:[1,0,0]
	v_mov_b32_e32 v7, v37
	v_pk_fma_f32 v[18:19], v[32:33], v[2:3], v[18:19] op_sel_hi:[0,1,1]
	s_waitcnt vmcnt(0)
	v_mov_b32_e32 v2, v38
	v_pk_fma_f32 v[96:97], v[44:45], v[6:7], v[18:19] op_sel_hi:[0,1,1]
	v_pk_fma_f32 v[18:19], v[26:27], v[2:3], v[94:95] op_sel_hi:[0,1,1]
	v_mov_b32_e32 v7, v38
	v_mov_b32_e32 v2, v39
	v_pk_fma_f32 v[18:19], v[26:27], v[6:7], v[18:19] op_sel:[1,0,0]
	v_mov_b32_e32 v7, v39
	v_pk_fma_f32 v[18:19], v[28:29], v[2:3], v[18:19] op_sel_hi:[0,1,1]
	v_mov_b32_e32 v2, v40
	v_pk_fma_f32 v[18:19], v[22:23], v[6:7], v[18:19] op_sel_hi:[0,1,1]
	;; [unrolled: 2-line block ×3, first 2 shown]
	v_mov_b32_e32 v2, v41
	v_pk_fma_f32 v[18:19], v[30:31], v[6:7], v[18:19] op_sel:[1,0,0]
	v_mov_b32_e32 v7, v41
	v_pk_fma_f32 v[18:19], v[32:33], v[2:3], v[18:19] op_sel_hi:[0,1,1]
	v_pk_fma_f32 v[94:95], v[44:45], v[6:7], v[18:19] op_sel_hi:[0,1,1]
	s_andn2_b64 exec, exec, s[14:15]
	s_cbranch_execnz .LBB128_23
; %bb.24:
	s_or_b64 exec, exec, s[14:15]
.LBB128_25:
	s_or_b64 exec, exec, s[10:11]
	s_mov_b64 s[2:3], 0x5f
	v_cmp_lt_u64_e32 vcc, s[2:3], v[0:1]
	s_and_saveexec_b64 s[10:11], vcc
	s_cbranch_execz .LBB128_29
; %bb.26:
	v_lshlrev_b64 v[0:1], 2, v[16:17]
	v_mov_b32_e32 v2, s13
	v_add_co_u32_e32 v0, vcc, s12, v0
	v_addc_co_u32_e32 v1, vcc, v1, v2, vcc
	v_add_co_u32_e32 v18, vcc, 0x100, v0
	v_addc_co_u32_e32 v19, vcc, 0, v1, vcc
	s_mov_b64 s[14:15], 0
	v_mov_b32_e32 v30, s7
	s_movk_i32 s18, 0x1000
	s_movk_i32 s19, 0x80
	v_mov_b32_e32 v21, 0
	v_bfrev_b32_e32 v22, 1
.LBB128_27:                             ; =>This Inner Loop Header: Depth=1
	global_load_dword v0, v[18:19], off offset:-256
	s_waitcnt vmcnt(0)
	v_subrev_u32_e32 v0, s16, v0
	v_lshlrev_b32_e32 v4, 2, v0
	v_ashrrev_i32_e32 v5, 31, v4
	v_lshlrev_b64 v[4:5], 3, v[4:5]
	v_add_co_u32_e32 v4, vcc, s6, v4
	v_addc_co_u32_e32 v5, vcc, v30, v5, vcc
	global_load_dwordx4 v[0:3], v[14:15], off offset:48
	global_load_dwordx4 v[24:27], v[14:15], off offset:32
	;; [unrolled: 1-line block ×3, first 2 shown]
	global_load_dwordx4 v[36:39], v[14:15], off
	global_load_dwordx4 v[40:43], v[4:5], off offset:16
	global_load_dwordx4 v[44:47], v[4:5], off
	global_load_dword v6, v[18:19], off offset:-128
	global_load_dwordx4 v[48:51], v[14:15], off offset:2096
	global_load_dwordx4 v[52:55], v[14:15], off offset:2080
	;; [unrolled: 1-line block ×4, first 2 shown]
	s_waitcnt vmcnt(7)
	v_mov_b32_e32 v20, v36
	s_waitcnt vmcnt(4)
	v_subrev_u32_e32 v4, s16, v6
	v_lshlrev_b32_e32 v4, 2, v4
	v_ashrrev_i32_e32 v5, 31, v4
	v_lshlrev_b64 v[4:5], 3, v[4:5]
	v_add_co_u32_e32 v28, vcc, s6, v4
	v_addc_co_u32_e32 v29, vcc, v30, v5, vcc
	global_load_dwordx4 v[4:7], v[28:29], off offset:16
	global_load_dwordx4 v[8:11], v[28:29], off
	v_pk_fma_f32 v[28:29], v[44:45], v[20:21], v[98:99] op_sel_hi:[0,1,1]
	v_mov_b32_e32 v23, v36
	v_pk_fma_f32 v[28:29], v[44:45], v[22:23], v[28:29] op_sel:[1,0,0]
	v_mov_b32_e32 v20, v37
	v_pk_fma_f32 v[28:29], v[46:47], v[20:21], v[28:29] op_sel_hi:[0,1,1]
	v_mov_b32_e32 v36, v47
	v_mov_b32_e32 v23, v37
	v_pk_fma_f32 v[28:29], v[36:37], v[22:23], v[28:29] op_sel_hi:[0,1,1]
	v_mov_b32_e32 v20, v38
	v_pk_fma_f32 v[28:29], v[40:41], v[20:21], v[28:29] op_sel_hi:[0,1,1]
	v_mov_b32_e32 v23, v38
	v_pk_fma_f32 v[28:29], v[40:41], v[22:23], v[28:29] op_sel:[1,0,0]
	v_mov_b32_e32 v20, v39
	v_pk_fma_f32 v[28:29], v[42:43], v[20:21], v[28:29] op_sel_hi:[0,1,1]
	v_mov_b32_e32 v38, v43
	v_mov_b32_e32 v23, v39
	v_pk_fma_f32 v[28:29], v[38:39], v[22:23], v[28:29] op_sel_hi:[0,1,1]
	s_waitcnt vmcnt(2)
	v_mov_b32_e32 v20, v60
	v_mov_b32_e32 v23, v60
	s_waitcnt vmcnt(0)
	v_pk_fma_f32 v[28:29], v[8:9], v[20:21], v[28:29] op_sel_hi:[0,1,1]
	v_mov_b32_e32 v20, v32
	v_pk_fma_f32 v[28:29], v[8:9], v[22:23], v[28:29] op_sel:[1,0,0]
	v_pk_fma_f32 v[64:65], v[44:45], v[20:21], v[100:101] op_sel_hi:[0,1,1]
	v_mov_b32_e32 v23, v32
	v_pk_fma_f32 v[64:65], v[44:45], v[22:23], v[64:65] op_sel:[1,0,0]
	v_mov_b32_e32 v20, v33
	v_pk_fma_f32 v[64:65], v[46:47], v[20:21], v[64:65] op_sel_hi:[0,1,1]
	v_mov_b32_e32 v23, v33
	v_pk_fma_f32 v[32:33], v[36:37], v[22:23], v[64:65] op_sel_hi:[0,1,1]
	v_mov_b32_e32 v20, v34
	v_pk_fma_f32 v[32:33], v[40:41], v[20:21], v[32:33] op_sel_hi:[0,1,1]
	v_mov_b32_e32 v23, v34
	v_pk_fma_f32 v[32:33], v[40:41], v[22:23], v[32:33] op_sel:[1,0,0]
	v_mov_b32_e32 v20, v35
	v_pk_fma_f32 v[32:33], v[42:43], v[20:21], v[32:33] op_sel_hi:[0,1,1]
	v_mov_b32_e32 v23, v35
	v_pk_fma_f32 v[32:33], v[38:39], v[22:23], v[32:33] op_sel_hi:[0,1,1]
	v_mov_b32_e32 v20, v56
	v_pk_fma_f32 v[32:33], v[8:9], v[20:21], v[32:33] op_sel_hi:[0,1,1]
	v_mov_b32_e32 v23, v56
	v_mov_b32_e32 v20, v24
	v_pk_fma_f32 v[68:69], v[8:9], v[22:23], v[32:33] op_sel:[1,0,0]
	v_pk_fma_f32 v[32:33], v[44:45], v[20:21], v[96:97] op_sel_hi:[0,1,1]
	v_mov_b32_e32 v23, v24
	v_pk_fma_f32 v[32:33], v[44:45], v[22:23], v[32:33] op_sel:[1,0,0]
	v_mov_b32_e32 v20, v25
	v_pk_fma_f32 v[32:33], v[46:47], v[20:21], v[32:33] op_sel_hi:[0,1,1]
	v_mov_b32_e32 v23, v25
	v_pk_fma_f32 v[24:25], v[36:37], v[22:23], v[32:33] op_sel_hi:[0,1,1]
	v_mov_b32_e32 v20, v26
	v_pk_fma_f32 v[24:25], v[40:41], v[20:21], v[24:25] op_sel_hi:[0,1,1]
	v_mov_b32_e32 v23, v26
	v_pk_fma_f32 v[24:25], v[40:41], v[22:23], v[24:25] op_sel:[1,0,0]
	v_mov_b32_e32 v20, v27
	v_pk_fma_f32 v[24:25], v[42:43], v[20:21], v[24:25] op_sel_hi:[0,1,1]
	v_mov_b32_e32 v23, v27
	v_pk_fma_f32 v[24:25], v[38:39], v[22:23], v[24:25] op_sel_hi:[0,1,1]
	v_mov_b32_e32 v20, v52
	v_pk_fma_f32 v[24:25], v[8:9], v[20:21], v[24:25] op_sel_hi:[0,1,1]
	v_mov_b32_e32 v23, v52
	;; [unrolled: 20-line block ×3, first 2 shown]
	v_pk_fma_f32 v[70:71], v[8:9], v[22:23], v[0:1] op_sel:[1,0,0]
	global_load_dword v0, v[18:19], off
	v_add_co_u32_e32 v8, vcc, s18, v14
	v_addc_co_u32_e32 v9, vcc, 0, v15, vcc
	global_load_dwordx4 v[32:35], v[8:9], off
	global_load_dwordx4 v[36:39], v[8:9], off offset:48
	global_load_dwordx4 v[40:43], v[8:9], off offset:32
	;; [unrolled: 1-line block ×3, first 2 shown]
	v_mov_b32_e32 v20, v61
	v_mov_b32_e32 v48, v11
	;; [unrolled: 1-line block ×4, first 2 shown]
	s_waitcnt vmcnt(4)
	v_subrev_u32_e32 v0, s16, v0
	v_lshlrev_b32_e32 v0, 2, v0
	v_ashrrev_i32_e32 v1, 31, v0
	v_lshlrev_b64 v[0:1], 3, v[0:1]
	v_add_co_u32_e32 v24, vcc, s6, v0
	v_addc_co_u32_e32 v25, vcc, v30, v1, vcc
	global_load_dwordx4 v[0:3], v[24:25], off offset:16
	global_load_dwordx4 v[64:67], v[24:25], off
	v_pk_fma_f32 v[24:25], v[10:11], v[20:21], v[28:29] op_sel_hi:[0,1,1]
	v_pk_fma_f32 v[24:25], v[48:49], v[22:23], v[24:25] op_sel_hi:[0,1,1]
	v_mov_b32_e32 v20, v62
	v_pk_fma_f32 v[24:25], v[4:5], v[20:21], v[24:25] op_sel_hi:[0,1,1]
	v_mov_b32_e32 v23, v62
	v_pk_fma_f32 v[24:25], v[4:5], v[22:23], v[24:25] op_sel:[1,0,0]
	v_mov_b32_e32 v20, v63
	v_pk_fma_f32 v[24:25], v[6:7], v[20:21], v[24:25] op_sel_hi:[0,1,1]
	v_mov_b32_e32 v23, v63
	v_pk_fma_f32 v[24:25], v[52:53], v[22:23], v[24:25] op_sel_hi:[0,1,1]
	s_waitcnt vmcnt(5)
	v_mov_b32_e32 v20, v32
	v_mov_b32_e32 v23, v32
	s_waitcnt vmcnt(0)
	v_pk_fma_f32 v[24:25], v[64:65], v[20:21], v[24:25] op_sel_hi:[0,1,1]
	v_pk_fma_f32 v[24:25], v[64:65], v[22:23], v[24:25] op_sel:[1,0,0]
	v_mov_b32_e32 v20, v33
	v_pk_fma_f32 v[24:25], v[66:67], v[20:21], v[24:25] op_sel_hi:[0,1,1]
	v_mov_b32_e32 v32, v67
	v_mov_b32_e32 v23, v33
	v_pk_fma_f32 v[24:25], v[32:33], v[22:23], v[24:25] op_sel_hi:[0,1,1]
	v_mov_b32_e32 v20, v34
	v_pk_fma_f32 v[28:29], v[0:1], v[20:21], v[24:25] op_sel_hi:[0,1,1]
	;; [unrolled: 2-line block ×5, first 2 shown]
	v_mov_b32_e32 v23, v58
	v_pk_fma_f32 v[24:25], v[4:5], v[22:23], v[24:25] op_sel:[1,0,0]
	v_mov_b32_e32 v20, v59
	v_pk_fma_f32 v[24:25], v[6:7], v[20:21], v[24:25] op_sel_hi:[0,1,1]
	v_mov_b32_e32 v23, v59
	v_pk_fma_f32 v[24:25], v[52:53], v[22:23], v[24:25] op_sel_hi:[0,1,1]
	;; [unrolled: 2-line block ×3, first 2 shown]
	v_mov_b32_e32 v23, v44
	v_pk_fma_f32 v[24:25], v[64:65], v[22:23], v[24:25] op_sel:[1,0,0]
	v_mov_b32_e32 v20, v45
	v_pk_fma_f32 v[24:25], v[66:67], v[20:21], v[24:25] op_sel_hi:[0,1,1]
	v_mov_b32_e32 v23, v45
	v_pk_fma_f32 v[24:25], v[32:33], v[22:23], v[24:25] op_sel_hi:[0,1,1]
	;; [unrolled: 2-line block ×6, first 2 shown]
	v_mov_b32_e32 v23, v54
	v_pk_fma_f32 v[26:27], v[4:5], v[22:23], v[26:27] op_sel:[1,0,0]
	v_mov_b32_e32 v20, v55
	v_pk_fma_f32 v[26:27], v[6:7], v[20:21], v[26:27] op_sel_hi:[0,1,1]
	v_mov_b32_e32 v23, v55
	v_pk_fma_f32 v[26:27], v[52:53], v[22:23], v[26:27] op_sel_hi:[0,1,1]
	;; [unrolled: 2-line block ×3, first 2 shown]
	v_mov_b32_e32 v23, v40
	v_pk_fma_f32 v[26:27], v[64:65], v[22:23], v[26:27] op_sel:[1,0,0]
	v_mov_b32_e32 v20, v41
	v_pk_fma_f32 v[26:27], v[66:67], v[20:21], v[26:27] op_sel_hi:[0,1,1]
	v_mov_b32_e32 v23, v41
	v_pk_fma_f32 v[26:27], v[32:33], v[22:23], v[26:27] op_sel_hi:[0,1,1]
	;; [unrolled: 2-line block ×6, first 2 shown]
	v_mov_b32_e32 v23, v50
	v_pk_fma_f32 v[4:5], v[4:5], v[22:23], v[10:11] op_sel:[1,0,0]
	v_mov_b32_e32 v20, v51
	v_pk_fma_f32 v[4:5], v[6:7], v[20:21], v[4:5] op_sel_hi:[0,1,1]
	global_load_dword v6, v[18:19], off offset:128
	v_mov_b32_e32 v23, v51
	v_pk_fma_f32 v[4:5], v[52:53], v[22:23], v[4:5] op_sel_hi:[0,1,1]
	v_mov_b32_e32 v20, v36
	v_pk_fma_f32 v[4:5], v[64:65], v[20:21], v[4:5] op_sel_hi:[0,1,1]
	v_mov_b32_e32 v23, v36
	v_pk_fma_f32 v[4:5], v[64:65], v[22:23], v[4:5] op_sel:[1,0,0]
	v_mov_b32_e32 v20, v37
	global_load_dwordx4 v[48:51], v[8:9], off offset:2096
	global_load_dwordx4 v[52:55], v[8:9], off offset:2080
	;; [unrolled: 1-line block ×4, first 2 shown]
	v_pk_fma_f32 v[4:5], v[66:67], v[20:21], v[4:5] op_sel_hi:[0,1,1]
	v_mov_b32_e32 v23, v37
	v_pk_fma_f32 v[4:5], v[32:33], v[22:23], v[4:5] op_sel_hi:[0,1,1]
	v_mov_b32_e32 v20, v38
	v_mov_b32_e32 v23, v34
	v_pk_fma_f32 v[4:5], v[0:1], v[20:21], v[4:5] op_sel_hi:[0,1,1]
	v_mov_b32_e32 v20, v35
	s_waitcnt vmcnt(4)
	v_subrev_u32_e32 v6, s16, v6
	v_lshlrev_b32_e32 v6, 2, v6
	v_ashrrev_i32_e32 v7, 31, v6
	v_lshlrev_b64 v[6:7], 3, v[6:7]
	v_add_co_u32_e32 v10, vcc, s6, v6
	v_addc_co_u32_e32 v11, vcc, v30, v7, vcc
	global_load_dwordx4 v[6:9], v[10:11], off offset:16
	global_load_dwordx4 v[64:67], v[10:11], off
	v_pk_fma_f32 v[10:11], v[0:1], v[22:23], v[28:29] op_sel:[1,0,0]
	v_pk_fma_f32 v[10:11], v[2:3], v[20:21], v[10:11] op_sel_hi:[0,1,1]
	v_mov_b32_e32 v28, v3
	v_mov_b32_e32 v23, v35
	v_pk_fma_f32 v[10:11], v[28:29], v[22:23], v[10:11] op_sel_hi:[0,1,1]
	s_waitcnt vmcnt(2)
	v_mov_b32_e32 v20, v60
	v_mov_b32_e32 v23, v60
	v_add_co_u32_e32 v16, vcc, s19, v16
	v_addc_co_u32_e32 v17, vcc, 0, v17, vcc
	v_add_co_u32_e32 v18, vcc, 0x200, v18
	v_addc_co_u32_e32 v19, vcc, 0, v19, vcc
	v_cmp_ge_i64_e64 s[2:3], v[16:17], v[90:91]
	v_add_co_u32_e32 v14, vcc, 0x2000, v14
	v_addc_co_u32_e32 v15, vcc, 0, v15, vcc
	s_or_b64 s[14:15], s[2:3], s[14:15]
	s_waitcnt vmcnt(1)
	v_mov_b32_e32 v34, v9
	s_waitcnt vmcnt(0)
	v_pk_fma_f32 v[10:11], v[64:65], v[20:21], v[10:11] op_sel_hi:[0,1,1]
	v_pk_fma_f32 v[10:11], v[64:65], v[22:23], v[10:11] op_sel:[1,0,0]
	v_mov_b32_e32 v20, v61
	v_pk_fma_f32 v[10:11], v[66:67], v[20:21], v[10:11] op_sel_hi:[0,1,1]
	v_mov_b32_e32 v32, v67
	v_mov_b32_e32 v23, v61
	v_pk_fma_f32 v[10:11], v[32:33], v[22:23], v[10:11] op_sel_hi:[0,1,1]
	v_mov_b32_e32 v20, v62
	v_pk_fma_f32 v[10:11], v[6:7], v[20:21], v[10:11] op_sel_hi:[0,1,1]
	v_mov_b32_e32 v23, v62
	v_pk_fma_f32 v[10:11], v[6:7], v[22:23], v[10:11] op_sel:[1,0,0]
	v_mov_b32_e32 v20, v63
	v_pk_fma_f32 v[10:11], v[8:9], v[20:21], v[10:11] op_sel_hi:[0,1,1]
	v_mov_b32_e32 v23, v63
	v_pk_fma_f32 v[98:99], v[34:35], v[22:23], v[10:11] op_sel_hi:[0,1,1]
	v_mov_b32_e32 v23, v46
	v_pk_fma_f32 v[10:11], v[0:1], v[22:23], v[24:25] op_sel:[1,0,0]
	v_mov_b32_e32 v20, v47
	v_pk_fma_f32 v[10:11], v[2:3], v[20:21], v[10:11] op_sel_hi:[0,1,1]
	v_mov_b32_e32 v23, v47
	v_pk_fma_f32 v[10:11], v[28:29], v[22:23], v[10:11] op_sel_hi:[0,1,1]
	v_mov_b32_e32 v20, v56
	v_pk_fma_f32 v[10:11], v[64:65], v[20:21], v[10:11] op_sel_hi:[0,1,1]
	v_mov_b32_e32 v23, v56
	v_pk_fma_f32 v[10:11], v[64:65], v[22:23], v[10:11] op_sel:[1,0,0]
	v_mov_b32_e32 v20, v57
	v_pk_fma_f32 v[10:11], v[66:67], v[20:21], v[10:11] op_sel_hi:[0,1,1]
	v_mov_b32_e32 v23, v57
	v_pk_fma_f32 v[10:11], v[32:33], v[22:23], v[10:11] op_sel_hi:[0,1,1]
	v_mov_b32_e32 v20, v58
	v_pk_fma_f32 v[10:11], v[6:7], v[20:21], v[10:11] op_sel_hi:[0,1,1]
	v_mov_b32_e32 v23, v58
	v_pk_fma_f32 v[10:11], v[6:7], v[22:23], v[10:11] op_sel:[1,0,0]
	v_mov_b32_e32 v20, v59
	v_pk_fma_f32 v[10:11], v[8:9], v[20:21], v[10:11] op_sel_hi:[0,1,1]
	v_mov_b32_e32 v23, v59
	v_pk_fma_f32 v[100:101], v[34:35], v[22:23], v[10:11] op_sel_hi:[0,1,1]
	v_mov_b32_e32 v23, v42
	v_pk_fma_f32 v[10:11], v[0:1], v[22:23], v[26:27] op_sel:[1,0,0]
	v_mov_b32_e32 v20, v43
	v_pk_fma_f32 v[10:11], v[2:3], v[20:21], v[10:11] op_sel_hi:[0,1,1]
	v_mov_b32_e32 v23, v43
	v_pk_fma_f32 v[10:11], v[28:29], v[22:23], v[10:11] op_sel_hi:[0,1,1]
	v_mov_b32_e32 v20, v52
	v_pk_fma_f32 v[10:11], v[64:65], v[20:21], v[10:11] op_sel_hi:[0,1,1]
	v_mov_b32_e32 v23, v52
	v_pk_fma_f32 v[10:11], v[64:65], v[22:23], v[10:11] op_sel:[1,0,0]
	v_mov_b32_e32 v20, v53
	v_pk_fma_f32 v[10:11], v[66:67], v[20:21], v[10:11] op_sel_hi:[0,1,1]
	;; [unrolled: 22-line block ×3, first 2 shown]
	v_mov_b32_e32 v23, v49
	v_pk_fma_f32 v[0:1], v[32:33], v[22:23], v[0:1] op_sel_hi:[0,1,1]
	v_mov_b32_e32 v20, v50
	v_pk_fma_f32 v[0:1], v[6:7], v[20:21], v[0:1] op_sel_hi:[0,1,1]
	v_mov_b32_e32 v23, v50
	v_pk_fma_f32 v[0:1], v[6:7], v[22:23], v[0:1] op_sel:[1,0,0]
	v_mov_b32_e32 v20, v51
	v_pk_fma_f32 v[0:1], v[8:9], v[20:21], v[0:1] op_sel_hi:[0,1,1]
	v_mov_b32_e32 v23, v51
	v_pk_fma_f32 v[94:95], v[34:35], v[22:23], v[0:1] op_sel_hi:[0,1,1]
	s_andn2_b64 exec, exec, s[14:15]
	s_cbranch_execnz .LBB128_27
; %bb.28:
	s_or_b64 exec, exec, s[14:15]
.LBB128_29:
	s_or_b64 exec, exec, s[10:11]
.LBB128_30:
	s_or_b64 exec, exec, s[8:9]
	s_cbranch_execz .LBB128_32
	s_branch .LBB128_43
.LBB128_31:
                                        ; implicit-def: $vgpr99
                                        ; implicit-def: $vgpr101
                                        ; implicit-def: $vgpr97
                                        ; implicit-def: $vgpr95
.LBB128_32:
	v_mov_b32_e32 v99, 0
	v_mov_b32_e32 v98, 0
	;; [unrolled: 1-line block ×8, first 2 shown]
	s_and_saveexec_b64 s[2:3], s[0:1]
	s_cbranch_execz .LBB128_42
; %bb.33:
	v_or_b32_e32 v0, 32, v86
	v_mov_b32_e32 v1, s17
	v_subrev_co_u32_e32 v0, vcc, s16, v0
	v_subb_co_u32_e32 v1, vcc, 0, v1, vcc
	v_add_co_u32_e32 v0, vcc, v0, v12
	v_addc_co_u32_e32 v1, vcc, v1, v13, vcc
	v_cmp_gt_i64_e32 vcc, v[0:1], v[90:91]
	v_cndmask_b32_e32 v1, v91, v1, vcc
	v_cndmask_b32_e32 v0, v90, v0, vcc
	v_mov_b32_e32 v4, s17
	v_sub_co_u32_e32 v5, vcc, s16, v86
	v_not_b32_e32 v3, v12
	v_subbrev_co_u32_e32 v4, vcc, 0, v4, vcc
	v_not_b32_e32 v2, v13
	v_add_co_u32_e32 v3, vcc, v5, v3
	v_addc_co_u32_e32 v2, vcc, v4, v2, vcc
	v_add_co_u32_e32 v0, vcc, v3, v0
	v_addc_co_u32_e32 v1, vcc, v2, v1, vcc
	v_lshrrev_b32_e32 v2, 5, v0
	v_add_u32_e32 v2, 1, v2
	v_and_b32_e32 v2, 3, v2
	v_mov_b32_e32 v94, 0
	v_cmp_ne_u32_e32 vcc, 0, v2
	v_mov_b32_e32 v95, v94
	v_mov_b32_e32 v96, v94
	;; [unrolled: 1-line block ×7, first 2 shown]
	s_and_saveexec_b64 s[8:9], vcc
	s_cbranch_execz .LBB128_37
; %bb.34:
	v_lshlrev_b64 v[4:5], 2, v[88:89]
	v_mov_b32_e32 v3, 0
	v_mov_b32_e32 v6, s13
	v_add_co_u32_e32 v4, vcc, s12, v4
	v_lshlrev_b32_e32 v2, 2, v2
	v_addc_co_u32_e32 v5, vcc, v6, v5, vcc
	s_mov_b64 s[10:11], 0
	s_movk_i32 s14, 0x800
	v_mov_b32_e32 v10, s7
	v_bfrev_b32_e32 v6, 1
	v_pk_mov_b32 v[8:9], v[2:3], v[2:3] op_sel:[0,1]
	v_mov_b32_e32 v94, v3
	v_mov_b32_e32 v95, v3
	;; [unrolled: 1-line block ×8, first 2 shown]
.LBB128_35:                             ; =>This Inner Loop Header: Depth=1
	global_load_dword v2, v[4:5], off
	global_load_dwordx4 v[12:15], v[92:93], off offset:32
	global_load_dwordx4 v[16:19], v[92:93], off offset:16
	global_load_dwordx4 v[20:23], v[92:93], off
	v_add_co_u32_e64 v88, s[0:1], 32, v88
	v_addc_co_u32_e64 v89, s[0:1], 0, v89, s[0:1]
	v_add_co_u32_e64 v8, s[0:1], -4, v8
	v_addc_co_u32_e64 v9, s[0:1], -1, v9, s[0:1]
	v_cmp_eq_u64_e64 s[0:1], 0, v[8:9]
	s_or_b64 s[10:11], s[0:1], s[10:11]
	s_waitcnt vmcnt(3)
	v_subrev_u32_e32 v2, s16, v2
	v_lshlrev_b32_e32 v24, 2, v2
	v_ashrrev_i32_e32 v25, 31, v24
	v_lshlrev_b64 v[24:25], 3, v[24:25]
	v_add_co_u32_e32 v36, vcc, s6, v24
	v_addc_co_u32_e32 v37, vcc, v10, v25, vcc
	global_load_dwordx4 v[24:27], v[36:37], off
	global_load_dwordx4 v[28:31], v[36:37], off offset:16
	global_load_dwordx4 v[32:35], v[92:93], off offset:48
	s_waitcnt vmcnt(3)
	v_mov_b32_e32 v2, v20
	v_mov_b32_e32 v7, v20
	v_add_co_u32_e32 v92, vcc, s14, v92
	v_addc_co_u32_e32 v93, vcc, 0, v93, vcc
	v_add_co_u32_e32 v4, vcc, 0x80, v4
	v_addc_co_u32_e32 v5, vcc, 0, v5, vcc
	s_waitcnt vmcnt(2)
	v_pk_fma_f32 v[36:37], v[24:25], v[2:3], v[98:99] op_sel_hi:[0,1,1]
	v_mov_b32_e32 v2, v16
	v_pk_fma_f32 v[36:37], v[24:25], v[6:7], v[36:37] op_sel:[1,0,0]
	v_mov_b32_e32 v20, v27
	v_mov_b32_e32 v7, v16
	v_pk_fma_f32 v[36:37], v[26:27], v[2:3], v[36:37] op_sel_hi:[0,1,1]
	v_mov_b32_e32 v2, v12
	v_pk_fma_f32 v[36:37], v[20:21], v[6:7], v[36:37] op_sel_hi:[0,1,1]
	v_mov_b32_e32 v7, v12
	s_waitcnt vmcnt(1)
	v_pk_fma_f32 v[36:37], v[28:29], v[2:3], v[36:37] op_sel_hi:[0,1,1]
	s_waitcnt vmcnt(0)
	v_mov_b32_e32 v2, v32
	v_pk_fma_f32 v[36:37], v[28:29], v[6:7], v[36:37] op_sel:[1,0,0]
	v_mov_b32_e32 v38, v31
	v_mov_b32_e32 v7, v32
	v_pk_fma_f32 v[36:37], v[30:31], v[2:3], v[36:37] op_sel_hi:[0,1,1]
	v_mov_b32_e32 v2, v21
	v_pk_fma_f32 v[98:99], v[38:39], v[6:7], v[36:37] op_sel_hi:[0,1,1]
	v_pk_fma_f32 v[36:37], v[24:25], v[2:3], v[100:101] op_sel_hi:[0,1,1]
	v_mov_b32_e32 v7, v21
	v_mov_b32_e32 v2, v17
	v_pk_fma_f32 v[36:37], v[24:25], v[6:7], v[36:37] op_sel:[1,0,0]
	v_mov_b32_e32 v7, v17
	v_pk_fma_f32 v[16:17], v[26:27], v[2:3], v[36:37] op_sel_hi:[0,1,1]
	v_mov_b32_e32 v2, v13
	v_pk_fma_f32 v[16:17], v[20:21], v[6:7], v[16:17] op_sel_hi:[0,1,1]
	v_mov_b32_e32 v7, v13
	v_pk_fma_f32 v[12:13], v[28:29], v[2:3], v[16:17] op_sel_hi:[0,1,1]
	v_mov_b32_e32 v2, v33
	v_pk_fma_f32 v[12:13], v[28:29], v[6:7], v[12:13] op_sel:[1,0,0]
	v_mov_b32_e32 v7, v33
	v_pk_fma_f32 v[12:13], v[30:31], v[2:3], v[12:13] op_sel_hi:[0,1,1]
	v_mov_b32_e32 v2, v22
	v_pk_fma_f32 v[100:101], v[38:39], v[6:7], v[12:13] op_sel_hi:[0,1,1]
	v_pk_fma_f32 v[12:13], v[24:25], v[2:3], v[96:97] op_sel_hi:[0,1,1]
	v_mov_b32_e32 v7, v22
	v_mov_b32_e32 v2, v18
	v_pk_fma_f32 v[12:13], v[24:25], v[6:7], v[12:13] op_sel:[1,0,0]
	v_mov_b32_e32 v7, v18
	v_pk_fma_f32 v[12:13], v[26:27], v[2:3], v[12:13] op_sel_hi:[0,1,1]
	v_mov_b32_e32 v2, v14
	v_pk_fma_f32 v[12:13], v[20:21], v[6:7], v[12:13] op_sel_hi:[0,1,1]
	v_mov_b32_e32 v7, v14
	v_pk_fma_f32 v[12:13], v[28:29], v[2:3], v[12:13] op_sel_hi:[0,1,1]
	v_mov_b32_e32 v2, v34
	v_pk_fma_f32 v[12:13], v[28:29], v[6:7], v[12:13] op_sel:[1,0,0]
	;; [unrolled: 16-line block ×3, first 2 shown]
	v_mov_b32_e32 v7, v35
	v_pk_fma_f32 v[12:13], v[30:31], v[2:3], v[12:13] op_sel_hi:[0,1,1]
	v_pk_fma_f32 v[94:95], v[38:39], v[6:7], v[12:13] op_sel_hi:[0,1,1]
	s_andn2_b64 exec, exec, s[10:11]
	s_cbranch_execnz .LBB128_35
; %bb.36:
	s_or_b64 exec, exec, s[10:11]
.LBB128_37:
	s_or_b64 exec, exec, s[8:9]
	s_mov_b64 s[0:1], 0x5f
	v_cmp_lt_u64_e32 vcc, s[0:1], v[0:1]
	s_and_saveexec_b64 s[8:9], vcc
	s_cbranch_execz .LBB128_41
; %bb.38:
	v_lshlrev_b64 v[0:1], 2, v[88:89]
	v_mov_b32_e32 v2, s13
	v_add_co_u32_e32 v0, vcc, s12, v0
	v_addc_co_u32_e32 v1, vcc, v1, v2, vcc
	v_add_co_u32_e32 v102, vcc, 0x100, v0
	v_addc_co_u32_e32 v103, vcc, 0, v1, vcc
	s_mov_b64 s[10:11], 0
	v_mov_b32_e32 v85, s7
	s_movk_i32 s7, 0x1000
	s_movk_i32 s12, 0x80
	v_mov_b32_e32 v105, 0
	v_bfrev_b32_e32 v106, 1
.LBB128_39:                             ; =>This Inner Loop Header: Depth=1
	global_load_dword v56, v[102:103], off offset:-256
	global_load_dword v57, v[102:103], off offset:-128
	global_load_dwordx4 v[12:15], v[92:93], off
	global_load_dword v60, v[102:103], off
	global_load_dword v61, v[102:103], off offset:128
	global_load_dwordx4 v[110:113], v[92:93], off offset:16
	global_load_dwordx4 v[16:19], v[92:93], off offset:48
	;; [unrolled: 1-line block ×7, first 2 shown]
	v_add_co_u32_e32 v58, vcc, s7, v92
	v_addc_co_u32_e32 v59, vcc, 0, v93, vcc
	v_add_co_u32_e32 v88, vcc, s12, v88
	v_addc_co_u32_e32 v89, vcc, 0, v89, vcc
	v_add_co_u32_e32 v102, vcc, 0x200, v102
	v_addc_co_u32_e32 v103, vcc, 0, v103, vcc
	global_load_dwordx4 v[36:39], v[58:59], off offset:48
	global_load_dwordx4 v[40:43], v[58:59], off offset:32
	global_load_dwordx4 v[52:55], v[58:59], off
	global_load_dwordx4 v[48:51], v[58:59], off offset:16
	global_load_dwordx4 v[24:27], v[58:59], off offset:2096
	global_load_dwordx4 v[28:31], v[58:59], off offset:2080
	global_load_dwordx4 v[32:35], v[58:59], off offset:2064
	global_load_dwordx4 v[44:47], v[58:59], off offset:2048
	v_add_co_u32_e32 v92, vcc, 0x2000, v92
	v_addc_co_u32_e32 v93, vcc, 0, v93, vcc
	v_cmp_ge_i64_e64 s[0:1], v[88:89], v[90:91]
	s_or_b64 s[10:11], s[0:1], s[10:11]
	s_waitcnt vmcnt(19)
	v_subrev_u32_e32 v56, s16, v56
	s_waitcnt vmcnt(18)
	v_subrev_u32_e32 v57, s16, v57
	v_lshlrev_b32_e32 v56, 2, v56
	v_lshlrev_b32_e32 v58, 2, v57
	v_ashrrev_i32_e32 v57, 31, v56
	s_waitcnt vmcnt(15)
	v_subrev_u32_e32 v59, s16, v61
	v_lshlrev_b64 v[56:57], 3, v[56:57]
	v_mov_b32_e32 v104, v12
	v_mov_b32_e32 v107, v12
	v_subrev_u32_e32 v12, s16, v60
	v_lshlrev_b32_e32 v62, 2, v59
	v_ashrrev_i32_e32 v59, 31, v58
	v_add_co_u32_e32 v56, vcc, s6, v56
	v_lshlrev_b32_e32 v60, 2, v12
	v_lshlrev_b64 v[58:59], 3, v[58:59]
	v_addc_co_u32_e32 v57, vcc, v85, v57, vcc
	v_ashrrev_i32_e32 v61, 31, v60
	v_add_co_u32_e32 v58, vcc, s6, v58
	v_lshlrev_b64 v[60:61], 3, v[60:61]
	v_addc_co_u32_e32 v59, vcc, v85, v59, vcc
	v_ashrrev_i32_e32 v63, 31, v62
	v_add_co_u32_e32 v108, vcc, s6, v60
	v_lshlrev_b64 v[62:63], 3, v[62:63]
	v_addc_co_u32_e32 v109, vcc, v85, v61, vcc
	v_add_co_u32_e32 v126, vcc, s6, v62
	v_addc_co_u32_e32 v127, vcc, v85, v63, vcc
	global_load_dwordx4 v[118:121], v[56:57], off
	global_load_dwordx4 v[122:125], v[56:57], off offset:16
	global_load_dwordx4 v[76:79], v[58:59], off
	global_load_dwordx4 v[72:75], v[58:59], off offset:16
	;; [unrolled: 2-line block ×3, first 2 shown]
	global_load_dwordx4 v[60:63], v[126:127], off
                                        ; kill: killed $vgpr56 killed $vgpr57
                                        ; kill: killed $vgpr108 killed $vgpr109
                                        ; kill: killed $vgpr58 killed $vgpr59
	s_nop 0
	global_load_dwordx4 v[56:59], v[126:127], off offset:16
	s_waitcnt vmcnt(7)
	v_pk_fma_f32 v[108:109], v[118:119], v[104:105], v[98:99] op_sel_hi:[0,1,1]
	v_mov_b32_e32 v104, v110
	v_pk_fma_f32 v[108:109], v[118:119], v[106:107], v[108:109] op_sel:[1,0,0]
	v_mov_b32_e32 v126, v121
	v_mov_b32_e32 v107, v110
	v_pk_fma_f32 v[108:109], v[120:121], v[104:105], v[108:109] op_sel_hi:[0,1,1]
	v_mov_b32_e32 v104, v114
	v_pk_fma_f32 v[108:109], v[126:127], v[106:107], v[108:109] op_sel_hi:[0,1,1]
	v_mov_b32_e32 v107, v114
	s_waitcnt vmcnt(6)
	v_pk_fma_f32 v[108:109], v[122:123], v[104:105], v[108:109] op_sel_hi:[0,1,1]
	v_mov_b32_e32 v104, v16
	v_pk_fma_f32 v[108:109], v[122:123], v[106:107], v[108:109] op_sel:[1,0,0]
	v_mov_b32_e32 v98, v125
	v_mov_b32_e32 v107, v16
	v_pk_fma_f32 v[108:109], v[124:125], v[104:105], v[108:109] op_sel_hi:[0,1,1]
	v_mov_b32_e32 v104, v20
	v_pk_fma_f32 v[108:109], v[98:99], v[106:107], v[108:109] op_sel_hi:[0,1,1]
	v_mov_b32_e32 v107, v20
	s_waitcnt vmcnt(5)
	v_pk_fma_f32 v[108:109], v[76:77], v[104:105], v[108:109] op_sel_hi:[0,1,1]
	v_mov_b32_e32 v104, v13
	v_pk_fma_f32 v[108:109], v[76:77], v[106:107], v[108:109] op_sel:[1,0,0]
	v_pk_fma_f32 v[100:101], v[118:119], v[104:105], v[100:101] op_sel_hi:[0,1,1]
	v_mov_b32_e32 v107, v13
	v_mov_b32_e32 v104, v111
	v_pk_fma_f32 v[100:101], v[118:119], v[106:107], v[100:101] op_sel:[1,0,0]
	v_mov_b32_e32 v107, v111
	v_pk_fma_f32 v[100:101], v[120:121], v[104:105], v[100:101] op_sel_hi:[0,1,1]
	v_mov_b32_e32 v104, v115
	v_pk_fma_f32 v[100:101], v[126:127], v[106:107], v[100:101] op_sel_hi:[0,1,1]
	v_mov_b32_e32 v107, v115
	v_pk_fma_f32 v[100:101], v[122:123], v[104:105], v[100:101] op_sel_hi:[0,1,1]
	v_mov_b32_e32 v104, v17
	v_pk_fma_f32 v[100:101], v[122:123], v[106:107], v[100:101] op_sel:[1,0,0]
	v_mov_b32_e32 v107, v17
	v_pk_fma_f32 v[16:17], v[124:125], v[104:105], v[100:101] op_sel_hi:[0,1,1]
	v_mov_b32_e32 v104, v21
	v_pk_fma_f32 v[16:17], v[98:99], v[106:107], v[16:17] op_sel_hi:[0,1,1]
	v_mov_b32_e32 v107, v21
	v_pk_fma_f32 v[16:17], v[76:77], v[104:105], v[16:17] op_sel_hi:[0,1,1]
	v_mov_b32_e32 v104, v14
	v_pk_fma_f32 v[20:21], v[76:77], v[106:107], v[16:17] op_sel:[1,0,0]
	v_pk_fma_f32 v[16:17], v[118:119], v[104:105], v[96:97] op_sel_hi:[0,1,1]
	v_mov_b32_e32 v107, v14
	v_mov_b32_e32 v104, v112
	v_pk_fma_f32 v[16:17], v[118:119], v[106:107], v[16:17] op_sel:[1,0,0]
	v_mov_b32_e32 v107, v112
	v_pk_fma_f32 v[16:17], v[120:121], v[104:105], v[16:17] op_sel_hi:[0,1,1]
	v_mov_b32_e32 v104, v116
	v_pk_fma_f32 v[16:17], v[126:127], v[106:107], v[16:17] op_sel_hi:[0,1,1]
	;; [unrolled: 2-line block ×3, first 2 shown]
	v_mov_b32_e32 v104, v18
	v_pk_fma_f32 v[16:17], v[122:123], v[106:107], v[16:17] op_sel:[1,0,0]
	v_mov_b32_e32 v107, v18
	v_pk_fma_f32 v[16:17], v[124:125], v[104:105], v[16:17] op_sel_hi:[0,1,1]
	v_mov_b32_e32 v104, v22
	v_pk_fma_f32 v[16:17], v[98:99], v[106:107], v[16:17] op_sel_hi:[0,1,1]
	;; [unrolled: 2-line block ×3, first 2 shown]
	v_mov_b32_e32 v104, v15
	v_pk_fma_f32 v[16:17], v[76:77], v[106:107], v[16:17] op_sel:[1,0,0]
	v_pk_fma_f32 v[94:95], v[118:119], v[104:105], v[94:95] op_sel_hi:[0,1,1]
	v_mov_b32_e32 v107, v15
	v_mov_b32_e32 v104, v113
	v_pk_fma_f32 v[14:15], v[118:119], v[106:107], v[94:95] op_sel:[1,0,0]
	v_pk_fma_f32 v[14:15], v[120:121], v[104:105], v[14:15] op_sel_hi:[0,1,1]
	v_mov_b32_e32 v107, v113
	v_pk_fma_f32 v[100:101], v[126:127], v[106:107], v[14:15] op_sel_hi:[0,1,1]
	v_mov_b32_e32 v104, v117
	v_mov_b32_e32 v107, v117
	v_pk_fma_f32 v[100:101], v[122:123], v[104:105], v[100:101] op_sel_hi:[0,1,1]
	v_mov_b32_e32 v104, v19
	v_pk_fma_f32 v[100:101], v[122:123], v[106:107], v[100:101] op_sel:[1,0,0]
	v_pk_fma_f32 v[100:101], v[124:125], v[104:105], v[100:101] op_sel_hi:[0,1,1]
	v_mov_b32_e32 v107, v19
	v_mov_b32_e32 v104, v23
	v_pk_fma_f32 v[98:99], v[98:99], v[106:107], v[100:101] op_sel_hi:[0,1,1]
	v_mov_b32_e32 v107, v23
	v_pk_fma_f32 v[98:99], v[76:77], v[104:105], v[98:99] op_sel_hi:[0,1,1]
	v_mov_b32_e32 v104, v8
	v_mov_b32_e32 v12, v79
	v_pk_fma_f32 v[76:77], v[76:77], v[106:107], v[98:99] op_sel:[1,0,0]
	v_pk_fma_f32 v[98:99], v[78:79], v[104:105], v[108:109] op_sel_hi:[0,1,1]
	v_mov_b32_e32 v107, v8
	v_mov_b32_e32 v104, v4
	v_pk_fma_f32 v[98:99], v[12:13], v[106:107], v[98:99] op_sel_hi:[0,1,1]
	v_mov_b32_e32 v107, v4
	s_waitcnt vmcnt(4)
	v_pk_fma_f32 v[98:99], v[72:73], v[104:105], v[98:99] op_sel_hi:[0,1,1]
	v_mov_b32_e32 v104, v0
	v_pk_fma_f32 v[98:99], v[72:73], v[106:107], v[98:99] op_sel:[1,0,0]
	v_mov_b32_e32 v96, v75
	v_mov_b32_e32 v107, v0
	v_pk_fma_f32 v[98:99], v[74:75], v[104:105], v[98:99] op_sel_hi:[0,1,1]
	v_mov_b32_e32 v104, v52
	v_pk_fma_f32 v[98:99], v[96:97], v[106:107], v[98:99] op_sel_hi:[0,1,1]
	v_mov_b32_e32 v107, v52
	s_waitcnt vmcnt(3)
	v_pk_fma_f32 v[98:99], v[68:69], v[104:105], v[98:99] op_sel_hi:[0,1,1]
	v_mov_b32_e32 v104, v48
	v_pk_fma_f32 v[98:99], v[68:69], v[106:107], v[98:99] op_sel:[1,0,0]
	v_mov_b32_e32 v94, v71
	v_mov_b32_e32 v107, v48
	v_pk_fma_f32 v[98:99], v[70:71], v[104:105], v[98:99] op_sel_hi:[0,1,1]
	v_mov_b32_e32 v104, v40
	v_pk_fma_f32 v[98:99], v[94:95], v[106:107], v[98:99] op_sel_hi:[0,1,1]
	s_waitcnt vmcnt(2)
	v_pk_fma_f32 v[98:99], v[64:65], v[104:105], v[98:99] op_sel_hi:[0,1,1]
	v_mov_b32_e32 v104, v9
	v_mov_b32_e32 v107, v9
	v_pk_fma_f32 v[8:9], v[78:79], v[104:105], v[20:21] op_sel_hi:[0,1,1]
	v_mov_b32_e32 v104, v5
	v_pk_fma_f32 v[8:9], v[12:13], v[106:107], v[8:9] op_sel_hi:[0,1,1]
	v_mov_b32_e32 v107, v5
	v_pk_fma_f32 v[4:5], v[72:73], v[104:105], v[8:9] op_sel_hi:[0,1,1]
	v_mov_b32_e32 v104, v1
	v_pk_fma_f32 v[4:5], v[72:73], v[106:107], v[4:5] op_sel:[1,0,0]
	v_mov_b32_e32 v107, v1
	v_pk_fma_f32 v[0:1], v[74:75], v[104:105], v[4:5] op_sel_hi:[0,1,1]
	v_mov_b32_e32 v104, v53
	v_pk_fma_f32 v[0:1], v[96:97], v[106:107], v[0:1] op_sel_hi:[0,1,1]
	v_mov_b32_e32 v107, v53
	v_pk_fma_f32 v[0:1], v[68:69], v[104:105], v[0:1] op_sel_hi:[0,1,1]
	v_mov_b32_e32 v104, v49
	v_pk_fma_f32 v[0:1], v[68:69], v[106:107], v[0:1] op_sel:[1,0,0]
	v_mov_b32_e32 v107, v49
	v_pk_fma_f32 v[0:1], v[70:71], v[104:105], v[0:1] op_sel_hi:[0,1,1]
	v_mov_b32_e32 v104, v41
	v_pk_fma_f32 v[0:1], v[94:95], v[106:107], v[0:1] op_sel_hi:[0,1,1]
	v_pk_fma_f32 v[0:1], v[64:65], v[104:105], v[0:1] op_sel_hi:[0,1,1]
	v_mov_b32_e32 v104, v10
	v_mov_b32_e32 v107, v10
	v_pk_fma_f32 v[4:5], v[78:79], v[104:105], v[16:17] op_sel_hi:[0,1,1]
	v_mov_b32_e32 v104, v6
	v_pk_fma_f32 v[4:5], v[12:13], v[106:107], v[4:5] op_sel_hi:[0,1,1]
	v_mov_b32_e32 v107, v6
	v_pk_fma_f32 v[4:5], v[72:73], v[104:105], v[4:5] op_sel_hi:[0,1,1]
	v_mov_b32_e32 v104, v2
	v_pk_fma_f32 v[4:5], v[72:73], v[106:107], v[4:5] op_sel:[1,0,0]
	v_mov_b32_e32 v107, v2
	v_pk_fma_f32 v[4:5], v[74:75], v[104:105], v[4:5] op_sel_hi:[0,1,1]
	v_mov_b32_e32 v104, v54
	v_pk_fma_f32 v[4:5], v[96:97], v[106:107], v[4:5] op_sel_hi:[0,1,1]
	v_mov_b32_e32 v107, v54
	v_pk_fma_f32 v[4:5], v[68:69], v[104:105], v[4:5] op_sel_hi:[0,1,1]
	v_mov_b32_e32 v104, v50
	v_pk_fma_f32 v[4:5], v[68:69], v[106:107], v[4:5] op_sel:[1,0,0]
	v_mov_b32_e32 v107, v50
	v_pk_fma_f32 v[4:5], v[70:71], v[104:105], v[4:5] op_sel_hi:[0,1,1]
	v_mov_b32_e32 v104, v42
	v_pk_fma_f32 v[4:5], v[94:95], v[106:107], v[4:5] op_sel_hi:[0,1,1]
	;; [unrolled: 22-line block ×3, first 2 shown]
	v_mov_b32_e32 v107, v40
	v_pk_fma_f32 v[2:3], v[64:65], v[104:105], v[2:3] op_sel_hi:[0,1,1]
	v_pk_fma_f32 v[6:7], v[64:65], v[106:107], v[98:99] op_sel:[1,0,0]
	v_mov_b32_e32 v104, v36
	v_mov_b32_e32 v14, v67
	;; [unrolled: 1-line block ×3, first 2 shown]
	v_pk_fma_f32 v[6:7], v[66:67], v[104:105], v[6:7] op_sel_hi:[0,1,1]
	v_mov_b32_e32 v104, v44
	v_pk_fma_f32 v[6:7], v[14:15], v[106:107], v[6:7] op_sel_hi:[0,1,1]
	v_mov_b32_e32 v107, v44
	s_waitcnt vmcnt(1)
	v_pk_fma_f32 v[6:7], v[60:61], v[104:105], v[6:7] op_sel_hi:[0,1,1]
	v_mov_b32_e32 v104, v32
	v_pk_fma_f32 v[6:7], v[60:61], v[106:107], v[6:7] op_sel:[1,0,0]
	v_mov_b32_e32 v22, v63
	v_mov_b32_e32 v107, v32
	v_pk_fma_f32 v[6:7], v[62:63], v[104:105], v[6:7] op_sel_hi:[0,1,1]
	v_mov_b32_e32 v104, v28
	v_pk_fma_f32 v[6:7], v[22:23], v[106:107], v[6:7] op_sel_hi:[0,1,1]
	v_mov_b32_e32 v107, v28
	s_waitcnt vmcnt(0)
	v_pk_fma_f32 v[6:7], v[56:57], v[104:105], v[6:7] op_sel_hi:[0,1,1]
	v_mov_b32_e32 v104, v24
	v_pk_fma_f32 v[6:7], v[56:57], v[106:107], v[6:7] op_sel:[1,0,0]
	v_mov_b32_e32 v18, v59
	v_mov_b32_e32 v107, v24
	v_pk_fma_f32 v[6:7], v[58:59], v[104:105], v[6:7] op_sel_hi:[0,1,1]
	v_pk_fma_f32 v[98:99], v[18:19], v[106:107], v[6:7] op_sel_hi:[0,1,1]
	v_mov_b32_e32 v107, v41
	v_mov_b32_e32 v104, v37
	v_pk_fma_f32 v[0:1], v[64:65], v[106:107], v[0:1] op_sel:[1,0,0]
	v_mov_b32_e32 v107, v37
	v_pk_fma_f32 v[0:1], v[66:67], v[104:105], v[0:1] op_sel_hi:[0,1,1]
	v_mov_b32_e32 v104, v45
	v_pk_fma_f32 v[0:1], v[14:15], v[106:107], v[0:1] op_sel_hi:[0,1,1]
	v_mov_b32_e32 v107, v45
	v_pk_fma_f32 v[0:1], v[60:61], v[104:105], v[0:1] op_sel_hi:[0,1,1]
	v_mov_b32_e32 v104, v33
	v_pk_fma_f32 v[0:1], v[60:61], v[106:107], v[0:1] op_sel:[1,0,0]
	v_mov_b32_e32 v107, v33
	v_pk_fma_f32 v[0:1], v[62:63], v[104:105], v[0:1] op_sel_hi:[0,1,1]
	v_mov_b32_e32 v104, v29
	v_pk_fma_f32 v[0:1], v[22:23], v[106:107], v[0:1] op_sel_hi:[0,1,1]
	v_mov_b32_e32 v107, v29
	v_pk_fma_f32 v[0:1], v[56:57], v[104:105], v[0:1] op_sel_hi:[0,1,1]
	v_mov_b32_e32 v104, v25
	v_pk_fma_f32 v[0:1], v[56:57], v[106:107], v[0:1] op_sel:[1,0,0]
	v_mov_b32_e32 v107, v25
	v_pk_fma_f32 v[0:1], v[58:59], v[104:105], v[0:1] op_sel_hi:[0,1,1]
	v_pk_fma_f32 v[100:101], v[18:19], v[106:107], v[0:1] op_sel_hi:[0,1,1]
	v_mov_b32_e32 v107, v42
	v_mov_b32_e32 v104, v38
	v_pk_fma_f32 v[0:1], v[64:65], v[106:107], v[4:5] op_sel:[1,0,0]
	v_mov_b32_e32 v107, v38
	v_pk_fma_f32 v[0:1], v[66:67], v[104:105], v[0:1] op_sel_hi:[0,1,1]
	v_mov_b32_e32 v104, v46
	v_pk_fma_f32 v[0:1], v[14:15], v[106:107], v[0:1] op_sel_hi:[0,1,1]
	v_mov_b32_e32 v107, v46
	v_pk_fma_f32 v[0:1], v[60:61], v[104:105], v[0:1] op_sel_hi:[0,1,1]
	v_mov_b32_e32 v104, v34
	v_pk_fma_f32 v[0:1], v[60:61], v[106:107], v[0:1] op_sel:[1,0,0]
	v_mov_b32_e32 v107, v34
	v_pk_fma_f32 v[0:1], v[62:63], v[104:105], v[0:1] op_sel_hi:[0,1,1]
	v_mov_b32_e32 v104, v30
	v_pk_fma_f32 v[0:1], v[22:23], v[106:107], v[0:1] op_sel_hi:[0,1,1]
	v_mov_b32_e32 v107, v30
	v_pk_fma_f32 v[0:1], v[56:57], v[104:105], v[0:1] op_sel_hi:[0,1,1]
	v_mov_b32_e32 v104, v26
	v_pk_fma_f32 v[0:1], v[56:57], v[106:107], v[0:1] op_sel:[1,0,0]
	v_mov_b32_e32 v107, v26
	v_pk_fma_f32 v[0:1], v[58:59], v[104:105], v[0:1] op_sel_hi:[0,1,1]
	v_pk_fma_f32 v[96:97], v[18:19], v[106:107], v[0:1] op_sel_hi:[0,1,1]
	v_mov_b32_e32 v107, v43
	v_mov_b32_e32 v104, v39
	v_pk_fma_f32 v[0:1], v[64:65], v[106:107], v[2:3] op_sel:[1,0,0]
	v_mov_b32_e32 v107, v39
	v_pk_fma_f32 v[0:1], v[66:67], v[104:105], v[0:1] op_sel_hi:[0,1,1]
	v_mov_b32_e32 v104, v47
	v_pk_fma_f32 v[0:1], v[14:15], v[106:107], v[0:1] op_sel_hi:[0,1,1]
	v_mov_b32_e32 v107, v47
	v_pk_fma_f32 v[0:1], v[60:61], v[104:105], v[0:1] op_sel_hi:[0,1,1]
	v_mov_b32_e32 v104, v35
	v_pk_fma_f32 v[0:1], v[60:61], v[106:107], v[0:1] op_sel:[1,0,0]
	v_mov_b32_e32 v107, v35
	v_pk_fma_f32 v[0:1], v[62:63], v[104:105], v[0:1] op_sel_hi:[0,1,1]
	v_mov_b32_e32 v104, v31
	v_pk_fma_f32 v[0:1], v[22:23], v[106:107], v[0:1] op_sel_hi:[0,1,1]
	v_mov_b32_e32 v107, v31
	v_pk_fma_f32 v[0:1], v[56:57], v[104:105], v[0:1] op_sel_hi:[0,1,1]
	v_mov_b32_e32 v104, v27
	v_pk_fma_f32 v[0:1], v[56:57], v[106:107], v[0:1] op_sel:[1,0,0]
	v_mov_b32_e32 v107, v27
	v_pk_fma_f32 v[0:1], v[58:59], v[104:105], v[0:1] op_sel_hi:[0,1,1]
	v_pk_fma_f32 v[94:95], v[18:19], v[106:107], v[0:1] op_sel_hi:[0,1,1]
	s_andn2_b64 exec, exec, s[10:11]
	s_cbranch_execnz .LBB128_39
; %bb.40:
	s_or_b64 exec, exec, s[10:11]
.LBB128_41:
	s_or_b64 exec, exec, s[8:9]
.LBB128_42:
	s_or_b64 exec, exec, s[2:3]
.LBB128_43:
	v_mov_b32_dpp v6, v101 row_shr:1 row_mask:0xf bank_mask:0xf
	v_add_f32_e32 v6, v101, v6
	v_mov_b32_dpp v0, v98 row_shr:1 row_mask:0xf bank_mask:0xf
	v_mov_b32_dpp v2, v99 row_shr:1 row_mask:0xf bank_mask:0xf
	v_mov_b32_dpp v7, v6 row_shr:2 row_mask:0xf bank_mask:0xf
	v_add_f32_e32 v6, v6, v7
	v_mov_b32_dpp v4, v100 row_shr:1 row_mask:0xf bank_mask:0xf
	v_add_f32_e32 v0, v98, v0
	v_mov_b32_dpp v7, v6 row_shr:4 row_mask:0xf bank_mask:0xe
	v_add_f32_e32 v6, v6, v7
	v_add_f32_e32 v2, v99, v2
	v_add_f32_e32 v4, v100, v4
	v_mov_b32_dpp v7, v6 row_shr:8 row_mask:0xf bank_mask:0xc
	v_add_f32_e32 v7, v6, v7
	v_mov_b32_dpp v6, v96 row_shr:1 row_mask:0xf bank_mask:0xf
	v_add_f32_e32 v6, v96, v6
	v_mov_b32_dpp v1, v0 row_shr:2 row_mask:0xf bank_mask:0xf
	v_mov_b32_dpp v3, v2 row_shr:2 row_mask:0xf bank_mask:0xf
	v_mov_b32_dpp v8, v6 row_shr:2 row_mask:0xf bank_mask:0xf
	v_add_f32_e32 v6, v6, v8
	v_mov_b32_dpp v5, v4 row_shr:2 row_mask:0xf bank_mask:0xf
	v_add_f32_e32 v0, v0, v1
	v_mov_b32_dpp v8, v6 row_shr:4 row_mask:0xf bank_mask:0xe
	v_add_f32_e32 v6, v6, v8
	v_add_f32_e32 v2, v2, v3
	v_add_f32_e32 v4, v4, v5
	v_mov_b32_dpp v8, v6 row_shr:8 row_mask:0xf bank_mask:0xc
	v_add_f32_e32 v10, v6, v8
	;; [unrolled: 14-line block ×4, first 2 shown]
	v_mov_b32_dpp v6, v95 row_shr:1 row_mask:0xf bank_mask:0xf
	v_add_f32_e32 v6, v95, v6
	v_mov_b32_dpp v1, v0 row_bcast:15 row_mask:0xa bank_mask:0xf
	v_mov_b32_dpp v3, v2 row_bcast:15 row_mask:0xa bank_mask:0xf
	v_mov_b32_dpp v8, v6 row_shr:2 row_mask:0xf bank_mask:0xf
	v_add_f32_e32 v6, v6, v8
	v_mov_b32_dpp v5, v4 row_bcast:15 row_mask:0xa bank_mask:0xf
	v_mov_b32_dpp v9, v7 row_bcast:15 row_mask:0xa bank_mask:0xf
	;; [unrolled: 4-line block ×3, first 2 shown]
	v_mov_b32_dpp v8, v6 row_shr:8 row_mask:0xf bank_mask:0xc
	v_add_f32_e32 v18, v6, v8
	v_mov_b32_dpp v17, v16 row_bcast:15 row_mask:0xa bank_mask:0xf
	v_cmp_eq_u32_e32 vcc, 31, v86
	v_mov_b32_dpp v19, v18 row_bcast:15 row_mask:0xa bank_mask:0xf
	s_and_b64 exec, exec, vcc
	s_cbranch_execz .LBB128_14
; %bb.44:
	s_load_dwordx2 s[2:3], s[4:5], 0x50
	v_add_f32_e32 v8, v0, v1
	v_and_b32_e32 v1, 0x7fffffff, v82
	v_cmp_eq_u32_e32 vcc, 0, v1
	v_cmp_eq_f32_e64 s[0:1], 0, v83
	v_add_f32_e32 v14, v2, v3
	v_add_f32_e32 v6, v4, v5
	;; [unrolled: 1-line block ×7, first 2 shown]
	s_and_b64 s[0:1], vcc, s[0:1]
	v_lshlrev_b32_e32 v16, 2, v84
	s_and_saveexec_b64 s[4:5], s[0:1]
	s_xor_b64 s[0:1], exec, s[4:5]
	s_cbranch_execz .LBB128_46
; %bb.45:
	v_xor_b32_e32 v18, 0x80000000, v81
	v_ashrrev_i32_e32 v17, 31, v16
	v_mov_b32_e32 v19, v80
	v_lshlrev_b64 v[16:17], 3, v[16:17]
	v_pk_mul_f32 v[14:15], v[14:15], v[18:19] op_sel_hi:[0,1]
	s_waitcnt lgkmcnt(0)
	v_mov_b32_e32 v1, s3
	v_add_co_u32_e32 v20, vcc, s2, v16
	v_pk_fma_f32 v[14:15], v[80:81], v[8:9], v[14:15] op_sel_hi:[1,0,1]
	v_pk_mul_f32 v[8:9], v[12:13], v[18:19] op_sel_hi:[0,1]
	v_addc_co_u32_e32 v21, vcc, v1, v17, vcc
	v_pk_fma_f32 v[16:17], v[80:81], v[6:7], v[8:9] op_sel_hi:[1,0,1]
	v_pk_mul_f32 v[6:7], v[10:11], v[18:19] op_sel_hi:[0,1]
	v_pk_mul_f32 v[4:5], v[4:5], v[18:19] op_sel_hi:[0,1]
	v_pk_fma_f32 v[2:3], v[80:81], v[2:3], v[6:7] op_sel_hi:[1,0,1]
	v_pk_fma_f32 v[4:5], v[80:81], v[0:1], v[4:5] op_sel_hi:[1,0,1]
	global_store_dwordx4 v[20:21], v[14:17], off
	global_store_dwordx4 v[20:21], v[2:5], off offset:16
                                        ; implicit-def: $vgpr81
                                        ; implicit-def: $vgpr82
                                        ; implicit-def: $vgpr8
                                        ; implicit-def: $vgpr14
                                        ; implicit-def: $vgpr6
                                        ; implicit-def: $vgpr12
                                        ; implicit-def: $vgpr2
                                        ; implicit-def: $vgpr10
                                        ; implicit-def: $vgpr0
                                        ; implicit-def: $vgpr4
                                        ; implicit-def: $vgpr16
.LBB128_46:
	s_andn2_saveexec_b64 s[0:1], s[0:1]
	s_cbranch_execz .LBB128_14
; %bb.47:
	v_ashrrev_i32_e32 v17, 31, v16
	v_lshlrev_b64 v[16:17], 3, v[16:17]
	s_waitcnt lgkmcnt(0)
	v_mov_b32_e32 v1, s3
	v_add_co_u32_e32 v24, vcc, s2, v16
	v_addc_co_u32_e32 v25, vcc, v1, v17, vcc
	global_load_dwordx4 v[16:19], v[24:25], off
	global_load_dwordx4 v[20:23], v[24:25], off offset:16
	v_xor_b32_e32 v26, 0x80000000, v81
	v_mov_b32_e32 v27, v80
	v_pk_mul_f32 v[14:15], v[14:15], v[26:27] op_sel_hi:[0,1]
	v_pk_mul_f32 v[12:13], v[12:13], v[26:27] op_sel_hi:[0,1]
	;; [unrolled: 1-line block ×4, first 2 shown]
	v_pk_fma_f32 v[8:9], v[80:81], v[8:9], v[14:15] op_sel_hi:[1,0,1]
	v_pk_fma_f32 v[6:7], v[80:81], v[6:7], v[12:13] op_sel_hi:[1,0,1]
	v_xor_b32_e32 v28, 0x80000000, v83
	v_mov_b32_e32 v29, v82
	v_pk_fma_f32 v[2:3], v[80:81], v[2:3], v[10:11] op_sel_hi:[1,0,1]
	v_pk_fma_f32 v[0:1], v[80:81], v[0:1], v[4:5] op_sel_hi:[1,0,1]
	s_waitcnt vmcnt(1)
	v_pk_fma_f32 v[4:5], v[82:83], v[16:17], v[8:9] op_sel_hi:[1,0,1]
	v_pk_fma_f32 v[6:7], v[82:83], v[18:19], v[6:7] op_sel_hi:[1,0,1]
	v_mov_b32_e32 v8, v19
	s_waitcnt vmcnt(0)
	v_pk_fma_f32 v[10:11], v[82:83], v[20:21], v[2:3] op_sel_hi:[1,0,1]
	v_pk_fma_f32 v[12:13], v[82:83], v[22:23], v[0:1] op_sel_hi:[1,0,1]
	v_mov_b32_e32 v14, v23
	v_pk_fma_f32 v[0:1], v[28:29], v[16:17], v[4:5] op_sel:[0,1,0]
	v_pk_fma_f32 v[2:3], v[28:29], v[8:9], v[6:7] op_sel_hi:[1,0,1]
	v_pk_fma_f32 v[4:5], v[28:29], v[20:21], v[10:11] op_sel:[0,1,0]
	v_pk_fma_f32 v[6:7], v[28:29], v[14:15], v[12:13] op_sel_hi:[1,0,1]
	global_store_dwordx4 v[24:25], v[0:3], off
	global_store_dwordx4 v[24:25], v[4:7], off offset:16
	s_endpgm
	.section	.rodata,"a",@progbits
	.p2align	6, 0x0
	.amdhsa_kernel _ZN9rocsparseL18bsrxmvn_4x4_kernelILj128ELj32E21rocsparse_complex_numIfElifS2_S2_EEvT3_20rocsparse_direction_NS_24const_host_device_scalarIT1_EES3_PKS3_PKT2_SC_S9_PKT4_PKT5_S7_PT6_21rocsparse_index_base_b
		.amdhsa_group_segment_fixed_size 0
		.amdhsa_private_segment_fixed_size 0
		.amdhsa_kernarg_size 96
		.amdhsa_user_sgpr_count 6
		.amdhsa_user_sgpr_private_segment_buffer 1
		.amdhsa_user_sgpr_dispatch_ptr 0
		.amdhsa_user_sgpr_queue_ptr 0
		.amdhsa_user_sgpr_kernarg_segment_ptr 1
		.amdhsa_user_sgpr_dispatch_id 0
		.amdhsa_user_sgpr_flat_scratch_init 0
		.amdhsa_user_sgpr_kernarg_preload_length 0
		.amdhsa_user_sgpr_kernarg_preload_offset 0
		.amdhsa_user_sgpr_private_segment_size 0
		.amdhsa_uses_dynamic_stack 0
		.amdhsa_system_sgpr_private_segment_wavefront_offset 0
		.amdhsa_system_sgpr_workgroup_id_x 1
		.amdhsa_system_sgpr_workgroup_id_y 0
		.amdhsa_system_sgpr_workgroup_id_z 0
		.amdhsa_system_sgpr_workgroup_info 0
		.amdhsa_system_vgpr_workitem_id 0
		.amdhsa_next_free_vgpr 128
		.amdhsa_next_free_sgpr 20
		.amdhsa_accum_offset 128
		.amdhsa_reserve_vcc 1
		.amdhsa_reserve_flat_scratch 0
		.amdhsa_float_round_mode_32 0
		.amdhsa_float_round_mode_16_64 0
		.amdhsa_float_denorm_mode_32 3
		.amdhsa_float_denorm_mode_16_64 3
		.amdhsa_dx10_clamp 1
		.amdhsa_ieee_mode 1
		.amdhsa_fp16_overflow 0
		.amdhsa_tg_split 0
		.amdhsa_exception_fp_ieee_invalid_op 0
		.amdhsa_exception_fp_denorm_src 0
		.amdhsa_exception_fp_ieee_div_zero 0
		.amdhsa_exception_fp_ieee_overflow 0
		.amdhsa_exception_fp_ieee_underflow 0
		.amdhsa_exception_fp_ieee_inexact 0
		.amdhsa_exception_int_div_zero 0
	.end_amdhsa_kernel
	.section	.text._ZN9rocsparseL18bsrxmvn_4x4_kernelILj128ELj32E21rocsparse_complex_numIfElifS2_S2_EEvT3_20rocsparse_direction_NS_24const_host_device_scalarIT1_EES3_PKS3_PKT2_SC_S9_PKT4_PKT5_S7_PT6_21rocsparse_index_base_b,"axG",@progbits,_ZN9rocsparseL18bsrxmvn_4x4_kernelILj128ELj32E21rocsparse_complex_numIfElifS2_S2_EEvT3_20rocsparse_direction_NS_24const_host_device_scalarIT1_EES3_PKS3_PKT2_SC_S9_PKT4_PKT5_S7_PT6_21rocsparse_index_base_b,comdat
.Lfunc_end128:
	.size	_ZN9rocsparseL18bsrxmvn_4x4_kernelILj128ELj32E21rocsparse_complex_numIfElifS2_S2_EEvT3_20rocsparse_direction_NS_24const_host_device_scalarIT1_EES3_PKS3_PKT2_SC_S9_PKT4_PKT5_S7_PT6_21rocsparse_index_base_b, .Lfunc_end128-_ZN9rocsparseL18bsrxmvn_4x4_kernelILj128ELj32E21rocsparse_complex_numIfElifS2_S2_EEvT3_20rocsparse_direction_NS_24const_host_device_scalarIT1_EES3_PKS3_PKT2_SC_S9_PKT4_PKT5_S7_PT6_21rocsparse_index_base_b
                                        ; -- End function
	.section	.AMDGPU.csdata,"",@progbits
; Kernel info:
; codeLenInByte = 7412
; NumSgprs: 24
; NumVgprs: 128
; NumAgprs: 0
; TotalNumVgprs: 128
; ScratchSize: 0
; MemoryBound: 0
; FloatMode: 240
; IeeeMode: 1
; LDSByteSize: 0 bytes/workgroup (compile time only)
; SGPRBlocks: 2
; VGPRBlocks: 15
; NumSGPRsForWavesPerEU: 24
; NumVGPRsForWavesPerEU: 128
; AccumOffset: 128
; Occupancy: 4
; WaveLimiterHint : 1
; COMPUTE_PGM_RSRC2:SCRATCH_EN: 0
; COMPUTE_PGM_RSRC2:USER_SGPR: 6
; COMPUTE_PGM_RSRC2:TRAP_HANDLER: 0
; COMPUTE_PGM_RSRC2:TGID_X_EN: 1
; COMPUTE_PGM_RSRC2:TGID_Y_EN: 0
; COMPUTE_PGM_RSRC2:TGID_Z_EN: 0
; COMPUTE_PGM_RSRC2:TIDIG_COMP_CNT: 0
; COMPUTE_PGM_RSRC3_GFX90A:ACCUM_OFFSET: 31
; COMPUTE_PGM_RSRC3_GFX90A:TG_SPLIT: 0
	.section	.text._ZN9rocsparseL18bsrxmvn_4x4_kernelILj128ELj64E21rocsparse_complex_numIfElifS2_S2_EEvT3_20rocsparse_direction_NS_24const_host_device_scalarIT1_EES3_PKS3_PKT2_SC_S9_PKT4_PKT5_S7_PT6_21rocsparse_index_base_b,"axG",@progbits,_ZN9rocsparseL18bsrxmvn_4x4_kernelILj128ELj64E21rocsparse_complex_numIfElifS2_S2_EEvT3_20rocsparse_direction_NS_24const_host_device_scalarIT1_EES3_PKS3_PKT2_SC_S9_PKT4_PKT5_S7_PT6_21rocsparse_index_base_b,comdat
	.globl	_ZN9rocsparseL18bsrxmvn_4x4_kernelILj128ELj64E21rocsparse_complex_numIfElifS2_S2_EEvT3_20rocsparse_direction_NS_24const_host_device_scalarIT1_EES3_PKS3_PKT2_SC_S9_PKT4_PKT5_S7_PT6_21rocsparse_index_base_b ; -- Begin function _ZN9rocsparseL18bsrxmvn_4x4_kernelILj128ELj64E21rocsparse_complex_numIfElifS2_S2_EEvT3_20rocsparse_direction_NS_24const_host_device_scalarIT1_EES3_PKS3_PKT2_SC_S9_PKT4_PKT5_S7_PT6_21rocsparse_index_base_b
	.p2align	8
	.type	_ZN9rocsparseL18bsrxmvn_4x4_kernelILj128ELj64E21rocsparse_complex_numIfElifS2_S2_EEvT3_20rocsparse_direction_NS_24const_host_device_scalarIT1_EES3_PKS3_PKT2_SC_S9_PKT4_PKT5_S7_PT6_21rocsparse_index_base_b,@function
_ZN9rocsparseL18bsrxmvn_4x4_kernelILj128ELj64E21rocsparse_complex_numIfElifS2_S2_EEvT3_20rocsparse_direction_NS_24const_host_device_scalarIT1_EES3_PKS3_PKT2_SC_S9_PKT4_PKT5_S7_PT6_21rocsparse_index_base_b: ; @_ZN9rocsparseL18bsrxmvn_4x4_kernelILj128ELj64E21rocsparse_complex_numIfElifS2_S2_EEvT3_20rocsparse_direction_NS_24const_host_device_scalarIT1_EES3_PKS3_PKT2_SC_S9_PKT4_PKT5_S7_PT6_21rocsparse_index_base_b
; %bb.0:
	s_load_dwordx2 s[16:17], s[4:5], 0x58
	s_load_dwordx2 s[8:9], s[4:5], 0x8
	;; [unrolled: 1-line block ×3, first 2 shown]
	s_waitcnt lgkmcnt(0)
	s_bitcmp1_b32 s17, 0
	s_cselect_b64 s[0:1], -1, 0
	s_xor_b64 s[10:11], s[0:1], -1
	s_and_b64 vcc, exec, s[0:1]
	v_mov_b32_e32 v80, s8
	s_cbranch_vccnz .LBB129_2
; %bb.1:
	v_pk_mov_b32 v[2:3], s[8:9], s[8:9] op_sel:[0,1]
	flat_load_dword v80, v[2:3]
.LBB129_2:
	v_cndmask_b32_e64 v1, 0, 1, s[10:11]
	v_cmp_ne_u32_e64 s[0:1], 1, v1
	s_andn2_b64 vcc, exec, s[10:11]
	v_mov_b32_e32 v81, s9
	s_cbranch_vccz .LBB129_15
; %bb.3:
	s_and_b64 vcc, exec, s[0:1]
	v_mov_b32_e32 v82, s2
	s_cbranch_vccz .LBB129_16
.LBB129_4:
	s_and_b64 vcc, exec, s[0:1]
	v_mov_b32_e32 v83, s3
	s_cbranch_vccnz .LBB129_6
.LBB129_5:
	v_pk_mov_b32 v[2:3], s[2:3], s[2:3] op_sel:[0,1]
	flat_load_dword v83, v[2:3] offset:4
.LBB129_6:
	s_waitcnt vmcnt(0) lgkmcnt(0)
	v_and_b32_e32 v1, 0x7fffffff, v80
	v_cmp_eq_u32_e32 vcc, 0, v1
	v_cmp_eq_f32_e64 s[0:1], 0, v81
	s_and_b64 s[8:9], vcc, s[0:1]
	s_mov_b64 s[0:1], -1
	s_and_saveexec_b64 s[2:3], s[8:9]
; %bb.7:
	v_and_b32_e32 v1, 0x7fffffff, v83
	v_cmp_neq_f32_e32 vcc, 1.0, v82
	v_cmp_ne_u32_e64 s[0:1], 0, v1
	s_or_b64 s[0:1], vcc, s[0:1]
	s_orn2_b64 s[0:1], s[0:1], exec
; %bb.8:
	s_or_b64 exec, exec, s[2:3]
	s_and_saveexec_b64 s[2:3], s[0:1]
	s_cbranch_execz .LBB129_14
; %bb.9:
	s_load_dwordx2 s[8:9], s[4:5], 0x18
	s_load_dwordx2 s[0:1], s[4:5], 0x0
	v_lshrrev_b32_e32 v1, 6, v0
	v_lshl_or_b32 v84, s6, 1, v1
	s_mov_b64 s[2:3], 0
	s_waitcnt lgkmcnt(0)
	s_cmp_lg_u64 s[8:9], 0
	s_cbranch_scc0 .LBB129_17
; %bb.10:
	s_load_dword s6, s[4:5], 0x10
                                        ; implicit-def: $vgpr1
	s_waitcnt lgkmcnt(0)
	v_cmp_gt_i32_e32 vcc, s6, v84
	s_and_saveexec_b64 s[6:7], vcc
	s_xor_b64 s[6:7], exec, s[6:7]
	s_cbranch_execz .LBB129_12
; %bb.11:
	v_ashrrev_i32_e32 v85, 31, v84
	v_lshlrev_b64 v[2:3], 2, v[84:85]
	v_mov_b32_e32 v1, s9
	v_add_co_u32_e32 v2, vcc, s8, v2
	v_addc_co_u32_e32 v3, vcc, v1, v3, vcc
	global_load_dword v1, v[2:3], off
	s_mov_b64 s[2:3], exec
	s_waitcnt vmcnt(0)
	v_subrev_u32_e32 v1, s16, v1
.LBB129_12:
	s_or_b64 exec, exec, s[6:7]
	s_branch .LBB129_18
.LBB129_13:
	v_cmp_gt_i32_e32 vcc, s0, v84
	s_andn2_b64 s[2:3], s[2:3], exec
	s_and_b64 s[6:7], vcc, exec
	s_or_b64 s[2:3], s[2:3], s[6:7]
	s_and_b64 exec, exec, s[2:3]
	s_cbranch_execnz .LBB129_19
.LBB129_14:
	s_endpgm
.LBB129_15:
	v_pk_mov_b32 v[2:3], s[8:9], s[8:9] op_sel:[0,1]
	flat_load_dword v81, v[2:3] offset:4
	s_and_b64 vcc, exec, s[0:1]
	v_mov_b32_e32 v82, s2
	s_cbranch_vccnz .LBB129_4
.LBB129_16:
	v_pk_mov_b32 v[2:3], s[2:3], s[2:3] op_sel:[0,1]
	flat_load_dword v82, v[2:3]
	s_and_b64 vcc, exec, s[0:1]
	v_mov_b32_e32 v83, s3
	s_cbranch_vccz .LBB129_5
	s_branch .LBB129_6
.LBB129_17:
                                        ; implicit-def: $vgpr1
	s_cbranch_execnz .LBB129_13
.LBB129_18:
	v_mov_b32_e32 v84, v1
	s_and_b64 exec, exec, s[2:3]
	s_cbranch_execz .LBB129_14
.LBB129_19:
	s_load_dwordx8 s[8:15], s[4:5], 0x20
	v_ashrrev_i32_e32 v85, 31, v84
	v_lshlrev_b64 v[2:3], 3, v[84:85]
	v_and_b32_e32 v86, 63, v0
	s_load_dwordx2 s[6:7], s[4:5], 0x40
	s_waitcnt lgkmcnt(0)
	v_mov_b32_e32 v1, s9
	v_add_co_u32_e32 v4, vcc, s8, v2
	v_addc_co_u32_e32 v5, vcc, v1, v3, vcc
	v_add_co_u32_e32 v1, vcc, 8, v4
	global_load_dwordx2 v[12:13], v[4:5], off
	v_addc_co_u32_e32 v4, vcc, 0, v5, vcc
	v_mov_b32_e32 v5, s11
	v_add_co_u32_e32 v2, vcc, s10, v2
	s_cmp_eq_u64 s[10:11], 0
	v_addc_co_u32_e32 v3, vcc, v5, v3, vcc
	s_cselect_b64 vcc, -1, 0
	v_cndmask_b32_e32 v3, v3, v4, vcc
	v_cndmask_b32_e32 v2, v2, v1, vcc
	global_load_dwordx2 v[2:3], v[2:3], off
	v_mov_b32_e32 v4, s15
	s_mov_b32 s17, 0
	v_mov_b32_e32 v101, 0
	s_cmp_eq_u32 s1, 1
	s_waitcnt vmcnt(1)
	v_subrev_co_u32_e32 v0, vcc, s16, v12
	v_subbrev_co_u32_e32 v1, vcc, 0, v13, vcc
	v_add_co_u32_e32 v88, vcc, v0, v86
	v_addc_co_u32_e32 v89, vcc, 0, v1, vcc
	v_lshlrev_b64 v[0:1], 6, v[88:89]
	s_waitcnt vmcnt(0)
	v_subrev_co_u32_e32 v90, vcc, s16, v2
	v_subbrev_co_u32_e32 v91, vcc, 0, v3, vcc
	v_add_co_u32_e32 v92, vcc, s14, v0
	v_addc_co_u32_e32 v93, vcc, v4, v1, vcc
	v_cmp_lt_i64_e64 s[0:1], v[88:89], v[90:91]
	s_cbranch_scc1 .LBB129_31
; %bb.20:
	v_mov_b32_e32 v100, 0
	v_mov_b32_e32 v99, 0
	;; [unrolled: 1-line block ×7, first 2 shown]
	s_and_saveexec_b64 s[8:9], s[0:1]
	s_cbranch_execz .LBB129_30
; %bb.21:
	v_or_b32_e32 v0, 64, v86
	v_mov_b32_e32 v1, s17
	v_subrev_co_u32_e32 v0, vcc, s16, v0
	v_subb_co_u32_e32 v1, vcc, 0, v1, vcc
	v_add_co_u32_e32 v0, vcc, v0, v12
	v_addc_co_u32_e32 v1, vcc, v1, v13, vcc
	v_cmp_gt_i64_e32 vcc, v[0:1], v[90:91]
	v_cndmask_b32_e32 v1, v91, v1, vcc
	v_cndmask_b32_e32 v0, v90, v0, vcc
	v_mov_b32_e32 v4, s17
	v_sub_co_u32_e32 v5, vcc, s16, v86
	v_not_b32_e32 v3, v12
	v_subbrev_co_u32_e32 v4, vcc, 0, v4, vcc
	v_not_b32_e32 v2, v13
	v_add_co_u32_e32 v3, vcc, v5, v3
	v_addc_co_u32_e32 v2, vcc, v4, v2, vcc
	v_add_co_u32_e32 v0, vcc, v3, v0
	v_addc_co_u32_e32 v1, vcc, v2, v1, vcc
	v_lshrrev_b32_e32 v2, 6, v0
	v_add_u32_e32 v2, 1, v2
	v_and_b32_e32 v2, 3, v2
	v_mov_b32_e32 v94, 0
	v_cmp_ne_u32_e32 vcc, 0, v2
	v_mov_b32_e32 v95, v94
	v_mov_b32_e32 v96, v94
	;; [unrolled: 1-line block ×7, first 2 shown]
	v_pk_mov_b32 v[14:15], v[92:93], v[92:93] op_sel:[0,1]
	v_pk_mov_b32 v[16:17], v[88:89], v[88:89] op_sel:[0,1]
	s_and_saveexec_b64 s[10:11], vcc
	s_cbranch_execz .LBB129_25
; %bb.22:
	v_lshlrev_b64 v[4:5], 2, v[88:89]
	v_mov_b32_e32 v3, 0
	v_mov_b32_e32 v6, s13
	v_add_co_u32_e32 v4, vcc, s12, v4
	v_lshlrev_b32_e32 v2, 2, v2
	v_addc_co_u32_e32 v5, vcc, v6, v5, vcc
	s_mov_b64 s[14:15], 0
	s_movk_i32 s18, 0x1000
	v_mov_b32_e32 v10, s7
	v_bfrev_b32_e32 v6, 1
	v_pk_mov_b32 v[8:9], v[2:3], v[2:3] op_sel:[0,1]
	v_pk_mov_b32 v[16:17], v[88:89], v[88:89] op_sel:[0,1]
	;; [unrolled: 1-line block ×3, first 2 shown]
	v_mov_b32_e32 v94, v3
	v_mov_b32_e32 v95, v3
	;; [unrolled: 1-line block ×8, first 2 shown]
.LBB129_23:                             ; =>This Inner Loop Header: Depth=1
	global_load_dword v2, v[4:5], off
	global_load_dwordx4 v[18:21], v[14:15], off offset:16
	global_load_dwordx4 v[22:25], v[14:15], off
	v_add_co_u32_e64 v16, s[2:3], 64, v16
	v_addc_co_u32_e64 v17, s[2:3], 0, v17, s[2:3]
	v_add_co_u32_e64 v8, s[2:3], -4, v8
	v_addc_co_u32_e64 v9, s[2:3], -1, v9, s[2:3]
	v_cmp_eq_u64_e64 s[2:3], 0, v[8:9]
	s_or_b64 s[14:15], s[2:3], s[14:15]
	s_waitcnt vmcnt(2)
	v_subrev_u32_e32 v2, s16, v2
	v_lshlrev_b32_e32 v26, 2, v2
	v_ashrrev_i32_e32 v27, 31, v26
	v_lshlrev_b64 v[26:27], 3, v[26:27]
	v_add_co_u32_e32 v42, vcc, s6, v26
	v_addc_co_u32_e32 v43, vcc, v10, v27, vcc
	global_load_dwordx4 v[26:29], v[42:43], off
	global_load_dwordx4 v[30:33], v[42:43], off offset:16
	global_load_dwordx4 v[34:37], v[14:15], off offset:32
	global_load_dwordx4 v[38:41], v[14:15], off offset:48
	s_waitcnt vmcnt(4)
	v_mov_b32_e32 v2, v22
	v_mov_b32_e32 v7, v22
	v_add_co_u32_e32 v14, vcc, s18, v14
	v_addc_co_u32_e32 v15, vcc, 0, v15, vcc
	v_add_co_u32_e32 v4, vcc, 0x100, v4
	v_addc_co_u32_e32 v5, vcc, 0, v5, vcc
	s_waitcnt vmcnt(3)
	v_pk_fma_f32 v[42:43], v[26:27], v[2:3], v[100:101] op_sel_hi:[0,1,1]
	v_mov_b32_e32 v2, v23
	v_pk_fma_f32 v[42:43], v[26:27], v[6:7], v[42:43] op_sel:[1,0,0]
	v_mov_b32_e32 v22, v29
	v_mov_b32_e32 v7, v23
	v_pk_fma_f32 v[42:43], v[28:29], v[2:3], v[42:43] op_sel_hi:[0,1,1]
	v_mov_b32_e32 v2, v24
	v_pk_fma_f32 v[42:43], v[22:23], v[6:7], v[42:43] op_sel_hi:[0,1,1]
	v_mov_b32_e32 v7, v24
	s_waitcnt vmcnt(2)
	v_pk_fma_f32 v[42:43], v[30:31], v[2:3], v[42:43] op_sel_hi:[0,1,1]
	v_mov_b32_e32 v2, v25
	v_pk_fma_f32 v[42:43], v[30:31], v[6:7], v[42:43] op_sel:[1,0,0]
	v_mov_b32_e32 v44, v33
	v_mov_b32_e32 v7, v25
	v_pk_fma_f32 v[24:25], v[32:33], v[2:3], v[42:43] op_sel_hi:[0,1,1]
	v_mov_b32_e32 v2, v18
	v_pk_fma_f32 v[100:101], v[44:45], v[6:7], v[24:25] op_sel_hi:[0,1,1]
	v_pk_fma_f32 v[24:25], v[26:27], v[2:3], v[98:99] op_sel_hi:[0,1,1]
	v_mov_b32_e32 v7, v18
	v_mov_b32_e32 v2, v19
	v_pk_fma_f32 v[24:25], v[26:27], v[6:7], v[24:25] op_sel:[1,0,0]
	v_mov_b32_e32 v7, v19
	v_pk_fma_f32 v[18:19], v[28:29], v[2:3], v[24:25] op_sel_hi:[0,1,1]
	v_mov_b32_e32 v2, v20
	v_pk_fma_f32 v[18:19], v[22:23], v[6:7], v[18:19] op_sel_hi:[0,1,1]
	;; [unrolled: 2-line block ×3, first 2 shown]
	v_mov_b32_e32 v2, v21
	v_pk_fma_f32 v[18:19], v[30:31], v[6:7], v[18:19] op_sel:[1,0,0]
	v_mov_b32_e32 v7, v21
	v_pk_fma_f32 v[18:19], v[32:33], v[2:3], v[18:19] op_sel_hi:[0,1,1]
	s_waitcnt vmcnt(1)
	v_mov_b32_e32 v2, v34
	v_pk_fma_f32 v[98:99], v[44:45], v[6:7], v[18:19] op_sel_hi:[0,1,1]
	v_pk_fma_f32 v[18:19], v[26:27], v[2:3], v[96:97] op_sel_hi:[0,1,1]
	v_mov_b32_e32 v7, v34
	v_mov_b32_e32 v2, v35
	v_pk_fma_f32 v[18:19], v[26:27], v[6:7], v[18:19] op_sel:[1,0,0]
	v_mov_b32_e32 v7, v35
	v_pk_fma_f32 v[18:19], v[28:29], v[2:3], v[18:19] op_sel_hi:[0,1,1]
	v_mov_b32_e32 v2, v36
	v_pk_fma_f32 v[18:19], v[22:23], v[6:7], v[18:19] op_sel_hi:[0,1,1]
	;; [unrolled: 2-line block ×3, first 2 shown]
	v_mov_b32_e32 v2, v37
	v_pk_fma_f32 v[18:19], v[30:31], v[6:7], v[18:19] op_sel:[1,0,0]
	v_mov_b32_e32 v7, v37
	v_pk_fma_f32 v[18:19], v[32:33], v[2:3], v[18:19] op_sel_hi:[0,1,1]
	s_waitcnt vmcnt(0)
	v_mov_b32_e32 v2, v38
	v_pk_fma_f32 v[96:97], v[44:45], v[6:7], v[18:19] op_sel_hi:[0,1,1]
	v_pk_fma_f32 v[18:19], v[26:27], v[2:3], v[94:95] op_sel_hi:[0,1,1]
	v_mov_b32_e32 v7, v38
	v_mov_b32_e32 v2, v39
	v_pk_fma_f32 v[18:19], v[26:27], v[6:7], v[18:19] op_sel:[1,0,0]
	v_mov_b32_e32 v7, v39
	v_pk_fma_f32 v[18:19], v[28:29], v[2:3], v[18:19] op_sel_hi:[0,1,1]
	v_mov_b32_e32 v2, v40
	v_pk_fma_f32 v[18:19], v[22:23], v[6:7], v[18:19] op_sel_hi:[0,1,1]
	;; [unrolled: 2-line block ×3, first 2 shown]
	v_mov_b32_e32 v2, v41
	v_pk_fma_f32 v[18:19], v[30:31], v[6:7], v[18:19] op_sel:[1,0,0]
	v_mov_b32_e32 v7, v41
	v_pk_fma_f32 v[18:19], v[32:33], v[2:3], v[18:19] op_sel_hi:[0,1,1]
	v_pk_fma_f32 v[94:95], v[44:45], v[6:7], v[18:19] op_sel_hi:[0,1,1]
	s_andn2_b64 exec, exec, s[14:15]
	s_cbranch_execnz .LBB129_23
; %bb.24:
	s_or_b64 exec, exec, s[14:15]
.LBB129_25:
	s_or_b64 exec, exec, s[10:11]
	s_mov_b64 s[2:3], 0xbf
	v_cmp_lt_u64_e32 vcc, s[2:3], v[0:1]
	s_and_saveexec_b64 s[10:11], vcc
	s_cbranch_execz .LBB129_29
; %bb.26:
	v_lshlrev_b64 v[0:1], 2, v[16:17]
	v_mov_b32_e32 v2, s13
	v_add_co_u32_e32 v0, vcc, s12, v0
	v_addc_co_u32_e32 v1, vcc, v1, v2, vcc
	v_add_co_u32_e32 v18, vcc, 0x200, v0
	v_addc_co_u32_e32 v19, vcc, 0, v1, vcc
	s_mov_b64 s[14:15], 0
	v_mov_b32_e32 v28, s7
	s_movk_i32 s18, 0x1000
	s_movk_i32 s19, 0x2000
	;; [unrolled: 1-line block ×4, first 2 shown]
	v_mov_b32_e32 v21, 0
	v_bfrev_b32_e32 v22, 1
.LBB129_27:                             ; =>This Inner Loop Header: Depth=1
	global_load_dword v0, v[18:19], off offset:-512
	global_load_dwordx4 v[24:27], v[14:15], off offset:48
	global_load_dwordx4 v[30:33], v[14:15], off offset:32
	;; [unrolled: 1-line block ×3, first 2 shown]
	global_load_dwordx4 v[38:41], v[14:15], off
	s_waitcnt vmcnt(4)
	v_subrev_u32_e32 v0, s16, v0
	v_lshlrev_b32_e32 v0, 2, v0
	v_ashrrev_i32_e32 v1, 31, v0
	v_lshlrev_b64 v[0:1], 3, v[0:1]
	v_add_co_u32_e32 v0, vcc, s6, v0
	v_addc_co_u32_e32 v1, vcc, v28, v1, vcc
	global_load_dwordx4 v[42:45], v[0:1], off offset:16
	global_load_dwordx4 v[46:49], v[0:1], off
	v_add_co_u32_e32 v2, vcc, s18, v14
	global_load_dword v0, v[18:19], off offset:-256
	v_addc_co_u32_e32 v3, vcc, 0, v15, vcc
	s_waitcnt vmcnt(3)
	v_mov_b32_e32 v20, v38
	v_mov_b32_e32 v23, v38
	s_waitcnt vmcnt(1)
	v_mov_b32_e32 v38, v49
	s_waitcnt vmcnt(0)
	v_subrev_u32_e32 v0, s16, v0
	v_lshlrev_b32_e32 v4, 2, v0
	v_add_co_u32_e32 v0, vcc, s19, v14
	v_addc_co_u32_e32 v1, vcc, 0, v15, vcc
	v_ashrrev_i32_e32 v5, 31, v4
	global_load_dwordx4 v[50:53], v[0:1], off offset:-4096
	global_load_dwordx4 v[54:57], v[2:3], off offset:48
	global_load_dwordx4 v[58:61], v[2:3], off offset:32
	;; [unrolled: 1-line block ×3, first 2 shown]
	v_lshlrev_b64 v[2:3], 3, v[4:5]
	v_add_co_u32_e32 v2, vcc, s6, v2
	v_addc_co_u32_e32 v3, vcc, v28, v3, vcc
	global_load_dwordx4 v[4:7], v[2:3], off offset:16
	global_load_dwordx4 v[8:11], v[2:3], off
	v_pk_fma_f32 v[2:3], v[46:47], v[20:21], v[100:101] op_sel_hi:[0,1,1]
	v_pk_fma_f32 v[2:3], v[46:47], v[22:23], v[2:3] op_sel:[1,0,0]
	v_mov_b32_e32 v20, v39
	v_pk_fma_f32 v[2:3], v[48:49], v[20:21], v[2:3] op_sel_hi:[0,1,1]
	v_mov_b32_e32 v23, v39
	v_pk_fma_f32 v[2:3], v[38:39], v[22:23], v[2:3] op_sel_hi:[0,1,1]
	v_mov_b32_e32 v20, v40
	v_pk_fma_f32 v[2:3], v[42:43], v[20:21], v[2:3] op_sel_hi:[0,1,1]
	v_mov_b32_e32 v23, v40
	v_pk_fma_f32 v[2:3], v[42:43], v[22:23], v[2:3] op_sel:[1,0,0]
	v_mov_b32_e32 v20, v41
	v_pk_fma_f32 v[2:3], v[44:45], v[20:21], v[2:3] op_sel_hi:[0,1,1]
	v_mov_b32_e32 v40, v45
	v_mov_b32_e32 v23, v41
	v_pk_fma_f32 v[2:3], v[40:41], v[22:23], v[2:3] op_sel_hi:[0,1,1]
	s_waitcnt vmcnt(5)
	v_mov_b32_e32 v20, v50
	v_mov_b32_e32 v23, v50
	s_waitcnt vmcnt(0)
	v_pk_fma_f32 v[2:3], v[8:9], v[20:21], v[2:3] op_sel_hi:[0,1,1]
	v_mov_b32_e32 v20, v34
	v_pk_fma_f32 v[66:67], v[8:9], v[22:23], v[2:3] op_sel:[1,0,0]
	v_pk_fma_f32 v[2:3], v[46:47], v[20:21], v[98:99] op_sel_hi:[0,1,1]
	v_mov_b32_e32 v23, v34
	v_pk_fma_f32 v[2:3], v[46:47], v[22:23], v[2:3] op_sel:[1,0,0]
	v_mov_b32_e32 v20, v35
	v_pk_fma_f32 v[2:3], v[48:49], v[20:21], v[2:3] op_sel_hi:[0,1,1]
	v_mov_b32_e32 v23, v35
	v_pk_fma_f32 v[2:3], v[38:39], v[22:23], v[2:3] op_sel_hi:[0,1,1]
	v_mov_b32_e32 v20, v36
	v_pk_fma_f32 v[2:3], v[42:43], v[20:21], v[2:3] op_sel_hi:[0,1,1]
	v_mov_b32_e32 v23, v36
	v_pk_fma_f32 v[2:3], v[42:43], v[22:23], v[2:3] op_sel:[1,0,0]
	v_mov_b32_e32 v20, v37
	v_pk_fma_f32 v[2:3], v[44:45], v[20:21], v[2:3] op_sel_hi:[0,1,1]
	v_mov_b32_e32 v23, v37
	v_pk_fma_f32 v[2:3], v[40:41], v[22:23], v[2:3] op_sel_hi:[0,1,1]
	v_mov_b32_e32 v20, v62
	v_pk_fma_f32 v[2:3], v[8:9], v[20:21], v[2:3] op_sel_hi:[0,1,1]
	v_mov_b32_e32 v23, v62
	v_mov_b32_e32 v20, v30
	v_pk_fma_f32 v[68:69], v[8:9], v[22:23], v[2:3] op_sel:[1,0,0]
	v_pk_fma_f32 v[2:3], v[46:47], v[20:21], v[96:97] op_sel_hi:[0,1,1]
	v_mov_b32_e32 v23, v30
	v_pk_fma_f32 v[2:3], v[46:47], v[22:23], v[2:3] op_sel:[1,0,0]
	v_mov_b32_e32 v20, v31
	v_pk_fma_f32 v[2:3], v[48:49], v[20:21], v[2:3] op_sel_hi:[0,1,1]
	v_mov_b32_e32 v23, v31
	v_pk_fma_f32 v[2:3], v[38:39], v[22:23], v[2:3] op_sel_hi:[0,1,1]
	v_mov_b32_e32 v20, v32
	v_pk_fma_f32 v[2:3], v[42:43], v[20:21], v[2:3] op_sel_hi:[0,1,1]
	v_mov_b32_e32 v23, v32
	v_pk_fma_f32 v[2:3], v[42:43], v[22:23], v[2:3] op_sel:[1,0,0]
	v_mov_b32_e32 v20, v33
	v_pk_fma_f32 v[2:3], v[44:45], v[20:21], v[2:3] op_sel_hi:[0,1,1]
	v_mov_b32_e32 v23, v33
	v_pk_fma_f32 v[2:3], v[40:41], v[22:23], v[2:3] op_sel_hi:[0,1,1]
	v_mov_b32_e32 v20, v58
	v_pk_fma_f32 v[2:3], v[8:9], v[20:21], v[2:3] op_sel_hi:[0,1,1]
	v_mov_b32_e32 v23, v58
	;; [unrolled: 20-line block ×3, first 2 shown]
	v_pk_fma_f32 v[72:73], v[8:9], v[22:23], v[2:3] op_sel:[1,0,0]
	global_load_dword v2, v[18:19], off
	global_load_dwordx4 v[30:33], v[0:1], off
	global_load_dwordx4 v[34:37], v[0:1], off offset:48
	global_load_dwordx4 v[38:41], v[0:1], off offset:32
	;; [unrolled: 1-line block ×3, first 2 shown]
	v_mov_b32_e32 v20, v51
	v_mov_b32_e32 v50, v11
	;; [unrolled: 1-line block ×3, first 2 shown]
	s_waitcnt vmcnt(4)
	v_subrev_u32_e32 v2, s16, v2
	v_lshlrev_b32_e32 v2, 2, v2
	v_ashrrev_i32_e32 v3, 31, v2
	v_lshlrev_b64 v[0:1], 3, v[2:3]
	v_add_co_u32_e32 v8, vcc, s6, v0
	v_addc_co_u32_e32 v9, vcc, v28, v1, vcc
	global_load_dwordx4 v[0:3], v[8:9], off offset:16
	global_load_dwordx4 v[46:49], v[8:9], off
	v_pk_fma_f32 v[8:9], v[10:11], v[20:21], v[66:67] op_sel_hi:[0,1,1]
	v_pk_fma_f32 v[8:9], v[50:51], v[22:23], v[8:9] op_sel_hi:[0,1,1]
	v_mov_b32_e32 v20, v52
	v_pk_fma_f32 v[8:9], v[4:5], v[20:21], v[8:9] op_sel_hi:[0,1,1]
	v_mov_b32_e32 v23, v52
	v_pk_fma_f32 v[8:9], v[4:5], v[22:23], v[8:9] op_sel:[1,0,0]
	v_mov_b32_e32 v20, v53
	v_pk_fma_f32 v[8:9], v[6:7], v[20:21], v[8:9] op_sel_hi:[0,1,1]
	v_mov_b32_e32 v52, v7
	v_mov_b32_e32 v23, v53
	v_pk_fma_f32 v[8:9], v[52:53], v[22:23], v[8:9] op_sel_hi:[0,1,1]
	s_waitcnt vmcnt(5)
	v_mov_b32_e32 v20, v30
	v_mov_b32_e32 v23, v30
	s_waitcnt vmcnt(0)
	v_pk_fma_f32 v[8:9], v[46:47], v[20:21], v[8:9] op_sel_hi:[0,1,1]
	v_pk_fma_f32 v[8:9], v[46:47], v[22:23], v[8:9] op_sel:[1,0,0]
	v_mov_b32_e32 v20, v31
	v_pk_fma_f32 v[8:9], v[48:49], v[20:21], v[8:9] op_sel_hi:[0,1,1]
	v_mov_b32_e32 v30, v49
	v_mov_b32_e32 v23, v31
	v_pk_fma_f32 v[8:9], v[30:31], v[22:23], v[8:9] op_sel_hi:[0,1,1]
	v_mov_b32_e32 v20, v32
	v_pk_fma_f32 v[26:27], v[0:1], v[20:21], v[8:9] op_sel_hi:[0,1,1]
	;; [unrolled: 2-line block ×5, first 2 shown]
	v_mov_b32_e32 v23, v64
	v_pk_fma_f32 v[8:9], v[4:5], v[22:23], v[8:9] op_sel:[1,0,0]
	v_mov_b32_e32 v20, v65
	v_pk_fma_f32 v[8:9], v[6:7], v[20:21], v[8:9] op_sel_hi:[0,1,1]
	v_mov_b32_e32 v23, v65
	v_pk_fma_f32 v[8:9], v[52:53], v[22:23], v[8:9] op_sel_hi:[0,1,1]
	;; [unrolled: 2-line block ×3, first 2 shown]
	v_mov_b32_e32 v23, v42
	v_pk_fma_f32 v[8:9], v[46:47], v[22:23], v[8:9] op_sel:[1,0,0]
	v_mov_b32_e32 v20, v43
	v_pk_fma_f32 v[8:9], v[48:49], v[20:21], v[8:9] op_sel_hi:[0,1,1]
	v_mov_b32_e32 v23, v43
	v_pk_fma_f32 v[8:9], v[30:31], v[22:23], v[8:9] op_sel_hi:[0,1,1]
	;; [unrolled: 2-line block ×6, first 2 shown]
	v_mov_b32_e32 v23, v60
	v_pk_fma_f32 v[24:25], v[4:5], v[22:23], v[24:25] op_sel:[1,0,0]
	v_mov_b32_e32 v20, v61
	v_pk_fma_f32 v[24:25], v[6:7], v[20:21], v[24:25] op_sel_hi:[0,1,1]
	v_mov_b32_e32 v23, v61
	v_pk_fma_f32 v[24:25], v[52:53], v[22:23], v[24:25] op_sel_hi:[0,1,1]
	;; [unrolled: 2-line block ×3, first 2 shown]
	v_mov_b32_e32 v23, v38
	v_pk_fma_f32 v[24:25], v[46:47], v[22:23], v[24:25] op_sel:[1,0,0]
	v_mov_b32_e32 v20, v39
	v_pk_fma_f32 v[24:25], v[48:49], v[20:21], v[24:25] op_sel_hi:[0,1,1]
	v_mov_b32_e32 v23, v39
	v_pk_fma_f32 v[24:25], v[30:31], v[22:23], v[24:25] op_sel_hi:[0,1,1]
	;; [unrolled: 2-line block ×6, first 2 shown]
	v_mov_b32_e32 v23, v56
	v_pk_fma_f32 v[4:5], v[4:5], v[22:23], v[10:11] op_sel:[1,0,0]
	v_mov_b32_e32 v20, v57
	v_pk_fma_f32 v[4:5], v[6:7], v[20:21], v[4:5] op_sel_hi:[0,1,1]
	global_load_dword v6, v[18:19], off offset:256
	v_mov_b32_e32 v23, v57
	v_add_co_u32_e32 v10, vcc, s20, v14
	v_pk_fma_f32 v[4:5], v[52:53], v[22:23], v[4:5] op_sel_hi:[0,1,1]
	v_mov_b32_e32 v20, v34
	v_addc_co_u32_e32 v11, vcc, 0, v15, vcc
	v_pk_fma_f32 v[4:5], v[46:47], v[20:21], v[4:5] op_sel_hi:[0,1,1]
	v_mov_b32_e32 v23, v34
	v_pk_fma_f32 v[4:5], v[46:47], v[22:23], v[4:5] op_sel:[1,0,0]
	v_mov_b32_e32 v20, v35
	v_pk_fma_f32 v[4:5], v[48:49], v[20:21], v[4:5] op_sel_hi:[0,1,1]
	global_load_dwordx4 v[46:49], v[10:11], off
	global_load_dwordx4 v[50:53], v[10:11], off offset:48
	global_load_dwordx4 v[54:57], v[10:11], off offset:32
	;; [unrolled: 1-line block ×3, first 2 shown]
	v_mov_b32_e32 v23, v35
	v_pk_fma_f32 v[4:5], v[30:31], v[22:23], v[4:5] op_sel_hi:[0,1,1]
	v_mov_b32_e32 v20, v36
	v_mov_b32_e32 v23, v32
	v_pk_fma_f32 v[4:5], v[0:1], v[20:21], v[4:5] op_sel_hi:[0,1,1]
	v_mov_b32_e32 v20, v33
	v_mov_b32_e32 v10, v3
	s_waitcnt vmcnt(4)
	v_subrev_u32_e32 v6, s16, v6
	v_lshlrev_b32_e32 v6, 2, v6
	v_ashrrev_i32_e32 v7, 31, v6
	v_lshlrev_b64 v[6:7], 3, v[6:7]
	v_add_co_u32_e32 v6, vcc, s6, v6
	v_addc_co_u32_e32 v7, vcc, v28, v7, vcc
	global_load_dwordx4 v[62:65], v[6:7], off offset:16
	global_load_dwordx4 v[66:69], v[6:7], off
	v_pk_fma_f32 v[6:7], v[0:1], v[22:23], v[26:27] op_sel:[1,0,0]
	v_pk_fma_f32 v[6:7], v[2:3], v[20:21], v[6:7] op_sel_hi:[0,1,1]
	v_mov_b32_e32 v23, v33
	v_pk_fma_f32 v[6:7], v[10:11], v[22:23], v[6:7] op_sel_hi:[0,1,1]
	s_waitcnt vmcnt(5)
	v_mov_b32_e32 v20, v46
	v_mov_b32_e32 v23, v46
	v_add_co_u32_e32 v16, vcc, s21, v16
	v_addc_co_u32_e32 v17, vcc, 0, v17, vcc
	v_add_co_u32_e32 v18, vcc, 0x400, v18
	v_addc_co_u32_e32 v19, vcc, 0, v19, vcc
	v_cmp_ge_i64_e64 s[2:3], v[16:17], v[90:91]
	v_add_co_u32_e32 v14, vcc, 0x4000, v14
	v_addc_co_u32_e32 v15, vcc, 0, v15, vcc
	s_or_b64 s[14:15], s[2:3], s[14:15]
	s_waitcnt vmcnt(1)
	v_mov_b32_e32 v30, v65
	s_waitcnt vmcnt(0)
	v_pk_fma_f32 v[6:7], v[66:67], v[20:21], v[6:7] op_sel_hi:[0,1,1]
	v_pk_fma_f32 v[6:7], v[66:67], v[22:23], v[6:7] op_sel:[1,0,0]
	v_mov_b32_e32 v20, v47
	v_pk_fma_f32 v[6:7], v[68:69], v[20:21], v[6:7] op_sel_hi:[0,1,1]
	v_mov_b32_e32 v26, v69
	v_mov_b32_e32 v23, v47
	v_pk_fma_f32 v[6:7], v[26:27], v[22:23], v[6:7] op_sel_hi:[0,1,1]
	v_mov_b32_e32 v20, v48
	v_pk_fma_f32 v[6:7], v[62:63], v[20:21], v[6:7] op_sel_hi:[0,1,1]
	v_mov_b32_e32 v23, v48
	v_pk_fma_f32 v[6:7], v[62:63], v[22:23], v[6:7] op_sel:[1,0,0]
	v_mov_b32_e32 v20, v49
	v_pk_fma_f32 v[6:7], v[64:65], v[20:21], v[6:7] op_sel_hi:[0,1,1]
	v_mov_b32_e32 v23, v49
	v_pk_fma_f32 v[100:101], v[30:31], v[22:23], v[6:7] op_sel_hi:[0,1,1]
	v_mov_b32_e32 v23, v44
	v_pk_fma_f32 v[6:7], v[0:1], v[22:23], v[8:9] op_sel:[1,0,0]
	v_mov_b32_e32 v20, v45
	v_pk_fma_f32 v[6:7], v[2:3], v[20:21], v[6:7] op_sel_hi:[0,1,1]
	v_mov_b32_e32 v23, v45
	v_pk_fma_f32 v[6:7], v[10:11], v[22:23], v[6:7] op_sel_hi:[0,1,1]
	v_mov_b32_e32 v20, v58
	v_pk_fma_f32 v[6:7], v[66:67], v[20:21], v[6:7] op_sel_hi:[0,1,1]
	v_mov_b32_e32 v23, v58
	v_pk_fma_f32 v[6:7], v[66:67], v[22:23], v[6:7] op_sel:[1,0,0]
	v_mov_b32_e32 v20, v59
	v_pk_fma_f32 v[6:7], v[68:69], v[20:21], v[6:7] op_sel_hi:[0,1,1]
	v_mov_b32_e32 v23, v59
	v_pk_fma_f32 v[6:7], v[26:27], v[22:23], v[6:7] op_sel_hi:[0,1,1]
	v_mov_b32_e32 v20, v60
	v_pk_fma_f32 v[6:7], v[62:63], v[20:21], v[6:7] op_sel_hi:[0,1,1]
	v_mov_b32_e32 v23, v60
	v_pk_fma_f32 v[6:7], v[62:63], v[22:23], v[6:7] op_sel:[1,0,0]
	v_mov_b32_e32 v20, v61
	v_pk_fma_f32 v[6:7], v[64:65], v[20:21], v[6:7] op_sel_hi:[0,1,1]
	v_mov_b32_e32 v23, v61
	v_pk_fma_f32 v[98:99], v[30:31], v[22:23], v[6:7] op_sel_hi:[0,1,1]
	v_mov_b32_e32 v23, v40
	v_pk_fma_f32 v[6:7], v[0:1], v[22:23], v[24:25] op_sel:[1,0,0]
	v_mov_b32_e32 v20, v41
	v_pk_fma_f32 v[6:7], v[2:3], v[20:21], v[6:7] op_sel_hi:[0,1,1]
	v_mov_b32_e32 v23, v41
	v_pk_fma_f32 v[6:7], v[10:11], v[22:23], v[6:7] op_sel_hi:[0,1,1]
	v_mov_b32_e32 v20, v54
	v_pk_fma_f32 v[6:7], v[66:67], v[20:21], v[6:7] op_sel_hi:[0,1,1]
	v_mov_b32_e32 v23, v54
	v_pk_fma_f32 v[6:7], v[66:67], v[22:23], v[6:7] op_sel:[1,0,0]
	v_mov_b32_e32 v20, v55
	v_pk_fma_f32 v[6:7], v[68:69], v[20:21], v[6:7] op_sel_hi:[0,1,1]
	;; [unrolled: 22-line block ×3, first 2 shown]
	v_mov_b32_e32 v23, v51
	v_pk_fma_f32 v[0:1], v[26:27], v[22:23], v[0:1] op_sel_hi:[0,1,1]
	v_mov_b32_e32 v20, v52
	v_pk_fma_f32 v[0:1], v[62:63], v[20:21], v[0:1] op_sel_hi:[0,1,1]
	v_mov_b32_e32 v23, v52
	v_pk_fma_f32 v[0:1], v[62:63], v[22:23], v[0:1] op_sel:[1,0,0]
	v_mov_b32_e32 v20, v53
	v_pk_fma_f32 v[0:1], v[64:65], v[20:21], v[0:1] op_sel_hi:[0,1,1]
	v_mov_b32_e32 v23, v53
	v_pk_fma_f32 v[94:95], v[30:31], v[22:23], v[0:1] op_sel_hi:[0,1,1]
	s_andn2_b64 exec, exec, s[14:15]
	s_cbranch_execnz .LBB129_27
; %bb.28:
	s_or_b64 exec, exec, s[14:15]
.LBB129_29:
	s_or_b64 exec, exec, s[10:11]
.LBB129_30:
	s_or_b64 exec, exec, s[8:9]
	s_cbranch_execz .LBB129_32
	s_branch .LBB129_43
.LBB129_31:
                                        ; implicit-def: $vgpr101
                                        ; implicit-def: $vgpr99
                                        ; implicit-def: $vgpr97
                                        ; implicit-def: $vgpr95
.LBB129_32:
	v_mov_b32_e32 v101, 0
	v_mov_b32_e32 v100, 0
	;; [unrolled: 1-line block ×8, first 2 shown]
	s_and_saveexec_b64 s[2:3], s[0:1]
	s_cbranch_execz .LBB129_42
; %bb.33:
	v_or_b32_e32 v0, 64, v86
	v_mov_b32_e32 v1, s17
	v_subrev_co_u32_e32 v0, vcc, s16, v0
	v_subb_co_u32_e32 v1, vcc, 0, v1, vcc
	v_add_co_u32_e32 v0, vcc, v0, v12
	v_addc_co_u32_e32 v1, vcc, v1, v13, vcc
	v_cmp_gt_i64_e32 vcc, v[0:1], v[90:91]
	v_cndmask_b32_e32 v1, v91, v1, vcc
	v_cndmask_b32_e32 v0, v90, v0, vcc
	v_mov_b32_e32 v4, s17
	v_sub_co_u32_e32 v5, vcc, s16, v86
	v_not_b32_e32 v3, v12
	v_subbrev_co_u32_e32 v4, vcc, 0, v4, vcc
	v_not_b32_e32 v2, v13
	v_add_co_u32_e32 v3, vcc, v5, v3
	v_addc_co_u32_e32 v2, vcc, v4, v2, vcc
	v_add_co_u32_e32 v0, vcc, v3, v0
	v_addc_co_u32_e32 v1, vcc, v2, v1, vcc
	v_lshrrev_b32_e32 v2, 6, v0
	v_add_u32_e32 v2, 1, v2
	v_and_b32_e32 v2, 3, v2
	v_mov_b32_e32 v94, 0
	v_cmp_ne_u32_e32 vcc, 0, v2
	v_mov_b32_e32 v95, v94
	v_mov_b32_e32 v96, v94
	;; [unrolled: 1-line block ×7, first 2 shown]
	s_and_saveexec_b64 s[8:9], vcc
	s_cbranch_execz .LBB129_37
; %bb.34:
	v_lshlrev_b64 v[4:5], 2, v[88:89]
	v_mov_b32_e32 v3, 0
	v_mov_b32_e32 v6, s13
	v_add_co_u32_e32 v4, vcc, s12, v4
	v_lshlrev_b32_e32 v2, 2, v2
	v_addc_co_u32_e32 v5, vcc, v6, v5, vcc
	s_mov_b64 s[10:11], 0
	s_movk_i32 s14, 0x1000
	v_mov_b32_e32 v10, s7
	v_bfrev_b32_e32 v6, 1
	v_pk_mov_b32 v[8:9], v[2:3], v[2:3] op_sel:[0,1]
	v_mov_b32_e32 v94, v3
	v_mov_b32_e32 v95, v3
	;; [unrolled: 1-line block ×8, first 2 shown]
.LBB129_35:                             ; =>This Inner Loop Header: Depth=1
	global_load_dword v2, v[4:5], off
	global_load_dwordx4 v[12:15], v[92:93], off offset:32
	global_load_dwordx4 v[16:19], v[92:93], off offset:16
	global_load_dwordx4 v[20:23], v[92:93], off
	v_add_co_u32_e64 v88, s[0:1], 64, v88
	v_addc_co_u32_e64 v89, s[0:1], 0, v89, s[0:1]
	v_add_co_u32_e64 v8, s[0:1], -4, v8
	v_addc_co_u32_e64 v9, s[0:1], -1, v9, s[0:1]
	v_cmp_eq_u64_e64 s[0:1], 0, v[8:9]
	s_or_b64 s[10:11], s[0:1], s[10:11]
	s_waitcnt vmcnt(3)
	v_subrev_u32_e32 v2, s16, v2
	v_lshlrev_b32_e32 v24, 2, v2
	v_ashrrev_i32_e32 v25, 31, v24
	v_lshlrev_b64 v[24:25], 3, v[24:25]
	v_add_co_u32_e32 v36, vcc, s6, v24
	v_addc_co_u32_e32 v37, vcc, v10, v25, vcc
	global_load_dwordx4 v[24:27], v[36:37], off
	global_load_dwordx4 v[28:31], v[36:37], off offset:16
	global_load_dwordx4 v[32:35], v[92:93], off offset:48
	s_waitcnt vmcnt(3)
	v_mov_b32_e32 v2, v20
	v_mov_b32_e32 v7, v20
	v_add_co_u32_e32 v92, vcc, s14, v92
	v_addc_co_u32_e32 v93, vcc, 0, v93, vcc
	v_add_co_u32_e32 v4, vcc, 0x100, v4
	v_addc_co_u32_e32 v5, vcc, 0, v5, vcc
	s_waitcnt vmcnt(2)
	v_pk_fma_f32 v[36:37], v[24:25], v[2:3], v[100:101] op_sel_hi:[0,1,1]
	v_mov_b32_e32 v2, v16
	v_pk_fma_f32 v[36:37], v[24:25], v[6:7], v[36:37] op_sel:[1,0,0]
	v_mov_b32_e32 v20, v27
	v_mov_b32_e32 v7, v16
	v_pk_fma_f32 v[36:37], v[26:27], v[2:3], v[36:37] op_sel_hi:[0,1,1]
	v_mov_b32_e32 v2, v12
	v_pk_fma_f32 v[36:37], v[20:21], v[6:7], v[36:37] op_sel_hi:[0,1,1]
	v_mov_b32_e32 v7, v12
	s_waitcnt vmcnt(1)
	v_pk_fma_f32 v[36:37], v[28:29], v[2:3], v[36:37] op_sel_hi:[0,1,1]
	s_waitcnt vmcnt(0)
	v_mov_b32_e32 v2, v32
	v_pk_fma_f32 v[36:37], v[28:29], v[6:7], v[36:37] op_sel:[1,0,0]
	v_mov_b32_e32 v38, v31
	v_mov_b32_e32 v7, v32
	v_pk_fma_f32 v[36:37], v[30:31], v[2:3], v[36:37] op_sel_hi:[0,1,1]
	v_mov_b32_e32 v2, v21
	v_pk_fma_f32 v[100:101], v[38:39], v[6:7], v[36:37] op_sel_hi:[0,1,1]
	v_pk_fma_f32 v[36:37], v[24:25], v[2:3], v[98:99] op_sel_hi:[0,1,1]
	v_mov_b32_e32 v7, v21
	v_mov_b32_e32 v2, v17
	v_pk_fma_f32 v[36:37], v[24:25], v[6:7], v[36:37] op_sel:[1,0,0]
	v_mov_b32_e32 v7, v17
	v_pk_fma_f32 v[16:17], v[26:27], v[2:3], v[36:37] op_sel_hi:[0,1,1]
	v_mov_b32_e32 v2, v13
	v_pk_fma_f32 v[16:17], v[20:21], v[6:7], v[16:17] op_sel_hi:[0,1,1]
	v_mov_b32_e32 v7, v13
	v_pk_fma_f32 v[12:13], v[28:29], v[2:3], v[16:17] op_sel_hi:[0,1,1]
	v_mov_b32_e32 v2, v33
	v_pk_fma_f32 v[12:13], v[28:29], v[6:7], v[12:13] op_sel:[1,0,0]
	v_mov_b32_e32 v7, v33
	v_pk_fma_f32 v[12:13], v[30:31], v[2:3], v[12:13] op_sel_hi:[0,1,1]
	v_mov_b32_e32 v2, v22
	v_pk_fma_f32 v[98:99], v[38:39], v[6:7], v[12:13] op_sel_hi:[0,1,1]
	v_pk_fma_f32 v[12:13], v[24:25], v[2:3], v[96:97] op_sel_hi:[0,1,1]
	v_mov_b32_e32 v7, v22
	v_mov_b32_e32 v2, v18
	v_pk_fma_f32 v[12:13], v[24:25], v[6:7], v[12:13] op_sel:[1,0,0]
	v_mov_b32_e32 v7, v18
	v_pk_fma_f32 v[12:13], v[26:27], v[2:3], v[12:13] op_sel_hi:[0,1,1]
	v_mov_b32_e32 v2, v14
	v_pk_fma_f32 v[12:13], v[20:21], v[6:7], v[12:13] op_sel_hi:[0,1,1]
	v_mov_b32_e32 v7, v14
	v_pk_fma_f32 v[12:13], v[28:29], v[2:3], v[12:13] op_sel_hi:[0,1,1]
	v_mov_b32_e32 v2, v34
	v_pk_fma_f32 v[12:13], v[28:29], v[6:7], v[12:13] op_sel:[1,0,0]
	;; [unrolled: 16-line block ×3, first 2 shown]
	v_mov_b32_e32 v7, v35
	v_pk_fma_f32 v[12:13], v[30:31], v[2:3], v[12:13] op_sel_hi:[0,1,1]
	v_pk_fma_f32 v[94:95], v[38:39], v[6:7], v[12:13] op_sel_hi:[0,1,1]
	s_andn2_b64 exec, exec, s[10:11]
	s_cbranch_execnz .LBB129_35
; %bb.36:
	s_or_b64 exec, exec, s[10:11]
.LBB129_37:
	s_or_b64 exec, exec, s[8:9]
	s_mov_b64 s[0:1], 0xbf
	v_cmp_lt_u64_e32 vcc, s[0:1], v[0:1]
	s_and_saveexec_b64 s[8:9], vcc
	s_cbranch_execz .LBB129_41
; %bb.38:
	v_lshlrev_b64 v[0:1], 2, v[88:89]
	v_mov_b32_e32 v2, s13
	v_add_co_u32_e32 v0, vcc, s12, v0
	v_addc_co_u32_e32 v1, vcc, v1, v2, vcc
	v_add_co_u32_e32 v102, vcc, 0x200, v0
	v_addc_co_u32_e32 v103, vcc, 0, v1, vcc
	s_mov_b64 s[10:11], 0
	v_mov_b32_e32 v85, s7
	s_movk_i32 s7, 0x1000
	s_movk_i32 s12, 0x2000
	s_movk_i32 s13, 0x3000
	s_movk_i32 s14, 0x100
	v_mov_b32_e32 v105, 0
	v_bfrev_b32_e32 v106, 1
.LBB129_39:                             ; =>This Inner Loop Header: Depth=1
	global_load_dword v52, v[102:103], off offset:-512
	global_load_dword v53, v[102:103], off offset:-256
	global_load_dwordx4 v[0:3], v[92:93], off
	global_load_dword v60, v[102:103], off
	global_load_dword v61, v[102:103], off offset:256
	global_load_dwordx4 v[4:7], v[92:93], off offset:48
	global_load_dwordx4 v[64:67], v[92:93], off offset:32
	;; [unrolled: 1-line block ×3, first 2 shown]
	v_add_co_u32_e32 v54, vcc, s7, v92
	v_addc_co_u32_e32 v55, vcc, 0, v93, vcc
	v_add_co_u32_e32 v56, vcc, s12, v92
	v_addc_co_u32_e32 v57, vcc, 0, v93, vcc
	;; [unrolled: 2-line block ×5, first 2 shown]
	global_load_dwordx4 v[36:39], v[54:55], off offset:48
	global_load_dwordx4 v[44:47], v[54:55], off offset:32
	;; [unrolled: 1-line block ×3, first 2 shown]
	global_load_dwordx4 v[114:117], v[56:57], off offset:-4096
	global_load_dwordx4 v[40:43], v[56:57], off
	global_load_dwordx4 v[20:23], v[56:57], off offset:48
	global_load_dwordx4 v[28:31], v[56:57], off offset:32
	;; [unrolled: 1-line block ×5, first 2 shown]
	global_load_dwordx4 v[24:27], v[58:59], off
	global_load_dwordx4 v[16:19], v[58:59], off offset:16
	v_add_co_u32_e32 v92, vcc, 0x4000, v92
	v_addc_co_u32_e32 v93, vcc, 0, v93, vcc
	v_cmp_ge_i64_e64 s[0:1], v[88:89], v[90:91]
	s_or_b64 s[10:11], s[0:1], s[10:11]
	s_waitcnt vmcnt(19)
	v_subrev_u32_e32 v52, s16, v52
	s_waitcnt vmcnt(18)
	v_subrev_u32_e32 v53, s16, v53
	v_lshlrev_b32_e32 v52, 2, v52
	v_lshlrev_b32_e32 v54, 2, v53
	v_ashrrev_i32_e32 v53, 31, v52
	s_waitcnt vmcnt(15)
	v_subrev_u32_e32 v55, s16, v61
	v_lshlrev_b64 v[52:53], 3, v[52:53]
	v_mov_b32_e32 v104, v0
	v_mov_b32_e32 v107, v0
	v_subrev_u32_e32 v0, s16, v60
	v_lshlrev_b32_e32 v58, 2, v55
	v_ashrrev_i32_e32 v55, 31, v54
	v_add_co_u32_e32 v52, vcc, s6, v52
	v_lshlrev_b32_e32 v56, 2, v0
	v_lshlrev_b64 v[54:55], 3, v[54:55]
	v_addc_co_u32_e32 v53, vcc, v85, v53, vcc
	v_ashrrev_i32_e32 v57, 31, v56
	v_add_co_u32_e32 v54, vcc, s6, v54
	v_lshlrev_b64 v[56:57], 3, v[56:57]
	v_addc_co_u32_e32 v55, vcc, v85, v55, vcc
	v_ashrrev_i32_e32 v59, 31, v58
	v_add_co_u32_e32 v108, vcc, s6, v56
	v_lshlrev_b64 v[58:59], 3, v[58:59]
	v_addc_co_u32_e32 v109, vcc, v85, v57, vcc
	v_add_co_u32_e32 v126, vcc, s6, v58
	v_addc_co_u32_e32 v127, vcc, v85, v59, vcc
	global_load_dwordx4 v[118:121], v[52:53], off
	global_load_dwordx4 v[122:125], v[52:53], off offset:16
	global_load_dwordx4 v[76:79], v[54:55], off
	global_load_dwordx4 v[72:75], v[54:55], off offset:16
	;; [unrolled: 2-line block ×3, first 2 shown]
	global_load_dwordx4 v[56:59], v[126:127], off
                                        ; kill: killed $vgpr54 killed $vgpr55
                                        ; kill: killed $vgpr108 killed $vgpr109
                                        ; kill: killed $vgpr52 killed $vgpr53
	s_nop 0
	global_load_dwordx4 v[52:55], v[126:127], off offset:16
	s_waitcnt vmcnt(7)
	v_pk_fma_f32 v[108:109], v[118:119], v[104:105], v[100:101] op_sel_hi:[0,1,1]
	v_mov_b32_e32 v104, v110
	v_pk_fma_f32 v[108:109], v[118:119], v[106:107], v[108:109] op_sel:[1,0,0]
	v_mov_b32_e32 v126, v121
	v_mov_b32_e32 v107, v110
	v_pk_fma_f32 v[108:109], v[120:121], v[104:105], v[108:109] op_sel_hi:[0,1,1]
	v_mov_b32_e32 v104, v64
	v_pk_fma_f32 v[108:109], v[126:127], v[106:107], v[108:109] op_sel_hi:[0,1,1]
	v_mov_b32_e32 v107, v64
	s_waitcnt vmcnt(6)
	v_pk_fma_f32 v[108:109], v[122:123], v[104:105], v[108:109] op_sel_hi:[0,1,1]
	v_mov_b32_e32 v104, v4
	v_pk_fma_f32 v[108:109], v[122:123], v[106:107], v[108:109] op_sel:[1,0,0]
	v_mov_b32_e32 v100, v125
	v_mov_b32_e32 v107, v4
	v_pk_fma_f32 v[108:109], v[124:125], v[104:105], v[108:109] op_sel_hi:[0,1,1]
	v_mov_b32_e32 v104, v114
	v_pk_fma_f32 v[108:109], v[100:101], v[106:107], v[108:109] op_sel_hi:[0,1,1]
	v_mov_b32_e32 v107, v114
	s_waitcnt vmcnt(5)
	v_pk_fma_f32 v[108:109], v[76:77], v[104:105], v[108:109] op_sel_hi:[0,1,1]
	v_mov_b32_e32 v104, v1
	v_pk_fma_f32 v[108:109], v[76:77], v[106:107], v[108:109] op_sel:[1,0,0]
	v_pk_fma_f32 v[98:99], v[118:119], v[104:105], v[98:99] op_sel_hi:[0,1,1]
	v_mov_b32_e32 v107, v1
	v_mov_b32_e32 v104, v111
	v_pk_fma_f32 v[98:99], v[118:119], v[106:107], v[98:99] op_sel:[1,0,0]
	v_mov_b32_e32 v107, v111
	v_pk_fma_f32 v[98:99], v[120:121], v[104:105], v[98:99] op_sel_hi:[0,1,1]
	v_mov_b32_e32 v104, v65
	v_pk_fma_f32 v[98:99], v[126:127], v[106:107], v[98:99] op_sel_hi:[0,1,1]
	;; [unrolled: 2-line block ×3, first 2 shown]
	v_mov_b32_e32 v104, v5
	v_pk_fma_f32 v[64:65], v[122:123], v[106:107], v[64:65] op_sel:[1,0,0]
	v_mov_b32_e32 v107, v5
	v_pk_fma_f32 v[4:5], v[124:125], v[104:105], v[64:65] op_sel_hi:[0,1,1]
	v_mov_b32_e32 v104, v115
	v_pk_fma_f32 v[4:5], v[100:101], v[106:107], v[4:5] op_sel_hi:[0,1,1]
	;; [unrolled: 2-line block ×3, first 2 shown]
	v_mov_b32_e32 v104, v2
	v_pk_fma_f32 v[64:65], v[76:77], v[106:107], v[4:5] op_sel:[1,0,0]
	v_pk_fma_f32 v[4:5], v[118:119], v[104:105], v[96:97] op_sel_hi:[0,1,1]
	v_mov_b32_e32 v107, v2
	v_mov_b32_e32 v104, v112
	v_pk_fma_f32 v[4:5], v[118:119], v[106:107], v[4:5] op_sel:[1,0,0]
	v_mov_b32_e32 v107, v112
	v_pk_fma_f32 v[4:5], v[120:121], v[104:105], v[4:5] op_sel_hi:[0,1,1]
	v_mov_b32_e32 v104, v66
	v_pk_fma_f32 v[4:5], v[126:127], v[106:107], v[4:5] op_sel_hi:[0,1,1]
	;; [unrolled: 2-line block ×3, first 2 shown]
	v_mov_b32_e32 v104, v6
	v_pk_fma_f32 v[4:5], v[122:123], v[106:107], v[4:5] op_sel:[1,0,0]
	v_mov_b32_e32 v107, v6
	v_pk_fma_f32 v[4:5], v[124:125], v[104:105], v[4:5] op_sel_hi:[0,1,1]
	v_mov_b32_e32 v104, v116
	v_pk_fma_f32 v[4:5], v[100:101], v[106:107], v[4:5] op_sel_hi:[0,1,1]
	;; [unrolled: 2-line block ×3, first 2 shown]
	v_mov_b32_e32 v104, v3
	v_pk_fma_f32 v[4:5], v[76:77], v[106:107], v[4:5] op_sel:[1,0,0]
	v_pk_fma_f32 v[94:95], v[118:119], v[104:105], v[94:95] op_sel_hi:[0,1,1]
	v_mov_b32_e32 v107, v3
	v_mov_b32_e32 v104, v113
	v_pk_fma_f32 v[2:3], v[118:119], v[106:107], v[94:95] op_sel:[1,0,0]
	v_pk_fma_f32 v[2:3], v[120:121], v[104:105], v[2:3] op_sel_hi:[0,1,1]
	v_mov_b32_e32 v107, v113
	v_pk_fma_f32 v[98:99], v[126:127], v[106:107], v[2:3] op_sel_hi:[0,1,1]
	v_mov_b32_e32 v104, v67
	v_mov_b32_e32 v107, v67
	v_pk_fma_f32 v[66:67], v[122:123], v[104:105], v[98:99] op_sel_hi:[0,1,1]
	v_mov_b32_e32 v104, v7
	v_pk_fma_f32 v[66:67], v[122:123], v[106:107], v[66:67] op_sel:[1,0,0]
	v_pk_fma_f32 v[98:99], v[124:125], v[104:105], v[66:67] op_sel_hi:[0,1,1]
	v_mov_b32_e32 v107, v7
	v_mov_b32_e32 v104, v117
	v_pk_fma_f32 v[98:99], v[100:101], v[106:107], v[98:99] op_sel_hi:[0,1,1]
	v_mov_b32_e32 v107, v117
	v_pk_fma_f32 v[98:99], v[76:77], v[104:105], v[98:99] op_sel_hi:[0,1,1]
	v_mov_b32_e32 v104, v48
	v_mov_b32_e32 v0, v79
	v_pk_fma_f32 v[76:77], v[76:77], v[106:107], v[98:99] op_sel:[1,0,0]
	v_pk_fma_f32 v[98:99], v[78:79], v[104:105], v[108:109] op_sel_hi:[0,1,1]
	v_mov_b32_e32 v107, v48
	v_mov_b32_e32 v104, v44
	v_pk_fma_f32 v[98:99], v[0:1], v[106:107], v[98:99] op_sel_hi:[0,1,1]
	v_mov_b32_e32 v107, v44
	s_waitcnt vmcnt(4)
	v_pk_fma_f32 v[98:99], v[72:73], v[104:105], v[98:99] op_sel_hi:[0,1,1]
	v_mov_b32_e32 v104, v36
	v_pk_fma_f32 v[98:99], v[72:73], v[106:107], v[98:99] op_sel:[1,0,0]
	v_mov_b32_e32 v96, v75
	v_mov_b32_e32 v107, v36
	v_pk_fma_f32 v[98:99], v[74:75], v[104:105], v[98:99] op_sel_hi:[0,1,1]
	v_mov_b32_e32 v104, v40
	v_pk_fma_f32 v[98:99], v[96:97], v[106:107], v[98:99] op_sel_hi:[0,1,1]
	v_mov_b32_e32 v107, v40
	s_waitcnt vmcnt(3)
	v_pk_fma_f32 v[98:99], v[68:69], v[104:105], v[98:99] op_sel_hi:[0,1,1]
	v_mov_b32_e32 v104, v32
	v_pk_fma_f32 v[98:99], v[68:69], v[106:107], v[98:99] op_sel:[1,0,0]
	v_mov_b32_e32 v94, v71
	v_mov_b32_e32 v107, v32
	v_pk_fma_f32 v[98:99], v[70:71], v[104:105], v[98:99] op_sel_hi:[0,1,1]
	v_mov_b32_e32 v104, v28
	v_pk_fma_f32 v[98:99], v[94:95], v[106:107], v[98:99] op_sel_hi:[0,1,1]
	s_waitcnt vmcnt(2)
	v_pk_fma_f32 v[98:99], v[60:61], v[104:105], v[98:99] op_sel_hi:[0,1,1]
	v_mov_b32_e32 v104, v49
	v_mov_b32_e32 v107, v49
	v_pk_fma_f32 v[48:49], v[78:79], v[104:105], v[64:65] op_sel_hi:[0,1,1]
	v_mov_b32_e32 v104, v45
	v_pk_fma_f32 v[48:49], v[0:1], v[106:107], v[48:49] op_sel_hi:[0,1,1]
	v_mov_b32_e32 v107, v45
	v_pk_fma_f32 v[44:45], v[72:73], v[104:105], v[48:49] op_sel_hi:[0,1,1]
	v_mov_b32_e32 v104, v37
	v_pk_fma_f32 v[44:45], v[72:73], v[106:107], v[44:45] op_sel:[1,0,0]
	v_mov_b32_e32 v107, v37
	v_pk_fma_f32 v[36:37], v[74:75], v[104:105], v[44:45] op_sel_hi:[0,1,1]
	v_mov_b32_e32 v104, v41
	v_pk_fma_f32 v[36:37], v[96:97], v[106:107], v[36:37] op_sel_hi:[0,1,1]
	v_mov_b32_e32 v107, v41
	v_pk_fma_f32 v[36:37], v[68:69], v[104:105], v[36:37] op_sel_hi:[0,1,1]
	v_mov_b32_e32 v104, v33
	v_pk_fma_f32 v[36:37], v[68:69], v[106:107], v[36:37] op_sel:[1,0,0]
	v_mov_b32_e32 v107, v33
	v_pk_fma_f32 v[32:33], v[70:71], v[104:105], v[36:37] op_sel_hi:[0,1,1]
	v_mov_b32_e32 v104, v29
	v_pk_fma_f32 v[32:33], v[94:95], v[106:107], v[32:33] op_sel_hi:[0,1,1]
	v_pk_fma_f32 v[32:33], v[60:61], v[104:105], v[32:33] op_sel_hi:[0,1,1]
	v_mov_b32_e32 v104, v50
	v_mov_b32_e32 v107, v50
	v_pk_fma_f32 v[4:5], v[78:79], v[104:105], v[4:5] op_sel_hi:[0,1,1]
	v_mov_b32_e32 v104, v46
	v_pk_fma_f32 v[4:5], v[0:1], v[106:107], v[4:5] op_sel_hi:[0,1,1]
	v_mov_b32_e32 v107, v46
	v_pk_fma_f32 v[4:5], v[72:73], v[104:105], v[4:5] op_sel_hi:[0,1,1]
	v_mov_b32_e32 v104, v38
	v_pk_fma_f32 v[4:5], v[72:73], v[106:107], v[4:5] op_sel:[1,0,0]
	v_mov_b32_e32 v107, v38
	v_pk_fma_f32 v[4:5], v[74:75], v[104:105], v[4:5] op_sel_hi:[0,1,1]
	v_mov_b32_e32 v104, v42
	v_pk_fma_f32 v[4:5], v[96:97], v[106:107], v[4:5] op_sel_hi:[0,1,1]
	v_mov_b32_e32 v107, v42
	v_pk_fma_f32 v[4:5], v[68:69], v[104:105], v[4:5] op_sel_hi:[0,1,1]
	v_mov_b32_e32 v104, v34
	v_pk_fma_f32 v[4:5], v[68:69], v[106:107], v[4:5] op_sel:[1,0,0]
	v_mov_b32_e32 v107, v34
	v_pk_fma_f32 v[4:5], v[70:71], v[104:105], v[4:5] op_sel_hi:[0,1,1]
	v_mov_b32_e32 v104, v30
	v_pk_fma_f32 v[4:5], v[94:95], v[106:107], v[4:5] op_sel_hi:[0,1,1]
	v_pk_fma_f32 v[4:5], v[60:61], v[104:105], v[4:5] op_sel_hi:[0,1,1]
	v_mov_b32_e32 v104, v51
	v_mov_b32_e32 v107, v51
	v_pk_fma_f32 v[36:37], v[78:79], v[104:105], v[76:77] op_sel_hi:[0,1,1]
	v_mov_b32_e32 v104, v47
	v_pk_fma_f32 v[0:1], v[0:1], v[106:107], v[36:37] op_sel_hi:[0,1,1]
	v_mov_b32_e32 v107, v47
	v_pk_fma_f32 v[0:1], v[72:73], v[104:105], v[0:1] op_sel_hi:[0,1,1]
	v_mov_b32_e32 v104, v39
	v_pk_fma_f32 v[0:1], v[72:73], v[106:107], v[0:1] op_sel:[1,0,0]
	v_mov_b32_e32 v107, v39
	v_pk_fma_f32 v[0:1], v[74:75], v[104:105], v[0:1] op_sel_hi:[0,1,1]
	v_mov_b32_e32 v104, v43
	v_pk_fma_f32 v[0:1], v[96:97], v[106:107], v[0:1] op_sel_hi:[0,1,1]
	v_mov_b32_e32 v107, v43
	v_pk_fma_f32 v[0:1], v[68:69], v[104:105], v[0:1] op_sel_hi:[0,1,1]
	v_mov_b32_e32 v104, v35
	v_pk_fma_f32 v[0:1], v[68:69], v[106:107], v[0:1] op_sel:[1,0,0]
	v_mov_b32_e32 v107, v35
	v_pk_fma_f32 v[0:1], v[70:71], v[104:105], v[0:1] op_sel_hi:[0,1,1]
	v_mov_b32_e32 v104, v31
	v_pk_fma_f32 v[0:1], v[94:95], v[106:107], v[0:1] op_sel_hi:[0,1,1]
	v_mov_b32_e32 v107, v28
	v_pk_fma_f32 v[0:1], v[60:61], v[104:105], v[0:1] op_sel_hi:[0,1,1]
	v_pk_fma_f32 v[34:35], v[60:61], v[106:107], v[98:99] op_sel:[1,0,0]
	v_mov_b32_e32 v104, v20
	v_mov_b32_e32 v2, v63
	;; [unrolled: 1-line block ×3, first 2 shown]
	v_pk_fma_f32 v[34:35], v[62:63], v[104:105], v[34:35] op_sel_hi:[0,1,1]
	v_mov_b32_e32 v104, v24
	v_pk_fma_f32 v[34:35], v[2:3], v[106:107], v[34:35] op_sel_hi:[0,1,1]
	v_mov_b32_e32 v107, v24
	s_waitcnt vmcnt(1)
	v_pk_fma_f32 v[34:35], v[56:57], v[104:105], v[34:35] op_sel_hi:[0,1,1]
	v_mov_b32_e32 v104, v16
	v_pk_fma_f32 v[34:35], v[56:57], v[106:107], v[34:35] op_sel:[1,0,0]
	v_mov_b32_e32 v66, v59
	v_mov_b32_e32 v107, v16
	v_pk_fma_f32 v[34:35], v[58:59], v[104:105], v[34:35] op_sel_hi:[0,1,1]
	v_mov_b32_e32 v104, v12
	v_pk_fma_f32 v[34:35], v[66:67], v[106:107], v[34:35] op_sel_hi:[0,1,1]
	v_mov_b32_e32 v107, v12
	s_waitcnt vmcnt(0)
	v_pk_fma_f32 v[34:35], v[52:53], v[104:105], v[34:35] op_sel_hi:[0,1,1]
	v_mov_b32_e32 v104, v8
	v_pk_fma_f32 v[34:35], v[52:53], v[106:107], v[34:35] op_sel:[1,0,0]
	v_mov_b32_e32 v6, v55
	v_mov_b32_e32 v107, v8
	v_pk_fma_f32 v[34:35], v[54:55], v[104:105], v[34:35] op_sel_hi:[0,1,1]
	v_pk_fma_f32 v[100:101], v[6:7], v[106:107], v[34:35] op_sel_hi:[0,1,1]
	v_mov_b32_e32 v107, v29
	v_mov_b32_e32 v104, v21
	v_pk_fma_f32 v[28:29], v[60:61], v[106:107], v[32:33] op_sel:[1,0,0]
	v_mov_b32_e32 v107, v21
	v_pk_fma_f32 v[20:21], v[62:63], v[104:105], v[28:29] op_sel_hi:[0,1,1]
	v_mov_b32_e32 v104, v25
	v_pk_fma_f32 v[20:21], v[2:3], v[106:107], v[20:21] op_sel_hi:[0,1,1]
	v_mov_b32_e32 v107, v25
	v_pk_fma_f32 v[20:21], v[56:57], v[104:105], v[20:21] op_sel_hi:[0,1,1]
	v_mov_b32_e32 v104, v17
	v_pk_fma_f32 v[20:21], v[56:57], v[106:107], v[20:21] op_sel:[1,0,0]
	v_mov_b32_e32 v107, v17
	v_pk_fma_f32 v[16:17], v[58:59], v[104:105], v[20:21] op_sel_hi:[0,1,1]
	v_mov_b32_e32 v104, v13
	v_pk_fma_f32 v[16:17], v[66:67], v[106:107], v[16:17] op_sel_hi:[0,1,1]
	v_mov_b32_e32 v107, v13
	v_pk_fma_f32 v[12:13], v[52:53], v[104:105], v[16:17] op_sel_hi:[0,1,1]
	v_mov_b32_e32 v104, v9
	v_pk_fma_f32 v[12:13], v[52:53], v[106:107], v[12:13] op_sel:[1,0,0]
	v_mov_b32_e32 v107, v9
	v_pk_fma_f32 v[8:9], v[54:55], v[104:105], v[12:13] op_sel_hi:[0,1,1]
	v_pk_fma_f32 v[98:99], v[6:7], v[106:107], v[8:9] op_sel_hi:[0,1,1]
	v_mov_b32_e32 v107, v30
	v_mov_b32_e32 v104, v22
	v_pk_fma_f32 v[4:5], v[60:61], v[106:107], v[4:5] op_sel:[1,0,0]
	v_mov_b32_e32 v107, v22
	v_pk_fma_f32 v[4:5], v[62:63], v[104:105], v[4:5] op_sel_hi:[0,1,1]
	v_mov_b32_e32 v104, v26
	v_pk_fma_f32 v[4:5], v[2:3], v[106:107], v[4:5] op_sel_hi:[0,1,1]
	v_mov_b32_e32 v107, v26
	v_pk_fma_f32 v[4:5], v[56:57], v[104:105], v[4:5] op_sel_hi:[0,1,1]
	v_mov_b32_e32 v104, v18
	v_pk_fma_f32 v[4:5], v[56:57], v[106:107], v[4:5] op_sel:[1,0,0]
	v_mov_b32_e32 v107, v18
	v_pk_fma_f32 v[4:5], v[58:59], v[104:105], v[4:5] op_sel_hi:[0,1,1]
	v_mov_b32_e32 v104, v14
	v_pk_fma_f32 v[4:5], v[66:67], v[106:107], v[4:5] op_sel_hi:[0,1,1]
	v_mov_b32_e32 v107, v14
	v_pk_fma_f32 v[4:5], v[52:53], v[104:105], v[4:5] op_sel_hi:[0,1,1]
	v_mov_b32_e32 v104, v10
	v_pk_fma_f32 v[4:5], v[52:53], v[106:107], v[4:5] op_sel:[1,0,0]
	;; [unrolled: 22-line block ×3, first 2 shown]
	v_mov_b32_e32 v107, v11
	v_pk_fma_f32 v[0:1], v[54:55], v[104:105], v[0:1] op_sel_hi:[0,1,1]
	v_pk_fma_f32 v[94:95], v[6:7], v[106:107], v[0:1] op_sel_hi:[0,1,1]
	s_andn2_b64 exec, exec, s[10:11]
	s_cbranch_execnz .LBB129_39
; %bb.40:
	s_or_b64 exec, exec, s[10:11]
.LBB129_41:
	s_or_b64 exec, exec, s[8:9]
.LBB129_42:
	s_or_b64 exec, exec, s[2:3]
.LBB129_43:
	v_mov_b32_dpp v6, v99 row_shr:1 row_mask:0xf bank_mask:0xf
	v_add_f32_e32 v6, v99, v6
	v_mov_b32_dpp v0, v100 row_shr:1 row_mask:0xf bank_mask:0xf
	v_mov_b32_dpp v2, v101 row_shr:1 row_mask:0xf bank_mask:0xf
	;; [unrolled: 1-line block ×3, first 2 shown]
	v_add_f32_e32 v6, v6, v7
	v_mov_b32_dpp v4, v98 row_shr:1 row_mask:0xf bank_mask:0xf
	v_add_f32_e32 v0, v100, v0
	v_mov_b32_dpp v7, v6 row_shr:4 row_mask:0xf bank_mask:0xe
	v_add_f32_e32 v6, v6, v7
	v_add_f32_e32 v2, v101, v2
	;; [unrolled: 1-line block ×3, first 2 shown]
	v_mov_b32_dpp v7, v6 row_shr:8 row_mask:0xf bank_mask:0xc
	v_add_f32_e32 v6, v6, v7
	v_mov_b32_dpp v1, v0 row_shr:2 row_mask:0xf bank_mask:0xf
	v_mov_b32_dpp v3, v2 row_shr:2 row_mask:0xf bank_mask:0xf
	v_mov_b32_dpp v7, v6 row_bcast:15 row_mask:0xa bank_mask:0xf
	v_add_f32_e32 v7, v6, v7
	v_mov_b32_dpp v6, v96 row_shr:1 row_mask:0xf bank_mask:0xf
	v_add_f32_e32 v6, v96, v6
	v_mov_b32_dpp v5, v4 row_shr:2 row_mask:0xf bank_mask:0xf
	;; [unrolled: 2-line block ×3, first 2 shown]
	v_add_f32_e32 v6, v6, v8
	v_add_f32_e32 v2, v2, v3
	;; [unrolled: 1-line block ×3, first 2 shown]
	v_mov_b32_dpp v8, v6 row_shr:4 row_mask:0xf bank_mask:0xe
	v_add_f32_e32 v6, v6, v8
	v_mov_b32_dpp v1, v0 row_shr:4 row_mask:0xf bank_mask:0xe
	v_mov_b32_dpp v3, v2 row_shr:4 row_mask:0xf bank_mask:0xe
	;; [unrolled: 1-line block ×3, first 2 shown]
	v_add_f32_e32 v6, v6, v8
	v_mov_b32_dpp v5, v4 row_shr:4 row_mask:0xf bank_mask:0xe
	v_add_f32_e32 v0, v0, v1
	v_mov_b32_dpp v8, v6 row_bcast:15 row_mask:0xa bank_mask:0xf
	v_add_f32_e32 v10, v6, v8
	v_mov_b32_dpp v6, v97 row_shr:1 row_mask:0xf bank_mask:0xf
	v_add_f32_e32 v6, v97, v6
	v_add_f32_e32 v2, v2, v3
	;; [unrolled: 1-line block ×3, first 2 shown]
	v_mov_b32_dpp v8, v6 row_shr:2 row_mask:0xf bank_mask:0xf
	v_add_f32_e32 v6, v6, v8
	v_mov_b32_dpp v1, v0 row_shr:8 row_mask:0xf bank_mask:0xc
	v_mov_b32_dpp v3, v2 row_shr:8 row_mask:0xf bank_mask:0xc
	;; [unrolled: 1-line block ×3, first 2 shown]
	v_add_f32_e32 v6, v6, v8
	v_mov_b32_dpp v5, v4 row_shr:8 row_mask:0xf bank_mask:0xc
	v_add_f32_e32 v0, v0, v1
	v_mov_b32_dpp v8, v6 row_shr:8 row_mask:0xf bank_mask:0xc
	v_add_f32_e32 v6, v6, v8
	v_add_f32_e32 v2, v2, v3
	;; [unrolled: 1-line block ×3, first 2 shown]
	v_mov_b32_dpp v8, v6 row_bcast:15 row_mask:0xa bank_mask:0xf
	v_add_f32_e32 v13, v6, v8
	v_mov_b32_dpp v6, v94 row_shr:1 row_mask:0xf bank_mask:0xf
	v_add_f32_e32 v6, v94, v6
	v_mov_b32_dpp v1, v0 row_bcast:15 row_mask:0xa bank_mask:0xf
	v_mov_b32_dpp v3, v2 row_bcast:15 row_mask:0xa bank_mask:0xf
	v_mov_b32_dpp v8, v6 row_shr:2 row_mask:0xf bank_mask:0xf
	v_add_f32_e32 v6, v6, v8
	v_mov_b32_dpp v5, v4 row_bcast:15 row_mask:0xa bank_mask:0xf
	v_add_f32_e32 v0, v0, v1
	v_mov_b32_dpp v8, v6 row_shr:4 row_mask:0xf bank_mask:0xe
	v_add_f32_e32 v6, v6, v8
	v_add_f32_e32 v2, v2, v3
	v_add_f32_e32 v4, v4, v5
	v_mov_b32_dpp v8, v6 row_shr:8 row_mask:0xf bank_mask:0xc
	v_add_f32_e32 v6, v6, v8
	v_mov_b32_dpp v1, v0 row_bcast:31 row_mask:0xc bank_mask:0xf
	v_mov_b32_dpp v3, v2 row_bcast:31 row_mask:0xc bank_mask:0xf
	;; [unrolled: 1-line block ×3, first 2 shown]
	v_add_f32_e32 v16, v6, v8
	v_mov_b32_dpp v6, v95 row_shr:1 row_mask:0xf bank_mask:0xf
	v_add_f32_e32 v6, v95, v6
	v_mov_b32_dpp v5, v4 row_bcast:31 row_mask:0xc bank_mask:0xf
	v_mov_b32_dpp v9, v7 row_bcast:31 row_mask:0xc bank_mask:0xf
	v_mov_b32_dpp v8, v6 row_shr:2 row_mask:0xf bank_mask:0xf
	v_add_f32_e32 v6, v6, v8
	v_mov_b32_dpp v11, v10 row_bcast:31 row_mask:0xc bank_mask:0xf
	v_mov_b32_dpp v15, v13 row_bcast:31 row_mask:0xc bank_mask:0xf
	v_mov_b32_dpp v8, v6 row_shr:4 row_mask:0xf bank_mask:0xe
	v_add_f32_e32 v6, v6, v8
	v_mov_b32_dpp v17, v16 row_bcast:31 row_mask:0xc bank_mask:0xf
	v_cmp_eq_u32_e32 vcc, 63, v86
	v_mov_b32_dpp v8, v6 row_shr:8 row_mask:0xf bank_mask:0xc
	v_add_f32_e32 v6, v6, v8
	s_nop 1
	v_mov_b32_dpp v8, v6 row_bcast:15 row_mask:0xa bank_mask:0xf
	v_add_f32_e32 v18, v6, v8
	s_nop 1
	v_mov_b32_dpp v19, v18 row_bcast:31 row_mask:0xc bank_mask:0xf
	s_and_b64 exec, exec, vcc
	s_cbranch_execz .LBB129_14
; %bb.44:
	s_load_dwordx2 s[2:3], s[4:5], 0x50
	v_add_f32_e32 v8, v0, v1
	v_and_b32_e32 v1, 0x7fffffff, v82
	v_cmp_eq_u32_e32 vcc, 0, v1
	v_cmp_eq_f32_e64 s[0:1], 0, v83
	v_add_f32_e32 v14, v2, v3
	v_add_f32_e32 v6, v4, v5
	;; [unrolled: 1-line block ×7, first 2 shown]
	s_and_b64 s[0:1], vcc, s[0:1]
	v_lshlrev_b32_e32 v16, 2, v84
	s_and_saveexec_b64 s[4:5], s[0:1]
	s_xor_b64 s[0:1], exec, s[4:5]
	s_cbranch_execz .LBB129_46
; %bb.45:
	v_xor_b32_e32 v18, 0x80000000, v81
	v_ashrrev_i32_e32 v17, 31, v16
	v_mov_b32_e32 v19, v80
	v_lshlrev_b64 v[16:17], 3, v[16:17]
	v_pk_mul_f32 v[14:15], v[14:15], v[18:19] op_sel_hi:[0,1]
	s_waitcnt lgkmcnt(0)
	v_mov_b32_e32 v1, s3
	v_add_co_u32_e32 v20, vcc, s2, v16
	v_pk_fma_f32 v[14:15], v[80:81], v[8:9], v[14:15] op_sel_hi:[1,0,1]
	v_pk_mul_f32 v[8:9], v[12:13], v[18:19] op_sel_hi:[0,1]
	v_addc_co_u32_e32 v21, vcc, v1, v17, vcc
	v_pk_fma_f32 v[16:17], v[80:81], v[6:7], v[8:9] op_sel_hi:[1,0,1]
	v_pk_mul_f32 v[6:7], v[10:11], v[18:19] op_sel_hi:[0,1]
	v_pk_mul_f32 v[4:5], v[4:5], v[18:19] op_sel_hi:[0,1]
	v_pk_fma_f32 v[2:3], v[80:81], v[2:3], v[6:7] op_sel_hi:[1,0,1]
	v_pk_fma_f32 v[4:5], v[80:81], v[0:1], v[4:5] op_sel_hi:[1,0,1]
	global_store_dwordx4 v[20:21], v[14:17], off
	global_store_dwordx4 v[20:21], v[2:5], off offset:16
                                        ; implicit-def: $vgpr81
                                        ; implicit-def: $vgpr82
                                        ; implicit-def: $vgpr8
                                        ; implicit-def: $vgpr14
                                        ; implicit-def: $vgpr6
                                        ; implicit-def: $vgpr12
                                        ; implicit-def: $vgpr2
                                        ; implicit-def: $vgpr10
                                        ; implicit-def: $vgpr0
                                        ; implicit-def: $vgpr4
                                        ; implicit-def: $vgpr16
.LBB129_46:
	s_andn2_saveexec_b64 s[0:1], s[0:1]
	s_cbranch_execz .LBB129_14
; %bb.47:
	v_ashrrev_i32_e32 v17, 31, v16
	v_lshlrev_b64 v[16:17], 3, v[16:17]
	s_waitcnt lgkmcnt(0)
	v_mov_b32_e32 v1, s3
	v_add_co_u32_e32 v24, vcc, s2, v16
	v_addc_co_u32_e32 v25, vcc, v1, v17, vcc
	global_load_dwordx4 v[16:19], v[24:25], off
	global_load_dwordx4 v[20:23], v[24:25], off offset:16
	v_xor_b32_e32 v26, 0x80000000, v81
	v_mov_b32_e32 v27, v80
	v_pk_mul_f32 v[14:15], v[14:15], v[26:27] op_sel_hi:[0,1]
	v_pk_mul_f32 v[12:13], v[12:13], v[26:27] op_sel_hi:[0,1]
	;; [unrolled: 1-line block ×4, first 2 shown]
	v_pk_fma_f32 v[8:9], v[80:81], v[8:9], v[14:15] op_sel_hi:[1,0,1]
	v_pk_fma_f32 v[6:7], v[80:81], v[6:7], v[12:13] op_sel_hi:[1,0,1]
	v_xor_b32_e32 v28, 0x80000000, v83
	v_mov_b32_e32 v29, v82
	v_pk_fma_f32 v[2:3], v[80:81], v[2:3], v[10:11] op_sel_hi:[1,0,1]
	v_pk_fma_f32 v[0:1], v[80:81], v[0:1], v[4:5] op_sel_hi:[1,0,1]
	s_waitcnt vmcnt(1)
	v_pk_fma_f32 v[4:5], v[82:83], v[16:17], v[8:9] op_sel_hi:[1,0,1]
	v_pk_fma_f32 v[6:7], v[82:83], v[18:19], v[6:7] op_sel_hi:[1,0,1]
	v_mov_b32_e32 v8, v19
	s_waitcnt vmcnt(0)
	v_pk_fma_f32 v[10:11], v[82:83], v[20:21], v[2:3] op_sel_hi:[1,0,1]
	v_pk_fma_f32 v[12:13], v[82:83], v[22:23], v[0:1] op_sel_hi:[1,0,1]
	v_mov_b32_e32 v14, v23
	v_pk_fma_f32 v[0:1], v[28:29], v[16:17], v[4:5] op_sel:[0,1,0]
	v_pk_fma_f32 v[2:3], v[28:29], v[8:9], v[6:7] op_sel_hi:[1,0,1]
	v_pk_fma_f32 v[4:5], v[28:29], v[20:21], v[10:11] op_sel:[0,1,0]
	v_pk_fma_f32 v[6:7], v[28:29], v[14:15], v[12:13] op_sel_hi:[1,0,1]
	global_store_dwordx4 v[24:25], v[0:3], off
	global_store_dwordx4 v[24:25], v[4:7], off offset:16
	s_endpgm
	.section	.rodata,"a",@progbits
	.p2align	6, 0x0
	.amdhsa_kernel _ZN9rocsparseL18bsrxmvn_4x4_kernelILj128ELj64E21rocsparse_complex_numIfElifS2_S2_EEvT3_20rocsparse_direction_NS_24const_host_device_scalarIT1_EES3_PKS3_PKT2_SC_S9_PKT4_PKT5_S7_PT6_21rocsparse_index_base_b
		.amdhsa_group_segment_fixed_size 0
		.amdhsa_private_segment_fixed_size 0
		.amdhsa_kernarg_size 96
		.amdhsa_user_sgpr_count 6
		.amdhsa_user_sgpr_private_segment_buffer 1
		.amdhsa_user_sgpr_dispatch_ptr 0
		.amdhsa_user_sgpr_queue_ptr 0
		.amdhsa_user_sgpr_kernarg_segment_ptr 1
		.amdhsa_user_sgpr_dispatch_id 0
		.amdhsa_user_sgpr_flat_scratch_init 0
		.amdhsa_user_sgpr_kernarg_preload_length 0
		.amdhsa_user_sgpr_kernarg_preload_offset 0
		.amdhsa_user_sgpr_private_segment_size 0
		.amdhsa_uses_dynamic_stack 0
		.amdhsa_system_sgpr_private_segment_wavefront_offset 0
		.amdhsa_system_sgpr_workgroup_id_x 1
		.amdhsa_system_sgpr_workgroup_id_y 0
		.amdhsa_system_sgpr_workgroup_id_z 0
		.amdhsa_system_sgpr_workgroup_info 0
		.amdhsa_system_vgpr_workitem_id 0
		.amdhsa_next_free_vgpr 128
		.amdhsa_next_free_sgpr 22
		.amdhsa_accum_offset 128
		.amdhsa_reserve_vcc 1
		.amdhsa_reserve_flat_scratch 0
		.amdhsa_float_round_mode_32 0
		.amdhsa_float_round_mode_16_64 0
		.amdhsa_float_denorm_mode_32 3
		.amdhsa_float_denorm_mode_16_64 3
		.amdhsa_dx10_clamp 1
		.amdhsa_ieee_mode 1
		.amdhsa_fp16_overflow 0
		.amdhsa_tg_split 0
		.amdhsa_exception_fp_ieee_invalid_op 0
		.amdhsa_exception_fp_denorm_src 0
		.amdhsa_exception_fp_ieee_div_zero 0
		.amdhsa_exception_fp_ieee_overflow 0
		.amdhsa_exception_fp_ieee_underflow 0
		.amdhsa_exception_fp_ieee_inexact 0
		.amdhsa_exception_int_div_zero 0
	.end_amdhsa_kernel
	.section	.text._ZN9rocsparseL18bsrxmvn_4x4_kernelILj128ELj64E21rocsparse_complex_numIfElifS2_S2_EEvT3_20rocsparse_direction_NS_24const_host_device_scalarIT1_EES3_PKS3_PKT2_SC_S9_PKT4_PKT5_S7_PT6_21rocsparse_index_base_b,"axG",@progbits,_ZN9rocsparseL18bsrxmvn_4x4_kernelILj128ELj64E21rocsparse_complex_numIfElifS2_S2_EEvT3_20rocsparse_direction_NS_24const_host_device_scalarIT1_EES3_PKS3_PKT2_SC_S9_PKT4_PKT5_S7_PT6_21rocsparse_index_base_b,comdat
.Lfunc_end129:
	.size	_ZN9rocsparseL18bsrxmvn_4x4_kernelILj128ELj64E21rocsparse_complex_numIfElifS2_S2_EEvT3_20rocsparse_direction_NS_24const_host_device_scalarIT1_EES3_PKS3_PKT2_SC_S9_PKT4_PKT5_S7_PT6_21rocsparse_index_base_b, .Lfunc_end129-_ZN9rocsparseL18bsrxmvn_4x4_kernelILj128ELj64E21rocsparse_complex_numIfElifS2_S2_EEvT3_20rocsparse_direction_NS_24const_host_device_scalarIT1_EES3_PKS3_PKT2_SC_S9_PKT4_PKT5_S7_PT6_21rocsparse_index_base_b
                                        ; -- End function
	.section	.AMDGPU.csdata,"",@progbits
; Kernel info:
; codeLenInByte = 7568
; NumSgprs: 26
; NumVgprs: 128
; NumAgprs: 0
; TotalNumVgprs: 128
; ScratchSize: 0
; MemoryBound: 0
; FloatMode: 240
; IeeeMode: 1
; LDSByteSize: 0 bytes/workgroup (compile time only)
; SGPRBlocks: 3
; VGPRBlocks: 15
; NumSGPRsForWavesPerEU: 26
; NumVGPRsForWavesPerEU: 128
; AccumOffset: 128
; Occupancy: 4
; WaveLimiterHint : 1
; COMPUTE_PGM_RSRC2:SCRATCH_EN: 0
; COMPUTE_PGM_RSRC2:USER_SGPR: 6
; COMPUTE_PGM_RSRC2:TRAP_HANDLER: 0
; COMPUTE_PGM_RSRC2:TGID_X_EN: 1
; COMPUTE_PGM_RSRC2:TGID_Y_EN: 0
; COMPUTE_PGM_RSRC2:TGID_Z_EN: 0
; COMPUTE_PGM_RSRC2:TIDIG_COMP_CNT: 0
; COMPUTE_PGM_RSRC3_GFX90A:ACCUM_OFFSET: 31
; COMPUTE_PGM_RSRC3_GFX90A:TG_SPLIT: 0
	.section	.text._ZN9rocsparseL18bsrxmvn_4x4_kernelILj128ELj4E21rocsparse_complex_numIfEllfS2_S2_EEvT3_20rocsparse_direction_NS_24const_host_device_scalarIT1_EES3_PKS3_PKT2_SC_S9_PKT4_PKT5_S7_PT6_21rocsparse_index_base_b,"axG",@progbits,_ZN9rocsparseL18bsrxmvn_4x4_kernelILj128ELj4E21rocsparse_complex_numIfEllfS2_S2_EEvT3_20rocsparse_direction_NS_24const_host_device_scalarIT1_EES3_PKS3_PKT2_SC_S9_PKT4_PKT5_S7_PT6_21rocsparse_index_base_b,comdat
	.globl	_ZN9rocsparseL18bsrxmvn_4x4_kernelILj128ELj4E21rocsparse_complex_numIfEllfS2_S2_EEvT3_20rocsparse_direction_NS_24const_host_device_scalarIT1_EES3_PKS3_PKT2_SC_S9_PKT4_PKT5_S7_PT6_21rocsparse_index_base_b ; -- Begin function _ZN9rocsparseL18bsrxmvn_4x4_kernelILj128ELj4E21rocsparse_complex_numIfEllfS2_S2_EEvT3_20rocsparse_direction_NS_24const_host_device_scalarIT1_EES3_PKS3_PKT2_SC_S9_PKT4_PKT5_S7_PT6_21rocsparse_index_base_b
	.p2align	8
	.type	_ZN9rocsparseL18bsrxmvn_4x4_kernelILj128ELj4E21rocsparse_complex_numIfEllfS2_S2_EEvT3_20rocsparse_direction_NS_24const_host_device_scalarIT1_EES3_PKS3_PKT2_SC_S9_PKT4_PKT5_S7_PT6_21rocsparse_index_base_b,@function
_ZN9rocsparseL18bsrxmvn_4x4_kernelILj128ELj4E21rocsparse_complex_numIfEllfS2_S2_EEvT3_20rocsparse_direction_NS_24const_host_device_scalarIT1_EES3_PKS3_PKT2_SC_S9_PKT4_PKT5_S7_PT6_21rocsparse_index_base_b: ; @_ZN9rocsparseL18bsrxmvn_4x4_kernelILj128ELj4E21rocsparse_complex_numIfEllfS2_S2_EEvT3_20rocsparse_direction_NS_24const_host_device_scalarIT1_EES3_PKS3_PKT2_SC_S9_PKT4_PKT5_S7_PT6_21rocsparse_index_base_b
; %bb.0:
	s_load_dwordx2 s[16:17], s[4:5], 0x60
	s_load_dwordx4 s[8:11], s[4:5], 0x10
	s_load_dwordx2 s[2:3], s[4:5], 0x50
	s_waitcnt lgkmcnt(0)
	s_bitcmp1_b32 s17, 0
	s_cselect_b64 s[0:1], -1, 0
	s_xor_b64 s[12:13], s[0:1], -1
	s_and_b64 vcc, exec, s[0:1]
	v_mov_b32_e32 v36, s8
	s_cbranch_vccnz .LBB130_2
; %bb.1:
	v_pk_mov_b32 v[2:3], s[8:9], s[8:9] op_sel:[0,1]
	flat_load_dword v36, v[2:3]
.LBB130_2:
	v_cndmask_b32_e64 v1, 0, 1, s[12:13]
	v_cmp_ne_u32_e64 s[0:1], 1, v1
	s_andn2_b64 vcc, exec, s[12:13]
	v_mov_b32_e32 v37, s9
	s_cbranch_vccz .LBB130_15
; %bb.3:
	s_and_b64 vcc, exec, s[0:1]
	v_mov_b32_e32 v38, s2
	s_cbranch_vccz .LBB130_16
.LBB130_4:
	s_and_b64 vcc, exec, s[0:1]
	v_mov_b32_e32 v39, s3
	s_cbranch_vccnz .LBB130_6
.LBB130_5:
	v_pk_mov_b32 v[2:3], s[2:3], s[2:3] op_sel:[0,1]
	flat_load_dword v39, v[2:3] offset:4
.LBB130_6:
	s_waitcnt vmcnt(0) lgkmcnt(0)
	v_and_b32_e32 v1, 0x7fffffff, v36
	v_cmp_eq_u32_e32 vcc, 0, v1
	v_cmp_eq_f32_e64 s[0:1], 0, v37
	s_and_b64 s[8:9], vcc, s[0:1]
	s_mov_b64 s[0:1], -1
	s_and_saveexec_b64 s[2:3], s[8:9]
; %bb.7:
	v_and_b32_e32 v1, 0x7fffffff, v39
	v_cmp_neq_f32_e32 vcc, 1.0, v38
	v_cmp_ne_u32_e64 s[0:1], 0, v1
	s_or_b64 s[0:1], vcc, s[0:1]
	s_orn2_b64 s[0:1], s[0:1], exec
; %bb.8:
	s_or_b64 exec, exec, s[2:3]
	s_and_saveexec_b64 s[2:3], s[0:1]
	s_cbranch_execz .LBB130_14
; %bb.9:
	s_load_dwordx2 s[2:3], s[4:5], 0x20
	v_lshrrev_b32_e32 v1, 2, v0
	v_lshl_or_b32 v2, s6, 5, v1
	v_mov_b32_e32 v3, 0
	s_mov_b64 s[0:1], 0
	s_waitcnt lgkmcnt(0)
	s_cmp_lg_u64 s[2:3], 0
	s_cbranch_scc0 .LBB130_17
; %bb.10:
	v_cmp_gt_i64_e32 vcc, s[10:11], v[2:3]
                                        ; implicit-def: $vgpr40_vgpr41
	s_and_saveexec_b64 s[6:7], vcc
	s_xor_b64 s[6:7], exec, s[6:7]
                                        ; implicit-def: $sgpr18_sgpr19
	s_cbranch_execz .LBB130_12
; %bb.11:
	v_lshlrev_b64 v[4:5], 3, v[2:3]
	v_mov_b32_e32 v1, s3
	v_add_co_u32_e32 v4, vcc, s2, v4
	v_addc_co_u32_e32 v5, vcc, v1, v5, vcc
	global_load_dwordx2 v[4:5], v[4:5], off
	s_mov_b64 s[0:1], exec
	s_mov_b32 s19, 0
	s_waitcnt vmcnt(0)
	v_subrev_co_u32_e32 v40, vcc, s16, v4
	v_subbrev_co_u32_e32 v41, vcc, 0, v5, vcc
.LBB130_12:
	s_or_b64 exec, exec, s[6:7]
.LBB130_13:
	s_and_b64 exec, exec, s[0:1]
	s_cbranch_execnz .LBB130_21
.LBB130_14:
	s_endpgm
.LBB130_15:
	v_pk_mov_b32 v[2:3], s[8:9], s[8:9] op_sel:[0,1]
	flat_load_dword v37, v[2:3] offset:4
	s_and_b64 vcc, exec, s[0:1]
	v_mov_b32_e32 v38, s2
	s_cbranch_vccnz .LBB130_4
.LBB130_16:
	v_pk_mov_b32 v[2:3], s[2:3], s[2:3] op_sel:[0,1]
	flat_load_dword v38, v[2:3]
	s_and_b64 vcc, exec, s[0:1]
	v_mov_b32_e32 v39, s3
	s_cbranch_vccz .LBB130_5
	s_branch .LBB130_6
.LBB130_17:
                                        ; implicit-def: $vgpr40_vgpr41
                                        ; implicit-def: $sgpr18_sgpr19
	s_cbranch_execz .LBB130_13
; %bb.18:
	s_load_dwordx2 s[2:3], s[4:5], 0x0
                                        ; implicit-def: $vgpr40_vgpr41
	s_waitcnt lgkmcnt(0)
	v_cmp_gt_i64_e32 vcc, s[2:3], v[2:3]
	s_and_saveexec_b64 s[2:3], vcc
                                        ; implicit-def: $sgpr18_sgpr19
; %bb.19:
	s_mov_b32 s19, 0
	s_or_b64 s[0:1], s[0:1], exec
	v_pk_mov_b32 v[40:41], v[2:3], v[2:3] op_sel:[0,1]
; %bb.20:
	s_or_b64 exec, exec, s[2:3]
	s_and_b64 exec, exec, s[0:1]
	s_cbranch_execz .LBB130_14
.LBB130_21:
	s_load_dwordx8 s[8:15], s[4:5], 0x28
	v_lshlrev_b64 v[2:3], 3, v[40:41]
	v_and_b32_e32 v42, 3, v0
	v_mov_b32_e32 v0, s19
	v_mov_b32_e32 v13, 0
	s_waitcnt lgkmcnt(0)
	v_mov_b32_e32 v1, s9
	v_add_co_u32_e32 v4, vcc, s8, v2
	v_addc_co_u32_e32 v5, vcc, v1, v3, vcc
	v_add_co_u32_e32 v1, vcc, 8, v4
	global_load_dwordx2 v[50:51], v[4:5], off
	v_addc_co_u32_e32 v4, vcc, 0, v5, vcc
	v_mov_b32_e32 v5, s11
	v_add_co_u32_e32 v2, vcc, s10, v2
	s_cmp_eq_u64 s[10:11], 0
	v_addc_co_u32_e32 v3, vcc, v5, v3, vcc
	s_cselect_b64 vcc, -1, 0
	v_cndmask_b32_e32 v3, v3, v4, vcc
	v_cndmask_b32_e32 v2, v2, v1, vcc
	global_load_dwordx2 v[2:3], v[2:3], off
	s_load_dwordx2 s[6:7], s[4:5], 0x48
	s_load_dword s0, s[4:5], 0x8
	v_mov_b32_e32 v4, s15
	s_waitcnt lgkmcnt(0)
	s_cmp_eq_u32 s0, 1
	s_waitcnt vmcnt(1)
	v_subrev_co_u32_e32 v1, vcc, s16, v50
	v_subb_co_u32_e32 v5, vcc, v51, v0, vcc
	v_add_co_u32_e32 v44, vcc, v1, v42
	v_addc_co_u32_e32 v45, vcc, 0, v5, vcc
	s_waitcnt vmcnt(0)
	v_subrev_co_u32_e32 v46, vcc, s16, v2
	v_subb_co_u32_e32 v47, vcc, v3, v0, vcc
	v_lshlrev_b64 v[0:1], 6, v[44:45]
	v_add_co_u32_e32 v48, vcc, s14, v0
	v_addc_co_u32_e32 v49, vcc, v4, v1, vcc
	v_cmp_lt_i64_e64 s[0:1], v[44:45], v[46:47]
	s_cbranch_scc1 .LBB130_33
; %bb.22:
	v_mov_b32_e32 v12, 0
	v_mov_b32_e32 v17, 0
	;; [unrolled: 1-line block ×7, first 2 shown]
	s_and_saveexec_b64 s[8:9], s[0:1]
	s_cbranch_execz .LBB130_32
; %bb.23:
	v_or_b32_e32 v0, 4, v42
	v_mov_b32_e32 v1, s19
	v_subrev_co_u32_e32 v0, vcc, s16, v0
	v_subb_co_u32_e32 v1, vcc, 0, v1, vcc
	v_add_co_u32_e32 v0, vcc, v0, v50
	v_addc_co_u32_e32 v1, vcc, v1, v51, vcc
	v_cmp_gt_i64_e32 vcc, v[0:1], v[46:47]
	v_cndmask_b32_e32 v1, v47, v1, vcc
	v_cndmask_b32_e32 v0, v46, v0, vcc
	v_mov_b32_e32 v4, s19
	v_sub_co_u32_e32 v5, vcc, s16, v42
	v_not_b32_e32 v3, v50
	v_subbrev_co_u32_e32 v4, vcc, 0, v4, vcc
	v_not_b32_e32 v2, v51
	v_add_co_u32_e32 v3, vcc, v5, v3
	v_addc_co_u32_e32 v4, vcc, v4, v2, vcc
	v_add_co_u32_e32 v2, vcc, v3, v0
	v_lshrrev_b32_e32 v0, 2, v2
	v_add_u32_e32 v0, 1, v0
	v_addc_co_u32_e32 v3, vcc, v4, v1, vcc
	v_and_b32_e32 v4, 3, v0
	v_mov_b32_e32 v0, 0
	v_cmp_ne_u32_e32 vcc, 0, v4
	v_mov_b32_e32 v1, v0
	v_mov_b32_e32 v14, v0
	v_mov_b32_e32 v15, v0
	v_mov_b32_e32 v16, v0
	v_mov_b32_e32 v17, v0
	v_mov_b32_e32 v12, v0
	v_mov_b32_e32 v13, v0
	v_pk_mov_b32 v[52:53], v[48:49], v[48:49] op_sel:[0,1]
	v_pk_mov_b32 v[54:55], v[44:45], v[44:45] op_sel:[0,1]
	s_and_saveexec_b64 s[2:3], vcc
	s_cbranch_execz .LBB130_27
; %bb.24:
	v_lshlrev_b64 v[0:1], 3, v[44:45]
	v_mov_b32_e32 v5, 0
	v_mov_b32_e32 v7, s13
	v_add_co_u32_e32 v6, vcc, s12, v0
	v_lshlrev_b32_e32 v4, 3, v4
	v_addc_co_u32_e32 v7, vcc, v7, v1, vcc
	s_mov_b64 s[10:11], 0
	s_movk_i32 s14, 0x100
	v_mov_b32_e32 v18, s19
	v_mov_b32_e32 v19, s7
	v_bfrev_b32_e32 v8, 1
	v_pk_mov_b32 v[10:11], v[4:5], v[4:5] op_sel:[0,1]
	v_pk_mov_b32 v[54:55], v[44:45], v[44:45] op_sel:[0,1]
	;; [unrolled: 1-line block ×3, first 2 shown]
	v_mov_b32_e32 v0, v5
	v_mov_b32_e32 v1, v5
	;; [unrolled: 1-line block ×8, first 2 shown]
.LBB130_25:                             ; =>This Inner Loop Header: Depth=1
	global_load_dwordx2 v[28:29], v[6:7], off
	global_load_dwordx4 v[20:23], v[52:53], off offset:16
	global_load_dwordx4 v[24:27], v[52:53], off
	s_waitcnt vmcnt(2)
	v_subrev_co_u32_e32 v28, vcc, s16, v28
	v_subb_co_u32_e32 v29, vcc, v29, v18, vcc
	v_lshlrev_b64 v[28:29], 5, v[28:29]
	v_add_co_u32_e32 v64, vcc, s6, v28
	v_addc_co_u32_e32 v65, vcc, v19, v29, vcc
	global_load_dwordx4 v[28:31], v[64:65], off
	global_load_dwordx4 v[32:35], v[64:65], off offset:16
	global_load_dwordx4 v[56:59], v[52:53], off offset:32
	;; [unrolled: 1-line block ×3, first 2 shown]
	s_waitcnt vmcnt(4)
	v_mov_b32_e32 v4, v24
	v_mov_b32_e32 v9, v24
	v_add_co_u32_e32 v52, vcc, s14, v52
	v_addc_co_u32_e32 v53, vcc, 0, v53, vcc
	v_add_co_u32_e32 v54, vcc, 4, v54
	v_addc_co_u32_e32 v55, vcc, 0, v55, vcc
	;; [unrolled: 2-line block ×3, first 2 shown]
	v_add_co_u32_e32 v10, vcc, -8, v10
	v_addc_co_u32_e32 v11, vcc, -1, v11, vcc
	v_cmp_eq_u64_e32 vcc, 0, v[10:11]
	s_or_b64 s[10:11], vcc, s[10:11]
	s_waitcnt vmcnt(3)
	v_pk_fma_f32 v[12:13], v[28:29], v[4:5], v[12:13] op_sel_hi:[0,1,1]
	v_mov_b32_e32 v4, v25
	v_pk_fma_f32 v[12:13], v[28:29], v[8:9], v[12:13] op_sel:[1,0,0]
	v_mov_b32_e32 v24, v31
	v_mov_b32_e32 v9, v25
	v_pk_fma_f32 v[12:13], v[30:31], v[4:5], v[12:13] op_sel_hi:[0,1,1]
	v_mov_b32_e32 v4, v26
	v_pk_fma_f32 v[12:13], v[24:25], v[8:9], v[12:13] op_sel_hi:[0,1,1]
	v_mov_b32_e32 v9, v26
	s_waitcnt vmcnt(2)
	v_pk_fma_f32 v[12:13], v[32:33], v[4:5], v[12:13] op_sel_hi:[0,1,1]
	v_mov_b32_e32 v4, v27
	v_pk_fma_f32 v[12:13], v[32:33], v[8:9], v[12:13] op_sel:[1,0,0]
	v_mov_b32_e32 v64, v35
	v_mov_b32_e32 v9, v27
	v_pk_fma_f32 v[12:13], v[34:35], v[4:5], v[12:13] op_sel_hi:[0,1,1]
	v_mov_b32_e32 v4, v20
	v_pk_fma_f32 v[12:13], v[64:65], v[8:9], v[12:13] op_sel_hi:[0,1,1]
	v_pk_fma_f32 v[16:17], v[28:29], v[4:5], v[16:17] op_sel_hi:[0,1,1]
	v_mov_b32_e32 v9, v20
	v_mov_b32_e32 v4, v21
	v_pk_fma_f32 v[16:17], v[28:29], v[8:9], v[16:17] op_sel:[1,0,0]
	v_mov_b32_e32 v9, v21
	v_pk_fma_f32 v[16:17], v[30:31], v[4:5], v[16:17] op_sel_hi:[0,1,1]
	v_mov_b32_e32 v4, v22
	v_pk_fma_f32 v[16:17], v[24:25], v[8:9], v[16:17] op_sel_hi:[0,1,1]
	;; [unrolled: 2-line block ×3, first 2 shown]
	v_mov_b32_e32 v4, v23
	v_pk_fma_f32 v[16:17], v[32:33], v[8:9], v[16:17] op_sel:[1,0,0]
	v_mov_b32_e32 v9, v23
	v_pk_fma_f32 v[16:17], v[34:35], v[4:5], v[16:17] op_sel_hi:[0,1,1]
	s_waitcnt vmcnt(1)
	v_mov_b32_e32 v4, v56
	v_pk_fma_f32 v[16:17], v[64:65], v[8:9], v[16:17] op_sel_hi:[0,1,1]
	v_pk_fma_f32 v[14:15], v[28:29], v[4:5], v[14:15] op_sel_hi:[0,1,1]
	v_mov_b32_e32 v9, v56
	v_mov_b32_e32 v4, v57
	v_pk_fma_f32 v[14:15], v[28:29], v[8:9], v[14:15] op_sel:[1,0,0]
	v_mov_b32_e32 v9, v57
	v_pk_fma_f32 v[14:15], v[30:31], v[4:5], v[14:15] op_sel_hi:[0,1,1]
	v_mov_b32_e32 v4, v58
	v_pk_fma_f32 v[14:15], v[24:25], v[8:9], v[14:15] op_sel_hi:[0,1,1]
	;; [unrolled: 2-line block ×3, first 2 shown]
	v_mov_b32_e32 v4, v59
	v_pk_fma_f32 v[14:15], v[32:33], v[8:9], v[14:15] op_sel:[1,0,0]
	v_mov_b32_e32 v9, v59
	v_pk_fma_f32 v[14:15], v[34:35], v[4:5], v[14:15] op_sel_hi:[0,1,1]
	s_waitcnt vmcnt(0)
	v_mov_b32_e32 v4, v60
	v_pk_fma_f32 v[14:15], v[64:65], v[8:9], v[14:15] op_sel_hi:[0,1,1]
	v_pk_fma_f32 v[0:1], v[28:29], v[4:5], v[0:1] op_sel_hi:[0,1,1]
	v_mov_b32_e32 v9, v60
	v_mov_b32_e32 v4, v61
	v_pk_fma_f32 v[0:1], v[28:29], v[8:9], v[0:1] op_sel:[1,0,0]
	v_mov_b32_e32 v9, v61
	v_pk_fma_f32 v[0:1], v[30:31], v[4:5], v[0:1] op_sel_hi:[0,1,1]
	v_mov_b32_e32 v4, v62
	v_pk_fma_f32 v[0:1], v[24:25], v[8:9], v[0:1] op_sel_hi:[0,1,1]
	v_mov_b32_e32 v9, v62
	v_pk_fma_f32 v[0:1], v[32:33], v[4:5], v[0:1] op_sel_hi:[0,1,1]
	v_mov_b32_e32 v4, v63
	v_pk_fma_f32 v[0:1], v[32:33], v[8:9], v[0:1] op_sel:[1,0,0]
	v_mov_b32_e32 v9, v63
	v_pk_fma_f32 v[0:1], v[34:35], v[4:5], v[0:1] op_sel_hi:[0,1,1]
	v_pk_fma_f32 v[0:1], v[64:65], v[8:9], v[0:1] op_sel_hi:[0,1,1]
	s_andn2_b64 exec, exec, s[10:11]
	s_cbranch_execnz .LBB130_25
; %bb.26:
	s_or_b64 exec, exec, s[10:11]
.LBB130_27:
	s_or_b64 exec, exec, s[2:3]
	v_cmp_lt_u64_e32 vcc, 11, v[2:3]
	s_and_saveexec_b64 s[10:11], vcc
	s_cbranch_execz .LBB130_31
; %bb.28:
	v_lshlrev_b64 v[2:3], 3, v[54:55]
	v_mov_b32_e32 v4, s13
	v_add_co_u32_e32 v2, vcc, s12, v2
	v_addc_co_u32_e32 v3, vcc, v3, v4, vcc
	v_add_co_u32_e32 v56, vcc, 64, v2
	v_addc_co_u32_e32 v57, vcc, 0, v3, vcc
	s_mov_b64 s[14:15], 0
	v_mov_b32_e32 v43, s19
	v_mov_b32_e32 v70, s7
	;; [unrolled: 1-line block ×3, first 2 shown]
	v_bfrev_b32_e32 v60, 1
.LBB130_29:                             ; =>This Inner Loop Header: Depth=1
	global_load_dwordx2 v[2:3], v[56:57], off offset:-64
	s_waitcnt vmcnt(0)
	v_subrev_co_u32_e32 v10, vcc, s16, v2
	v_subb_co_u32_e32 v11, vcc, v3, v43, vcc
	v_lshlrev_b64 v[10:11], 5, v[10:11]
	v_add_co_u32_e32 v10, vcc, s6, v10
	v_addc_co_u32_e32 v11, vcc, v70, v11, vcc
	global_load_dwordx4 v[2:5], v[52:53], off offset:48
	global_load_dwordx4 v[6:9], v[52:53], off offset:32
	;; [unrolled: 1-line block ×3, first 2 shown]
	global_load_dwordx4 v[66:69], v[52:53], off
	global_load_dwordx4 v[72:75], v[10:11], off offset:16
	global_load_dwordx4 v[76:79], v[10:11], off
	global_load_dwordx2 v[18:19], v[56:57], off offset:-32
	global_load_dwordx4 v[20:23], v[52:53], off offset:304
	global_load_dwordx4 v[32:35], v[52:53], off offset:288
	;; [unrolled: 1-line block ×4, first 2 shown]
	s_waitcnt vmcnt(7)
	v_mov_b32_e32 v58, v66
	s_waitcnt vmcnt(4)
	v_subrev_co_u32_e32 v10, vcc, s16, v18
	v_subb_co_u32_e32 v11, vcc, v19, v43, vcc
	v_lshlrev_b64 v[10:11], 5, v[10:11]
	v_add_co_u32_e32 v10, vcc, s6, v10
	v_addc_co_u32_e32 v11, vcc, v70, v11, vcc
	global_load_dwordx4 v[24:27], v[10:11], off offset:16
	global_load_dwordx4 v[28:31], v[10:11], off
	v_pk_fma_f32 v[10:11], v[76:77], v[58:59], v[12:13] op_sel_hi:[0,1,1]
	v_mov_b32_e32 v61, v66
	v_pk_fma_f32 v[10:11], v[76:77], v[60:61], v[10:11] op_sel:[1,0,0]
	v_mov_b32_e32 v58, v67
	v_pk_fma_f32 v[10:11], v[78:79], v[58:59], v[10:11] op_sel_hi:[0,1,1]
	v_mov_b32_e32 v12, v79
	v_mov_b32_e32 v61, v67
	v_pk_fma_f32 v[10:11], v[12:13], v[60:61], v[10:11] op_sel_hi:[0,1,1]
	v_mov_b32_e32 v58, v68
	v_pk_fma_f32 v[10:11], v[72:73], v[58:59], v[10:11] op_sel_hi:[0,1,1]
	v_mov_b32_e32 v61, v68
	v_pk_fma_f32 v[10:11], v[72:73], v[60:61], v[10:11] op_sel:[1,0,0]
	v_mov_b32_e32 v58, v69
	v_pk_fma_f32 v[10:11], v[74:75], v[58:59], v[10:11] op_sel_hi:[0,1,1]
	v_mov_b32_e32 v18, v75
	v_mov_b32_e32 v61, v69
	v_pk_fma_f32 v[10:11], v[18:19], v[60:61], v[10:11] op_sel_hi:[0,1,1]
	s_waitcnt vmcnt(2)
	v_mov_b32_e32 v58, v84
	v_mov_b32_e32 v61, v84
	s_waitcnt vmcnt(0)
	v_pk_fma_f32 v[10:11], v[28:29], v[58:59], v[10:11] op_sel_hi:[0,1,1]
	v_mov_b32_e32 v58, v62
	v_pk_fma_f32 v[68:69], v[28:29], v[60:61], v[10:11] op_sel:[1,0,0]
	v_pk_fma_f32 v[10:11], v[76:77], v[58:59], v[16:17] op_sel_hi:[0,1,1]
	v_mov_b32_e32 v61, v62
	v_pk_fma_f32 v[10:11], v[76:77], v[60:61], v[10:11] op_sel:[1,0,0]
	v_mov_b32_e32 v58, v63
	v_pk_fma_f32 v[10:11], v[78:79], v[58:59], v[10:11] op_sel_hi:[0,1,1]
	v_mov_b32_e32 v61, v63
	v_pk_fma_f32 v[10:11], v[12:13], v[60:61], v[10:11] op_sel_hi:[0,1,1]
	v_mov_b32_e32 v58, v64
	v_pk_fma_f32 v[10:11], v[72:73], v[58:59], v[10:11] op_sel_hi:[0,1,1]
	v_mov_b32_e32 v61, v64
	v_pk_fma_f32 v[10:11], v[72:73], v[60:61], v[10:11] op_sel:[1,0,0]
	v_mov_b32_e32 v58, v65
	v_pk_fma_f32 v[10:11], v[74:75], v[58:59], v[10:11] op_sel_hi:[0,1,1]
	v_mov_b32_e32 v61, v65
	v_pk_fma_f32 v[10:11], v[18:19], v[60:61], v[10:11] op_sel_hi:[0,1,1]
	v_mov_b32_e32 v58, v80
	v_pk_fma_f32 v[10:11], v[28:29], v[58:59], v[10:11] op_sel_hi:[0,1,1]
	v_mov_b32_e32 v61, v80
	v_mov_b32_e32 v58, v6
	v_pk_fma_f32 v[66:67], v[28:29], v[60:61], v[10:11] op_sel:[1,0,0]
	v_pk_fma_f32 v[10:11], v[76:77], v[58:59], v[14:15] op_sel_hi:[0,1,1]
	v_mov_b32_e32 v61, v6
	v_pk_fma_f32 v[10:11], v[76:77], v[60:61], v[10:11] op_sel:[1,0,0]
	v_mov_b32_e32 v58, v7
	v_pk_fma_f32 v[10:11], v[78:79], v[58:59], v[10:11] op_sel_hi:[0,1,1]
	v_mov_b32_e32 v61, v7
	v_pk_fma_f32 v[6:7], v[12:13], v[60:61], v[10:11] op_sel_hi:[0,1,1]
	v_mov_b32_e32 v58, v8
	v_pk_fma_f32 v[6:7], v[72:73], v[58:59], v[6:7] op_sel_hi:[0,1,1]
	v_mov_b32_e32 v61, v8
	v_pk_fma_f32 v[6:7], v[72:73], v[60:61], v[6:7] op_sel:[1,0,0]
	v_mov_b32_e32 v58, v9
	v_pk_fma_f32 v[6:7], v[74:75], v[58:59], v[6:7] op_sel_hi:[0,1,1]
	v_mov_b32_e32 v61, v9
	v_pk_fma_f32 v[6:7], v[18:19], v[60:61], v[6:7] op_sel_hi:[0,1,1]
	v_mov_b32_e32 v58, v32
	v_pk_fma_f32 v[6:7], v[28:29], v[58:59], v[6:7] op_sel_hi:[0,1,1]
	v_mov_b32_e32 v61, v32
	;; [unrolled: 20-line block ×3, first 2 shown]
	v_pk_fma_f32 v[62:63], v[28:29], v[60:61], v[0:1] op_sel:[1,0,0]
	global_load_dwordx2 v[0:1], v[56:57], off
	v_mov_b32_e32 v58, v85
	v_mov_b32_e32 v20, v31
	;; [unrolled: 1-line block ×4, first 2 shown]
	s_waitcnt vmcnt(0)
	v_subrev_co_u32_e32 v4, vcc, s16, v0
	v_subb_co_u32_e32 v5, vcc, v1, v43, vcc
	v_lshlrev_b64 v[4:5], 5, v[4:5]
	v_add_co_u32_e32 v28, vcc, s6, v4
	global_load_dwordx4 v[0:3], v[52:53], off offset:560
	global_load_dwordx4 v[8:11], v[52:53], off offset:544
	;; [unrolled: 1-line block ×4, first 2 shown]
	v_addc_co_u32_e32 v29, vcc, v70, v5, vcc
	global_load_dwordx4 v[4:7], v[28:29], off offset:16
	global_load_dwordx4 v[72:75], v[28:29], off
	v_pk_fma_f32 v[28:29], v[30:31], v[58:59], v[68:69] op_sel_hi:[0,1,1]
	v_pk_fma_f32 v[28:29], v[20:21], v[60:61], v[28:29] op_sel_hi:[0,1,1]
	v_mov_b32_e32 v58, v86
	v_pk_fma_f32 v[28:29], v[24:25], v[58:59], v[28:29] op_sel_hi:[0,1,1]
	v_mov_b32_e32 v61, v86
	v_pk_fma_f32 v[28:29], v[24:25], v[60:61], v[28:29] op_sel:[1,0,0]
	v_mov_b32_e32 v58, v87
	v_pk_fma_f32 v[28:29], v[26:27], v[58:59], v[28:29] op_sel_hi:[0,1,1]
	v_mov_b32_e32 v61, v87
	v_pk_fma_f32 v[28:29], v[32:33], v[60:61], v[28:29] op_sel_hi:[0,1,1]
	s_waitcnt vmcnt(2)
	v_mov_b32_e32 v58, v16
	v_mov_b32_e32 v61, v16
	s_waitcnt vmcnt(0)
	v_pk_fma_f32 v[28:29], v[72:73], v[58:59], v[28:29] op_sel_hi:[0,1,1]
	v_pk_fma_f32 v[28:29], v[72:73], v[60:61], v[28:29] op_sel:[1,0,0]
	v_mov_b32_e32 v58, v17
	v_pk_fma_f32 v[28:29], v[74:75], v[58:59], v[28:29] op_sel_hi:[0,1,1]
	v_mov_b32_e32 v68, v75
	v_mov_b32_e32 v61, v17
	v_pk_fma_f32 v[16:17], v[68:69], v[60:61], v[28:29] op_sel_hi:[0,1,1]
	v_mov_b32_e32 v58, v18
	v_pk_fma_f32 v[28:29], v[4:5], v[58:59], v[16:17] op_sel_hi:[0,1,1]
	v_mov_b32_e32 v58, v81
	v_pk_fma_f32 v[16:17], v[30:31], v[58:59], v[66:67] op_sel_hi:[0,1,1]
	v_mov_b32_e32 v61, v81
	v_pk_fma_f32 v[16:17], v[20:21], v[60:61], v[16:17] op_sel_hi:[0,1,1]
	v_mov_b32_e32 v58, v82
	v_pk_fma_f32 v[16:17], v[24:25], v[58:59], v[16:17] op_sel_hi:[0,1,1]
	v_mov_b32_e32 v61, v82
	v_pk_fma_f32 v[16:17], v[24:25], v[60:61], v[16:17] op_sel:[1,0,0]
	v_mov_b32_e32 v58, v83
	v_pk_fma_f32 v[16:17], v[26:27], v[58:59], v[16:17] op_sel_hi:[0,1,1]
	v_mov_b32_e32 v61, v83
	v_pk_fma_f32 v[16:17], v[32:33], v[60:61], v[16:17] op_sel_hi:[0,1,1]
	v_mov_b32_e32 v58, v12
	v_pk_fma_f32 v[16:17], v[72:73], v[58:59], v[16:17] op_sel_hi:[0,1,1]
	v_mov_b32_e32 v61, v12
	v_pk_fma_f32 v[16:17], v[72:73], v[60:61], v[16:17] op_sel:[1,0,0]
	v_mov_b32_e32 v58, v13
	v_pk_fma_f32 v[16:17], v[74:75], v[58:59], v[16:17] op_sel_hi:[0,1,1]
	v_mov_b32_e32 v61, v13
	v_pk_fma_f32 v[12:13], v[68:69], v[60:61], v[16:17] op_sel_hi:[0,1,1]
	v_mov_b32_e32 v58, v14
	v_pk_fma_f32 v[16:17], v[4:5], v[58:59], v[12:13] op_sel_hi:[0,1,1]
	v_mov_b32_e32 v58, v33
	v_pk_fma_f32 v[12:13], v[30:31], v[58:59], v[64:65] op_sel_hi:[0,1,1]
	v_mov_b32_e32 v61, v33
	v_pk_fma_f32 v[12:13], v[20:21], v[60:61], v[12:13] op_sel_hi:[0,1,1]
	v_mov_b32_e32 v58, v34
	v_pk_fma_f32 v[12:13], v[24:25], v[58:59], v[12:13] op_sel_hi:[0,1,1]
	v_mov_b32_e32 v61, v34
	v_pk_fma_f32 v[12:13], v[24:25], v[60:61], v[12:13] op_sel:[1,0,0]
	v_mov_b32_e32 v58, v35
	v_pk_fma_f32 v[12:13], v[26:27], v[58:59], v[12:13] op_sel_hi:[0,1,1]
	v_mov_b32_e32 v61, v35
	v_pk_fma_f32 v[12:13], v[32:33], v[60:61], v[12:13] op_sel_hi:[0,1,1]
	v_mov_b32_e32 v58, v8
	v_pk_fma_f32 v[12:13], v[72:73], v[58:59], v[12:13] op_sel_hi:[0,1,1]
	v_mov_b32_e32 v61, v8
	v_pk_fma_f32 v[12:13], v[72:73], v[60:61], v[12:13] op_sel:[1,0,0]
	v_mov_b32_e32 v58, v9
	v_pk_fma_f32 v[12:13], v[74:75], v[58:59], v[12:13] op_sel_hi:[0,1,1]
	;; [unrolled: 22-line block ×3, first 2 shown]
	v_mov_b32_e32 v61, v1
	v_pk_fma_f32 v[0:1], v[68:69], v[60:61], v[12:13] op_sel_hi:[0,1,1]
	global_load_dwordx2 v[12:13], v[56:57], off offset:32
	global_load_dwordx4 v[20:23], v[52:53], off offset:816
	global_load_dwordx4 v[24:27], v[52:53], off offset:800
	;; [unrolled: 1-line block ×4, first 2 shown]
	v_mov_b32_e32 v58, v2
	v_mov_b32_e32 v61, v18
	v_pk_fma_f32 v[0:1], v[4:5], v[58:59], v[0:1] op_sel_hi:[0,1,1]
	v_mov_b32_e32 v58, v19
	v_mov_b32_e32 v18, v7
	s_waitcnt vmcnt(4)
	v_subrev_co_u32_e32 v12, vcc, s16, v12
	v_subb_co_u32_e32 v13, vcc, v13, v43, vcc
	v_lshlrev_b64 v[12:13], 5, v[12:13]
	v_add_co_u32_e32 v12, vcc, s6, v12
	v_addc_co_u32_e32 v13, vcc, v70, v13, vcc
	global_load_dwordx4 v[66:69], v[12:13], off offset:16
	global_load_dwordx4 v[72:75], v[12:13], off
	v_pk_fma_f32 v[12:13], v[4:5], v[60:61], v[28:29] op_sel:[1,0,0]
	v_pk_fma_f32 v[12:13], v[6:7], v[58:59], v[12:13] op_sel_hi:[0,1,1]
	v_mov_b32_e32 v61, v19
	v_pk_fma_f32 v[12:13], v[18:19], v[60:61], v[12:13] op_sel_hi:[0,1,1]
	s_waitcnt vmcnt(2)
	v_mov_b32_e32 v58, v62
	v_mov_b32_e32 v61, v62
	v_add_co_u32_e32 v54, vcc, 16, v54
	v_addc_co_u32_e32 v55, vcc, 0, v55, vcc
	v_add_co_u32_e32 v56, vcc, 0x80, v56
	v_addc_co_u32_e32 v57, vcc, 0, v57, vcc
	v_cmp_ge_i64_e64 s[2:3], v[54:55], v[46:47]
	v_add_co_u32_e32 v52, vcc, 0x400, v52
	v_addc_co_u32_e32 v53, vcc, 0, v53, vcc
	s_or_b64 s[14:15], s[2:3], s[14:15]
	s_waitcnt vmcnt(1)
	v_mov_b32_e32 v34, v69
	s_waitcnt vmcnt(0)
	v_pk_fma_f32 v[12:13], v[72:73], v[58:59], v[12:13] op_sel_hi:[0,1,1]
	v_pk_fma_f32 v[12:13], v[72:73], v[60:61], v[12:13] op_sel:[1,0,0]
	v_mov_b32_e32 v58, v63
	v_pk_fma_f32 v[12:13], v[74:75], v[58:59], v[12:13] op_sel_hi:[0,1,1]
	v_mov_b32_e32 v28, v75
	v_mov_b32_e32 v61, v63
	v_pk_fma_f32 v[12:13], v[28:29], v[60:61], v[12:13] op_sel_hi:[0,1,1]
	v_mov_b32_e32 v58, v64
	v_pk_fma_f32 v[12:13], v[66:67], v[58:59], v[12:13] op_sel_hi:[0,1,1]
	v_mov_b32_e32 v61, v64
	v_pk_fma_f32 v[12:13], v[66:67], v[60:61], v[12:13] op_sel:[1,0,0]
	v_mov_b32_e32 v58, v65
	v_pk_fma_f32 v[12:13], v[68:69], v[58:59], v[12:13] op_sel_hi:[0,1,1]
	v_mov_b32_e32 v61, v65
	v_pk_fma_f32 v[12:13], v[34:35], v[60:61], v[12:13] op_sel_hi:[0,1,1]
	v_mov_b32_e32 v61, v14
	v_pk_fma_f32 v[16:17], v[4:5], v[60:61], v[16:17] op_sel:[1,0,0]
	v_mov_b32_e32 v58, v15
	v_pk_fma_f32 v[16:17], v[6:7], v[58:59], v[16:17] op_sel_hi:[0,1,1]
	v_mov_b32_e32 v61, v15
	v_pk_fma_f32 v[14:15], v[18:19], v[60:61], v[16:17] op_sel_hi:[0,1,1]
	v_mov_b32_e32 v58, v30
	v_pk_fma_f32 v[14:15], v[72:73], v[58:59], v[14:15] op_sel_hi:[0,1,1]
	v_mov_b32_e32 v61, v30
	v_pk_fma_f32 v[14:15], v[72:73], v[60:61], v[14:15] op_sel:[1,0,0]
	v_mov_b32_e32 v58, v31
	v_pk_fma_f32 v[14:15], v[74:75], v[58:59], v[14:15] op_sel_hi:[0,1,1]
	v_mov_b32_e32 v61, v31
	v_pk_fma_f32 v[14:15], v[28:29], v[60:61], v[14:15] op_sel_hi:[0,1,1]
	v_mov_b32_e32 v58, v32
	v_pk_fma_f32 v[14:15], v[66:67], v[58:59], v[14:15] op_sel_hi:[0,1,1]
	v_mov_b32_e32 v61, v32
	v_pk_fma_f32 v[14:15], v[66:67], v[60:61], v[14:15] op_sel:[1,0,0]
	v_mov_b32_e32 v58, v33
	v_pk_fma_f32 v[14:15], v[68:69], v[58:59], v[14:15] op_sel_hi:[0,1,1]
	v_mov_b32_e32 v61, v33
	v_pk_fma_f32 v[16:17], v[34:35], v[60:61], v[14:15] op_sel_hi:[0,1,1]
	v_mov_b32_e32 v61, v10
	v_pk_fma_f32 v[8:9], v[4:5], v[60:61], v[8:9] op_sel:[1,0,0]
	v_mov_b32_e32 v58, v11
	v_pk_fma_f32 v[8:9], v[6:7], v[58:59], v[8:9] op_sel_hi:[0,1,1]
	v_mov_b32_e32 v61, v11
	v_pk_fma_f32 v[8:9], v[18:19], v[60:61], v[8:9] op_sel_hi:[0,1,1]
	v_mov_b32_e32 v58, v24
	v_pk_fma_f32 v[8:9], v[72:73], v[58:59], v[8:9] op_sel_hi:[0,1,1]
	v_mov_b32_e32 v61, v24
	v_pk_fma_f32 v[8:9], v[72:73], v[60:61], v[8:9] op_sel:[1,0,0]
	v_mov_b32_e32 v58, v25
	v_pk_fma_f32 v[8:9], v[74:75], v[58:59], v[8:9] op_sel_hi:[0,1,1]
	;; [unrolled: 22-line block ×3, first 2 shown]
	v_mov_b32_e32 v61, v21
	v_pk_fma_f32 v[0:1], v[28:29], v[60:61], v[0:1] op_sel_hi:[0,1,1]
	v_mov_b32_e32 v58, v22
	v_pk_fma_f32 v[0:1], v[66:67], v[58:59], v[0:1] op_sel_hi:[0,1,1]
	v_mov_b32_e32 v61, v22
	v_pk_fma_f32 v[0:1], v[66:67], v[60:61], v[0:1] op_sel:[1,0,0]
	v_mov_b32_e32 v58, v23
	v_pk_fma_f32 v[0:1], v[68:69], v[58:59], v[0:1] op_sel_hi:[0,1,1]
	v_mov_b32_e32 v61, v23
	v_pk_fma_f32 v[0:1], v[34:35], v[60:61], v[0:1] op_sel_hi:[0,1,1]
	s_andn2_b64 exec, exec, s[14:15]
	s_cbranch_execnz .LBB130_29
; %bb.30:
	s_or_b64 exec, exec, s[14:15]
.LBB130_31:
	s_or_b64 exec, exec, s[10:11]
.LBB130_32:
	s_or_b64 exec, exec, s[8:9]
	s_cbranch_execz .LBB130_34
	s_branch .LBB130_45
.LBB130_33:
                                        ; implicit-def: $vgpr13
                                        ; implicit-def: $vgpr17
                                        ; implicit-def: $vgpr15
                                        ; implicit-def: $vgpr1
.LBB130_34:
	v_mov_b32_e32 v13, 0
	v_mov_b32_e32 v12, 0
	;; [unrolled: 1-line block ×8, first 2 shown]
	s_and_saveexec_b64 s[2:3], s[0:1]
	s_cbranch_execz .LBB130_44
; %bb.35:
	v_or_b32_e32 v0, 4, v42
	v_mov_b32_e32 v1, s19
	v_subrev_co_u32_e32 v0, vcc, s16, v0
	v_subb_co_u32_e32 v1, vcc, 0, v1, vcc
	v_add_co_u32_e32 v0, vcc, v0, v50
	v_addc_co_u32_e32 v1, vcc, v1, v51, vcc
	v_cmp_gt_i64_e32 vcc, v[0:1], v[46:47]
	v_cndmask_b32_e32 v1, v47, v1, vcc
	v_cndmask_b32_e32 v0, v46, v0, vcc
	v_mov_b32_e32 v4, s19
	v_sub_co_u32_e32 v5, vcc, s16, v42
	v_not_b32_e32 v3, v50
	v_subbrev_co_u32_e32 v4, vcc, 0, v4, vcc
	v_not_b32_e32 v2, v51
	v_add_co_u32_e32 v3, vcc, v5, v3
	v_addc_co_u32_e32 v4, vcc, v4, v2, vcc
	v_add_co_u32_e32 v2, vcc, v3, v0
	v_lshrrev_b32_e32 v0, 2, v2
	v_add_u32_e32 v0, 1, v0
	v_addc_co_u32_e32 v3, vcc, v4, v1, vcc
	v_and_b32_e32 v4, 3, v0
	v_mov_b32_e32 v0, 0
	v_cmp_ne_u32_e32 vcc, 0, v4
	v_mov_b32_e32 v1, v0
	v_mov_b32_e32 v14, v0
	;; [unrolled: 1-line block ×7, first 2 shown]
	s_and_saveexec_b64 s[0:1], vcc
	s_cbranch_execz .LBB130_39
; %bb.36:
	v_lshlrev_b64 v[0:1], 3, v[44:45]
	v_mov_b32_e32 v5, 0
	v_mov_b32_e32 v7, s13
	v_add_co_u32_e32 v6, vcc, s12, v0
	v_lshlrev_b32_e32 v4, 3, v4
	v_addc_co_u32_e32 v7, vcc, v7, v1, vcc
	s_mov_b64 s[8:9], 0
	s_movk_i32 s10, 0x100
	v_mov_b32_e32 v18, s19
	v_mov_b32_e32 v19, s7
	v_bfrev_b32_e32 v8, 1
	v_pk_mov_b32 v[10:11], v[4:5], v[4:5] op_sel:[0,1]
	v_mov_b32_e32 v0, v5
	v_mov_b32_e32 v1, v5
	;; [unrolled: 1-line block ×8, first 2 shown]
.LBB130_37:                             ; =>This Inner Loop Header: Depth=1
	global_load_dwordx2 v[32:33], v[6:7], off
	global_load_dwordx4 v[20:23], v[48:49], off offset:32
	global_load_dwordx4 v[24:27], v[48:49], off offset:16
	global_load_dwordx4 v[28:31], v[48:49], off
	s_waitcnt vmcnt(3)
	v_subrev_co_u32_e32 v32, vcc, s16, v32
	v_subb_co_u32_e32 v33, vcc, v33, v18, vcc
	v_lshlrev_b64 v[32:33], 5, v[32:33]
	v_add_co_u32_e32 v58, vcc, s6, v32
	v_addc_co_u32_e32 v59, vcc, v19, v33, vcc
	global_load_dwordx4 v[32:35], v[58:59], off
	global_load_dwordx4 v[50:53], v[58:59], off offset:16
	global_load_dwordx4 v[54:57], v[48:49], off offset:48
	s_waitcnt vmcnt(3)
	v_mov_b32_e32 v4, v28
	v_mov_b32_e32 v9, v28
	v_add_co_u32_e32 v48, vcc, s10, v48
	v_addc_co_u32_e32 v49, vcc, 0, v49, vcc
	v_add_co_u32_e32 v44, vcc, 4, v44
	v_addc_co_u32_e32 v45, vcc, 0, v45, vcc
	;; [unrolled: 2-line block ×3, first 2 shown]
	v_add_co_u32_e32 v10, vcc, -8, v10
	v_addc_co_u32_e32 v11, vcc, -1, v11, vcc
	v_cmp_eq_u64_e32 vcc, 0, v[10:11]
	s_or_b64 s[8:9], vcc, s[8:9]
	s_waitcnt vmcnt(2)
	v_pk_fma_f32 v[12:13], v[32:33], v[4:5], v[12:13] op_sel_hi:[0,1,1]
	v_mov_b32_e32 v4, v24
	v_pk_fma_f32 v[12:13], v[32:33], v[8:9], v[12:13] op_sel:[1,0,0]
	v_mov_b32_e32 v28, v35
	v_mov_b32_e32 v9, v24
	v_pk_fma_f32 v[12:13], v[34:35], v[4:5], v[12:13] op_sel_hi:[0,1,1]
	v_mov_b32_e32 v4, v20
	v_pk_fma_f32 v[12:13], v[28:29], v[8:9], v[12:13] op_sel_hi:[0,1,1]
	v_mov_b32_e32 v9, v20
	s_waitcnt vmcnt(1)
	v_pk_fma_f32 v[12:13], v[50:51], v[4:5], v[12:13] op_sel_hi:[0,1,1]
	s_waitcnt vmcnt(0)
	v_mov_b32_e32 v4, v54
	v_pk_fma_f32 v[12:13], v[50:51], v[8:9], v[12:13] op_sel:[1,0,0]
	v_mov_b32_e32 v58, v53
	v_mov_b32_e32 v9, v54
	v_pk_fma_f32 v[12:13], v[52:53], v[4:5], v[12:13] op_sel_hi:[0,1,1]
	v_mov_b32_e32 v4, v29
	v_pk_fma_f32 v[12:13], v[58:59], v[8:9], v[12:13] op_sel_hi:[0,1,1]
	v_pk_fma_f32 v[16:17], v[32:33], v[4:5], v[16:17] op_sel_hi:[0,1,1]
	v_mov_b32_e32 v9, v29
	v_mov_b32_e32 v4, v25
	v_pk_fma_f32 v[16:17], v[32:33], v[8:9], v[16:17] op_sel:[1,0,0]
	v_mov_b32_e32 v9, v25
	v_pk_fma_f32 v[16:17], v[34:35], v[4:5], v[16:17] op_sel_hi:[0,1,1]
	v_mov_b32_e32 v4, v21
	v_pk_fma_f32 v[16:17], v[28:29], v[8:9], v[16:17] op_sel_hi:[0,1,1]
	v_mov_b32_e32 v9, v21
	v_pk_fma_f32 v[16:17], v[50:51], v[4:5], v[16:17] op_sel_hi:[0,1,1]
	v_mov_b32_e32 v4, v55
	v_pk_fma_f32 v[16:17], v[50:51], v[8:9], v[16:17] op_sel:[1,0,0]
	v_mov_b32_e32 v9, v55
	v_pk_fma_f32 v[16:17], v[52:53], v[4:5], v[16:17] op_sel_hi:[0,1,1]
	v_mov_b32_e32 v4, v30
	v_pk_fma_f32 v[16:17], v[58:59], v[8:9], v[16:17] op_sel_hi:[0,1,1]
	v_pk_fma_f32 v[14:15], v[32:33], v[4:5], v[14:15] op_sel_hi:[0,1,1]
	v_mov_b32_e32 v9, v30
	v_mov_b32_e32 v4, v26
	v_pk_fma_f32 v[14:15], v[32:33], v[8:9], v[14:15] op_sel:[1,0,0]
	v_mov_b32_e32 v9, v26
	v_pk_fma_f32 v[14:15], v[34:35], v[4:5], v[14:15] op_sel_hi:[0,1,1]
	v_mov_b32_e32 v4, v22
	v_pk_fma_f32 v[14:15], v[28:29], v[8:9], v[14:15] op_sel_hi:[0,1,1]
	v_mov_b32_e32 v9, v22
	v_pk_fma_f32 v[14:15], v[50:51], v[4:5], v[14:15] op_sel_hi:[0,1,1]
	v_mov_b32_e32 v4, v56
	v_pk_fma_f32 v[14:15], v[50:51], v[8:9], v[14:15] op_sel:[1,0,0]
	;; [unrolled: 16-line block ×3, first 2 shown]
	v_mov_b32_e32 v9, v57
	v_pk_fma_f32 v[0:1], v[52:53], v[4:5], v[0:1] op_sel_hi:[0,1,1]
	v_pk_fma_f32 v[0:1], v[58:59], v[8:9], v[0:1] op_sel_hi:[0,1,1]
	s_andn2_b64 exec, exec, s[8:9]
	s_cbranch_execnz .LBB130_37
; %bb.38:
	s_or_b64 exec, exec, s[8:9]
.LBB130_39:
	s_or_b64 exec, exec, s[0:1]
	v_cmp_lt_u64_e32 vcc, 11, v[2:3]
	s_and_saveexec_b64 s[8:9], vcc
	s_cbranch_execz .LBB130_43
; %bb.40:
	v_lshlrev_b64 v[2:3], 3, v[44:45]
	v_mov_b32_e32 v4, s13
	v_add_co_u32_e32 v2, vcc, s12, v2
	v_addc_co_u32_e32 v3, vcc, v3, v4, vcc
	v_add_co_u32_e32 v18, vcc, 64, v2
	v_addc_co_u32_e32 v19, vcc, 0, v3, vcc
	s_mov_b64 s[10:11], 0
	v_mov_b32_e32 v26, s19
	v_mov_b32_e32 v27, s7
	;; [unrolled: 1-line block ×3, first 2 shown]
	v_bfrev_b32_e32 v22, 1
.LBB130_41:                             ; =>This Inner Loop Header: Depth=1
	global_load_dwordx2 v[2:3], v[18:19], off offset:-64
	global_load_dwordx4 v[28:31], v[48:49], off offset:48
	global_load_dwordx4 v[32:35], v[48:49], off offset:32
	;; [unrolled: 1-line block ×3, first 2 shown]
	global_load_dwordx4 v[54:57], v[48:49], off
	s_waitcnt vmcnt(4)
	v_subrev_co_u32_e32 v2, vcc, s16, v2
	v_subb_co_u32_e32 v3, vcc, v3, v26, vcc
	v_lshlrev_b64 v[2:3], 5, v[2:3]
	v_add_co_u32_e32 v2, vcc, s6, v2
	v_addc_co_u32_e32 v3, vcc, v27, v3, vcc
	global_load_dwordx4 v[58:61], v[2:3], off offset:16
	global_load_dwordx4 v[62:65], v[2:3], off
	global_load_dwordx2 v[4:5], v[18:19], off offset:-32
	global_load_dwordx4 v[66:69], v[48:49], off offset:304
	global_load_dwordx4 v[70:73], v[48:49], off offset:288
	;; [unrolled: 1-line block ×4, first 2 shown]
	s_waitcnt vmcnt(7)
	v_mov_b32_e32 v20, v54
	v_mov_b32_e32 v23, v54
	s_waitcnt vmcnt(5)
	v_mov_b32_e32 v54, v65
	s_waitcnt vmcnt(4)
	v_subrev_co_u32_e32 v2, vcc, s16, v4
	v_subb_co_u32_e32 v3, vcc, v5, v26, vcc
	v_lshlrev_b64 v[2:3], 5, v[2:3]
	v_add_co_u32_e32 v2, vcc, s6, v2
	v_addc_co_u32_e32 v3, vcc, v27, v3, vcc
	global_load_dwordx4 v[4:7], v[2:3], off offset:16
	global_load_dwordx4 v[8:11], v[2:3], off
	v_pk_fma_f32 v[2:3], v[62:63], v[20:21], v[12:13] op_sel_hi:[0,1,1]
	v_pk_fma_f32 v[2:3], v[62:63], v[22:23], v[2:3] op_sel:[1,0,0]
	v_mov_b32_e32 v20, v50
	v_pk_fma_f32 v[2:3], v[64:65], v[20:21], v[2:3] op_sel_hi:[0,1,1]
	v_mov_b32_e32 v23, v50
	v_pk_fma_f32 v[2:3], v[54:55], v[22:23], v[2:3] op_sel_hi:[0,1,1]
	;; [unrolled: 2-line block ×3, first 2 shown]
	v_mov_b32_e32 v23, v32
	v_pk_fma_f32 v[2:3], v[58:59], v[22:23], v[2:3] op_sel:[1,0,0]
	v_mov_b32_e32 v20, v28
	v_pk_fma_f32 v[2:3], v[60:61], v[20:21], v[2:3] op_sel_hi:[0,1,1]
	v_mov_b32_e32 v32, v61
	v_mov_b32_e32 v23, v28
	v_pk_fma_f32 v[2:3], v[32:33], v[22:23], v[2:3] op_sel_hi:[0,1,1]
	s_waitcnt vmcnt(2)
	v_mov_b32_e32 v20, v78
	v_mov_b32_e32 v23, v78
	s_waitcnt vmcnt(0)
	v_pk_fma_f32 v[2:3], v[8:9], v[20:21], v[2:3] op_sel_hi:[0,1,1]
	v_mov_b32_e32 v20, v55
	v_pk_fma_f32 v[12:13], v[8:9], v[22:23], v[2:3] op_sel:[1,0,0]
	v_pk_fma_f32 v[2:3], v[62:63], v[20:21], v[16:17] op_sel_hi:[0,1,1]
	v_mov_b32_e32 v23, v55
	v_pk_fma_f32 v[2:3], v[62:63], v[22:23], v[2:3] op_sel:[1,0,0]
	v_mov_b32_e32 v20, v51
	v_pk_fma_f32 v[2:3], v[64:65], v[20:21], v[2:3] op_sel_hi:[0,1,1]
	v_mov_b32_e32 v23, v51
	v_pk_fma_f32 v[2:3], v[54:55], v[22:23], v[2:3] op_sel_hi:[0,1,1]
	v_mov_b32_e32 v20, v33
	v_pk_fma_f32 v[2:3], v[58:59], v[20:21], v[2:3] op_sel_hi:[0,1,1]
	v_mov_b32_e32 v23, v33
	v_pk_fma_f32 v[2:3], v[58:59], v[22:23], v[2:3] op_sel:[1,0,0]
	v_mov_b32_e32 v20, v29
	v_pk_fma_f32 v[2:3], v[60:61], v[20:21], v[2:3] op_sel_hi:[0,1,1]
	v_mov_b32_e32 v23, v29
	v_pk_fma_f32 v[2:3], v[32:33], v[22:23], v[2:3] op_sel_hi:[0,1,1]
	v_mov_b32_e32 v20, v79
	v_pk_fma_f32 v[2:3], v[8:9], v[20:21], v[2:3] op_sel_hi:[0,1,1]
	v_mov_b32_e32 v23, v79
	v_mov_b32_e32 v20, v56
	v_pk_fma_f32 v[24:25], v[8:9], v[22:23], v[2:3] op_sel:[1,0,0]
	v_pk_fma_f32 v[2:3], v[62:63], v[20:21], v[14:15] op_sel_hi:[0,1,1]
	v_mov_b32_e32 v23, v56
	v_pk_fma_f32 v[2:3], v[62:63], v[22:23], v[2:3] op_sel:[1,0,0]
	v_mov_b32_e32 v20, v52
	v_pk_fma_f32 v[2:3], v[64:65], v[20:21], v[2:3] op_sel_hi:[0,1,1]
	v_mov_b32_e32 v23, v52
	v_pk_fma_f32 v[2:3], v[54:55], v[22:23], v[2:3] op_sel_hi:[0,1,1]
	v_mov_b32_e32 v20, v34
	v_pk_fma_f32 v[2:3], v[58:59], v[20:21], v[2:3] op_sel_hi:[0,1,1]
	v_mov_b32_e32 v23, v34
	v_pk_fma_f32 v[2:3], v[58:59], v[22:23], v[2:3] op_sel:[1,0,0]
	v_mov_b32_e32 v20, v30
	v_pk_fma_f32 v[2:3], v[60:61], v[20:21], v[2:3] op_sel_hi:[0,1,1]
	v_mov_b32_e32 v23, v30
	v_pk_fma_f32 v[2:3], v[32:33], v[22:23], v[2:3] op_sel_hi:[0,1,1]
	v_mov_b32_e32 v20, v80
	v_pk_fma_f32 v[2:3], v[8:9], v[20:21], v[2:3] op_sel_hi:[0,1,1]
	v_mov_b32_e32 v23, v80
	;; [unrolled: 20-line block ×3, first 2 shown]
	v_pk_fma_f32 v[16:17], v[8:9], v[22:23], v[0:1] op_sel:[1,0,0]
	global_load_dwordx2 v[0:1], v[18:19], off
	global_load_dwordx4 v[28:31], v[48:49], off offset:560
	global_load_dwordx4 v[32:35], v[48:49], off offset:544
	;; [unrolled: 1-line block ×4, first 2 shown]
	v_mov_b32_e32 v20, v74
	v_mov_b32_e32 v62, v11
	;; [unrolled: 1-line block ×4, first 2 shown]
	s_waitcnt vmcnt(4)
	v_subrev_co_u32_e32 v0, vcc, s16, v0
	v_subb_co_u32_e32 v1, vcc, v1, v26, vcc
	v_lshlrev_b64 v[0:1], 5, v[0:1]
	v_add_co_u32_e32 v8, vcc, s6, v0
	v_addc_co_u32_e32 v9, vcc, v27, v1, vcc
	global_load_dwordx4 v[0:3], v[8:9], off offset:16
	global_load_dwordx4 v[58:61], v[8:9], off
	v_pk_fma_f32 v[8:9], v[10:11], v[20:21], v[12:13] op_sel_hi:[0,1,1]
	v_pk_fma_f32 v[8:9], v[62:63], v[22:23], v[8:9] op_sel_hi:[0,1,1]
	v_mov_b32_e32 v20, v70
	v_pk_fma_f32 v[8:9], v[4:5], v[20:21], v[8:9] op_sel_hi:[0,1,1]
	v_mov_b32_e32 v23, v70
	v_pk_fma_f32 v[8:9], v[4:5], v[22:23], v[8:9] op_sel:[1,0,0]
	v_mov_b32_e32 v20, v66
	v_pk_fma_f32 v[8:9], v[6:7], v[20:21], v[8:9] op_sel_hi:[0,1,1]
	v_mov_b32_e32 v23, v66
	v_pk_fma_f32 v[8:9], v[64:65], v[22:23], v[8:9] op_sel_hi:[0,1,1]
	s_waitcnt vmcnt(2)
	v_mov_b32_e32 v20, v54
	v_mov_b32_e32 v23, v54
	s_waitcnt vmcnt(0)
	v_pk_fma_f32 v[8:9], v[58:59], v[20:21], v[8:9] op_sel_hi:[0,1,1]
	v_pk_fma_f32 v[8:9], v[58:59], v[22:23], v[8:9] op_sel:[1,0,0]
	v_mov_b32_e32 v20, v50
	v_pk_fma_f32 v[8:9], v[60:61], v[20:21], v[8:9] op_sel_hi:[0,1,1]
	v_mov_b32_e32 v54, v61
	v_mov_b32_e32 v23, v50
	v_pk_fma_f32 v[8:9], v[54:55], v[22:23], v[8:9] op_sel_hi:[0,1,1]
	v_mov_b32_e32 v20, v32
	v_pk_fma_f32 v[12:13], v[0:1], v[20:21], v[8:9] op_sel_hi:[0,1,1]
	;; [unrolled: 2-line block ×5, first 2 shown]
	v_mov_b32_e32 v23, v71
	v_pk_fma_f32 v[8:9], v[4:5], v[22:23], v[8:9] op_sel:[1,0,0]
	v_mov_b32_e32 v20, v67
	v_pk_fma_f32 v[8:9], v[6:7], v[20:21], v[8:9] op_sel_hi:[0,1,1]
	v_mov_b32_e32 v23, v67
	v_pk_fma_f32 v[8:9], v[64:65], v[22:23], v[8:9] op_sel_hi:[0,1,1]
	;; [unrolled: 2-line block ×3, first 2 shown]
	v_mov_b32_e32 v23, v55
	v_pk_fma_f32 v[8:9], v[58:59], v[22:23], v[8:9] op_sel:[1,0,0]
	v_mov_b32_e32 v20, v51
	v_pk_fma_f32 v[8:9], v[60:61], v[20:21], v[8:9] op_sel_hi:[0,1,1]
	v_mov_b32_e32 v23, v51
	v_pk_fma_f32 v[8:9], v[54:55], v[22:23], v[8:9] op_sel_hi:[0,1,1]
	;; [unrolled: 2-line block ×6, first 2 shown]
	v_mov_b32_e32 v23, v72
	v_pk_fma_f32 v[14:15], v[4:5], v[22:23], v[14:15] op_sel:[1,0,0]
	v_mov_b32_e32 v20, v68
	v_pk_fma_f32 v[14:15], v[6:7], v[20:21], v[14:15] op_sel_hi:[0,1,1]
	v_mov_b32_e32 v23, v68
	v_pk_fma_f32 v[14:15], v[64:65], v[22:23], v[14:15] op_sel_hi:[0,1,1]
	;; [unrolled: 2-line block ×3, first 2 shown]
	v_mov_b32_e32 v23, v56
	v_pk_fma_f32 v[14:15], v[58:59], v[22:23], v[14:15] op_sel:[1,0,0]
	v_mov_b32_e32 v20, v52
	v_pk_fma_f32 v[14:15], v[60:61], v[20:21], v[14:15] op_sel_hi:[0,1,1]
	v_mov_b32_e32 v23, v52
	v_pk_fma_f32 v[14:15], v[54:55], v[22:23], v[14:15] op_sel_hi:[0,1,1]
	v_mov_b32_e32 v20, v34
	v_pk_fma_f32 v[14:15], v[0:1], v[20:21], v[14:15] op_sel_hi:[0,1,1]
	v_mov_b32_e32 v20, v77
	v_pk_fma_f32 v[10:11], v[10:11], v[20:21], v[16:17] op_sel_hi:[0,1,1]
	v_mov_b32_e32 v23, v77
	v_pk_fma_f32 v[10:11], v[62:63], v[22:23], v[10:11] op_sel_hi:[0,1,1]
	v_mov_b32_e32 v20, v73
	v_pk_fma_f32 v[10:11], v[4:5], v[20:21], v[10:11] op_sel_hi:[0,1,1]
	v_mov_b32_e32 v23, v73
	v_pk_fma_f32 v[4:5], v[4:5], v[22:23], v[10:11] op_sel:[1,0,0]
	v_mov_b32_e32 v20, v69
	v_pk_fma_f32 v[4:5], v[6:7], v[20:21], v[4:5] op_sel_hi:[0,1,1]
	global_load_dwordx2 v[6:7], v[18:19], off offset:32
	v_mov_b32_e32 v23, v69
	v_pk_fma_f32 v[4:5], v[64:65], v[22:23], v[4:5] op_sel_hi:[0,1,1]
	v_mov_b32_e32 v20, v57
	v_pk_fma_f32 v[4:5], v[58:59], v[20:21], v[4:5] op_sel_hi:[0,1,1]
	v_mov_b32_e32 v23, v57
	v_pk_fma_f32 v[4:5], v[58:59], v[22:23], v[4:5] op_sel:[1,0,0]
	v_mov_b32_e32 v20, v53
	v_pk_fma_f32 v[4:5], v[60:61], v[20:21], v[4:5] op_sel_hi:[0,1,1]
	v_mov_b32_e32 v23, v53
	v_pk_fma_f32 v[4:5], v[54:55], v[22:23], v[4:5] op_sel_hi:[0,1,1]
	global_load_dwordx4 v[50:53], v[48:49], off offset:816
	global_load_dwordx4 v[54:57], v[48:49], off offset:800
	;; [unrolled: 1-line block ×4, first 2 shown]
	v_mov_b32_e32 v20, v35
	v_mov_b32_e32 v23, v32
	v_pk_fma_f32 v[4:5], v[0:1], v[20:21], v[4:5] op_sel_hi:[0,1,1]
	v_mov_b32_e32 v20, v28
	v_mov_b32_e32 v10, v3
	s_waitcnt vmcnt(4)
	v_subrev_co_u32_e32 v6, vcc, s16, v6
	v_subb_co_u32_e32 v7, vcc, v7, v26, vcc
	v_lshlrev_b64 v[6:7], 5, v[6:7]
	v_add_co_u32_e32 v6, vcc, s6, v6
	v_addc_co_u32_e32 v7, vcc, v27, v7, vcc
	global_load_dwordx4 v[66:69], v[6:7], off offset:16
	global_load_dwordx4 v[70:73], v[6:7], off
	v_pk_fma_f32 v[6:7], v[0:1], v[22:23], v[12:13] op_sel:[1,0,0]
	v_pk_fma_f32 v[6:7], v[2:3], v[20:21], v[6:7] op_sel_hi:[0,1,1]
	v_mov_b32_e32 v23, v28
	v_pk_fma_f32 v[6:7], v[10:11], v[22:23], v[6:7] op_sel_hi:[0,1,1]
	s_waitcnt vmcnt(2)
	v_mov_b32_e32 v20, v62
	v_mov_b32_e32 v23, v62
	v_add_co_u32_e32 v44, vcc, 16, v44
	v_addc_co_u32_e32 v45, vcc, 0, v45, vcc
	v_add_co_u32_e32 v18, vcc, 0x80, v18
	v_addc_co_u32_e32 v19, vcc, 0, v19, vcc
	v_cmp_ge_i64_e64 s[0:1], v[44:45], v[46:47]
	v_add_co_u32_e32 v48, vcc, 0x400, v48
	v_addc_co_u32_e32 v49, vcc, 0, v49, vcc
	s_or_b64 s[10:11], s[0:1], s[10:11]
	s_waitcnt vmcnt(1)
	v_mov_b32_e32 v28, v69
	s_waitcnt vmcnt(0)
	v_pk_fma_f32 v[6:7], v[70:71], v[20:21], v[6:7] op_sel_hi:[0,1,1]
	v_pk_fma_f32 v[6:7], v[70:71], v[22:23], v[6:7] op_sel:[1,0,0]
	v_mov_b32_e32 v20, v58
	v_pk_fma_f32 v[6:7], v[72:73], v[20:21], v[6:7] op_sel_hi:[0,1,1]
	v_mov_b32_e32 v24, v73
	v_mov_b32_e32 v23, v58
	v_pk_fma_f32 v[6:7], v[24:25], v[22:23], v[6:7] op_sel_hi:[0,1,1]
	v_mov_b32_e32 v20, v54
	v_pk_fma_f32 v[6:7], v[66:67], v[20:21], v[6:7] op_sel_hi:[0,1,1]
	v_mov_b32_e32 v23, v54
	v_pk_fma_f32 v[6:7], v[66:67], v[22:23], v[6:7] op_sel:[1,0,0]
	v_mov_b32_e32 v20, v50
	v_pk_fma_f32 v[6:7], v[68:69], v[20:21], v[6:7] op_sel_hi:[0,1,1]
	v_mov_b32_e32 v23, v50
	v_pk_fma_f32 v[12:13], v[28:29], v[22:23], v[6:7] op_sel_hi:[0,1,1]
	v_mov_b32_e32 v23, v33
	v_pk_fma_f32 v[6:7], v[0:1], v[22:23], v[8:9] op_sel:[1,0,0]
	v_mov_b32_e32 v20, v29
	v_pk_fma_f32 v[6:7], v[2:3], v[20:21], v[6:7] op_sel_hi:[0,1,1]
	v_mov_b32_e32 v23, v29
	v_pk_fma_f32 v[6:7], v[10:11], v[22:23], v[6:7] op_sel_hi:[0,1,1]
	v_mov_b32_e32 v20, v63
	v_pk_fma_f32 v[6:7], v[70:71], v[20:21], v[6:7] op_sel_hi:[0,1,1]
	v_mov_b32_e32 v23, v63
	v_pk_fma_f32 v[6:7], v[70:71], v[22:23], v[6:7] op_sel:[1,0,0]
	v_mov_b32_e32 v20, v59
	v_pk_fma_f32 v[6:7], v[72:73], v[20:21], v[6:7] op_sel_hi:[0,1,1]
	v_mov_b32_e32 v23, v59
	v_pk_fma_f32 v[6:7], v[24:25], v[22:23], v[6:7] op_sel_hi:[0,1,1]
	v_mov_b32_e32 v20, v55
	v_pk_fma_f32 v[6:7], v[66:67], v[20:21], v[6:7] op_sel_hi:[0,1,1]
	v_mov_b32_e32 v23, v55
	v_pk_fma_f32 v[6:7], v[66:67], v[22:23], v[6:7] op_sel:[1,0,0]
	v_mov_b32_e32 v20, v51
	v_pk_fma_f32 v[6:7], v[68:69], v[20:21], v[6:7] op_sel_hi:[0,1,1]
	v_mov_b32_e32 v23, v51
	v_pk_fma_f32 v[16:17], v[28:29], v[22:23], v[6:7] op_sel_hi:[0,1,1]
	v_mov_b32_e32 v23, v34
	v_pk_fma_f32 v[6:7], v[0:1], v[22:23], v[14:15] op_sel:[1,0,0]
	v_mov_b32_e32 v20, v30
	v_pk_fma_f32 v[6:7], v[2:3], v[20:21], v[6:7] op_sel_hi:[0,1,1]
	v_mov_b32_e32 v23, v30
	v_pk_fma_f32 v[6:7], v[10:11], v[22:23], v[6:7] op_sel_hi:[0,1,1]
	v_mov_b32_e32 v20, v64
	v_pk_fma_f32 v[6:7], v[70:71], v[20:21], v[6:7] op_sel_hi:[0,1,1]
	v_mov_b32_e32 v23, v64
	v_pk_fma_f32 v[6:7], v[70:71], v[22:23], v[6:7] op_sel:[1,0,0]
	v_mov_b32_e32 v20, v60
	v_pk_fma_f32 v[6:7], v[72:73], v[20:21], v[6:7] op_sel_hi:[0,1,1]
	;; [unrolled: 22-line block ×3, first 2 shown]
	v_mov_b32_e32 v23, v61
	v_pk_fma_f32 v[0:1], v[24:25], v[22:23], v[0:1] op_sel_hi:[0,1,1]
	v_mov_b32_e32 v20, v57
	v_pk_fma_f32 v[0:1], v[66:67], v[20:21], v[0:1] op_sel_hi:[0,1,1]
	v_mov_b32_e32 v23, v57
	v_pk_fma_f32 v[0:1], v[66:67], v[22:23], v[0:1] op_sel:[1,0,0]
	v_mov_b32_e32 v20, v53
	v_pk_fma_f32 v[0:1], v[68:69], v[20:21], v[0:1] op_sel_hi:[0,1,1]
	v_mov_b32_e32 v23, v53
	v_pk_fma_f32 v[0:1], v[28:29], v[22:23], v[0:1] op_sel_hi:[0,1,1]
	s_andn2_b64 exec, exec, s[10:11]
	s_cbranch_execnz .LBB130_41
; %bb.42:
	s_or_b64 exec, exec, s[10:11]
.LBB130_43:
	s_or_b64 exec, exec, s[8:9]
.LBB130_44:
	s_or_b64 exec, exec, s[2:3]
.LBB130_45:
	v_mov_b32_dpp v8, v17 row_shr:1 row_mask:0xf bank_mask:0xf
	v_add_f32_e32 v9, v17, v8
	v_mov_b32_dpp v2, v12 row_shr:1 row_mask:0xf bank_mask:0xf
	v_mov_b32_dpp v8, v14 row_shr:1 row_mask:0xf bank_mask:0xf
	v_add_f32_e32 v11, v14, v8
	v_mov_b32_dpp v4, v13 row_shr:1 row_mask:0xf bank_mask:0xf
	;; [unrolled: 3-line block ×3, first 2 shown]
	v_mov_b32_dpp v8, v0 row_shr:1 row_mask:0xf bank_mask:0xf
	v_add_f32_e32 v0, v0, v8
	v_add_f32_e32 v2, v12, v2
	v_mov_b32_dpp v8, v1 row_shr:1 row_mask:0xf bank_mask:0xf
	v_add_f32_e32 v4, v13, v4
	v_add_f32_e32 v6, v16, v6
	;; [unrolled: 1-line block ×3, first 2 shown]
	v_mov_b32_dpp v3, v2 row_shr:2 row_mask:0xf bank_mask:0xf
	v_mov_b32_dpp v5, v4 row_shr:2 row_mask:0xf bank_mask:0xf
	;; [unrolled: 1-line block ×8, first 2 shown]
	v_cmp_eq_u32_e32 vcc, 3, v42
	s_and_b64 exec, exec, vcc
	s_cbranch_execz .LBB130_14
; %bb.46:
	s_load_dwordx2 s[2:3], s[4:5], 0x58
	v_add_f32_e32 v14, v4, v5
	v_add_f32_e32 v4, v1, v18
	v_and_b32_e32 v1, 0x7fffffff, v38
	v_cmp_eq_u32_e32 vcc, 0, v1
	v_cmp_eq_f32_e64 s[0:1], 0, v39
	v_add_f32_e32 v8, v2, v3
	v_add_f32_e32 v6, v6, v7
	;; [unrolled: 1-line block ×6, first 2 shown]
	s_and_b64 s[0:1], vcc, s[0:1]
	v_lshlrev_b64 v[16:17], 5, v[40:41]
	s_and_saveexec_b64 s[4:5], s[0:1]
	s_xor_b64 s[0:1], exec, s[4:5]
	s_cbranch_execz .LBB130_48
; %bb.47:
	v_xor_b32_e32 v18, 0x80000000, v37
	v_mov_b32_e32 v19, v36
	v_pk_mul_f32 v[14:15], v[14:15], v[18:19] op_sel_hi:[0,1]
	s_waitcnt lgkmcnt(0)
	v_mov_b32_e32 v1, s3
	v_add_co_u32_e32 v20, vcc, s2, v16
	v_pk_fma_f32 v[14:15], v[36:37], v[8:9], v[14:15] op_sel_hi:[1,0,1]
	v_pk_mul_f32 v[8:9], v[12:13], v[18:19] op_sel_hi:[0,1]
	v_addc_co_u32_e32 v21, vcc, v1, v17, vcc
	v_pk_fma_f32 v[16:17], v[36:37], v[6:7], v[8:9] op_sel_hi:[1,0,1]
	v_pk_mul_f32 v[6:7], v[10:11], v[18:19] op_sel_hi:[0,1]
	v_pk_mul_f32 v[4:5], v[4:5], v[18:19] op_sel_hi:[0,1]
	v_pk_fma_f32 v[2:3], v[36:37], v[2:3], v[6:7] op_sel_hi:[1,0,1]
	v_pk_fma_f32 v[4:5], v[36:37], v[0:1], v[4:5] op_sel_hi:[1,0,1]
	global_store_dwordx4 v[20:21], v[14:17], off
	global_store_dwordx4 v[20:21], v[2:5], off offset:16
                                        ; implicit-def: $vgpr37
                                        ; implicit-def: $vgpr38
                                        ; implicit-def: $vgpr8
                                        ; implicit-def: $vgpr14
                                        ; implicit-def: $vgpr6
                                        ; implicit-def: $vgpr12
                                        ; implicit-def: $vgpr2
                                        ; implicit-def: $vgpr10
                                        ; implicit-def: $vgpr0
                                        ; implicit-def: $vgpr4
                                        ; implicit-def: $vgpr16_vgpr17
.LBB130_48:
	s_andn2_saveexec_b64 s[0:1], s[0:1]
	s_cbranch_execz .LBB130_14
; %bb.49:
	s_waitcnt lgkmcnt(0)
	v_mov_b32_e32 v1, s3
	v_add_co_u32_e32 v24, vcc, s2, v16
	v_addc_co_u32_e32 v25, vcc, v1, v17, vcc
	global_load_dwordx4 v[16:19], v[24:25], off
	global_load_dwordx4 v[20:23], v[24:25], off offset:16
	v_xor_b32_e32 v26, 0x80000000, v37
	v_mov_b32_e32 v27, v36
	v_pk_mul_f32 v[14:15], v[14:15], v[26:27] op_sel_hi:[0,1]
	v_pk_mul_f32 v[12:13], v[12:13], v[26:27] op_sel_hi:[0,1]
	;; [unrolled: 1-line block ×4, first 2 shown]
	v_pk_fma_f32 v[8:9], v[36:37], v[8:9], v[14:15] op_sel_hi:[1,0,1]
	v_pk_fma_f32 v[6:7], v[36:37], v[6:7], v[12:13] op_sel_hi:[1,0,1]
	v_xor_b32_e32 v28, 0x80000000, v39
	v_mov_b32_e32 v29, v38
	v_pk_fma_f32 v[2:3], v[36:37], v[2:3], v[10:11] op_sel_hi:[1,0,1]
	v_pk_fma_f32 v[0:1], v[36:37], v[0:1], v[4:5] op_sel_hi:[1,0,1]
	s_waitcnt vmcnt(1)
	v_pk_fma_f32 v[4:5], v[38:39], v[16:17], v[8:9] op_sel_hi:[1,0,1]
	v_pk_fma_f32 v[6:7], v[38:39], v[18:19], v[6:7] op_sel_hi:[1,0,1]
	v_mov_b32_e32 v8, v19
	s_waitcnt vmcnt(0)
	v_pk_fma_f32 v[10:11], v[38:39], v[20:21], v[2:3] op_sel_hi:[1,0,1]
	v_pk_fma_f32 v[12:13], v[38:39], v[22:23], v[0:1] op_sel_hi:[1,0,1]
	v_mov_b32_e32 v14, v23
	v_pk_fma_f32 v[0:1], v[28:29], v[16:17], v[4:5] op_sel:[0,1,0]
	v_pk_fma_f32 v[2:3], v[28:29], v[8:9], v[6:7] op_sel_hi:[1,0,1]
	v_pk_fma_f32 v[4:5], v[28:29], v[20:21], v[10:11] op_sel:[0,1,0]
	v_pk_fma_f32 v[6:7], v[28:29], v[14:15], v[12:13] op_sel_hi:[1,0,1]
	global_store_dwordx4 v[24:25], v[0:3], off
	global_store_dwordx4 v[24:25], v[4:7], off offset:16
	s_endpgm
	.section	.rodata,"a",@progbits
	.p2align	6, 0x0
	.amdhsa_kernel _ZN9rocsparseL18bsrxmvn_4x4_kernelILj128ELj4E21rocsparse_complex_numIfEllfS2_S2_EEvT3_20rocsparse_direction_NS_24const_host_device_scalarIT1_EES3_PKS3_PKT2_SC_S9_PKT4_PKT5_S7_PT6_21rocsparse_index_base_b
		.amdhsa_group_segment_fixed_size 0
		.amdhsa_private_segment_fixed_size 0
		.amdhsa_kernarg_size 104
		.amdhsa_user_sgpr_count 6
		.amdhsa_user_sgpr_private_segment_buffer 1
		.amdhsa_user_sgpr_dispatch_ptr 0
		.amdhsa_user_sgpr_queue_ptr 0
		.amdhsa_user_sgpr_kernarg_segment_ptr 1
		.amdhsa_user_sgpr_dispatch_id 0
		.amdhsa_user_sgpr_flat_scratch_init 0
		.amdhsa_user_sgpr_kernarg_preload_length 0
		.amdhsa_user_sgpr_kernarg_preload_offset 0
		.amdhsa_user_sgpr_private_segment_size 0
		.amdhsa_uses_dynamic_stack 0
		.amdhsa_system_sgpr_private_segment_wavefront_offset 0
		.amdhsa_system_sgpr_workgroup_id_x 1
		.amdhsa_system_sgpr_workgroup_id_y 0
		.amdhsa_system_sgpr_workgroup_id_z 0
		.amdhsa_system_sgpr_workgroup_info 0
		.amdhsa_system_vgpr_workitem_id 0
		.amdhsa_next_free_vgpr 88
		.amdhsa_next_free_sgpr 20
		.amdhsa_accum_offset 88
		.amdhsa_reserve_vcc 1
		.amdhsa_reserve_flat_scratch 0
		.amdhsa_float_round_mode_32 0
		.amdhsa_float_round_mode_16_64 0
		.amdhsa_float_denorm_mode_32 3
		.amdhsa_float_denorm_mode_16_64 3
		.amdhsa_dx10_clamp 1
		.amdhsa_ieee_mode 1
		.amdhsa_fp16_overflow 0
		.amdhsa_tg_split 0
		.amdhsa_exception_fp_ieee_invalid_op 0
		.amdhsa_exception_fp_denorm_src 0
		.amdhsa_exception_fp_ieee_div_zero 0
		.amdhsa_exception_fp_ieee_overflow 0
		.amdhsa_exception_fp_ieee_underflow 0
		.amdhsa_exception_fp_ieee_inexact 0
		.amdhsa_exception_int_div_zero 0
	.end_amdhsa_kernel
	.section	.text._ZN9rocsparseL18bsrxmvn_4x4_kernelILj128ELj4E21rocsparse_complex_numIfEllfS2_S2_EEvT3_20rocsparse_direction_NS_24const_host_device_scalarIT1_EES3_PKS3_PKT2_SC_S9_PKT4_PKT5_S7_PT6_21rocsparse_index_base_b,"axG",@progbits,_ZN9rocsparseL18bsrxmvn_4x4_kernelILj128ELj4E21rocsparse_complex_numIfEllfS2_S2_EEvT3_20rocsparse_direction_NS_24const_host_device_scalarIT1_EES3_PKS3_PKT2_SC_S9_PKT4_PKT5_S7_PT6_21rocsparse_index_base_b,comdat
.Lfunc_end130:
	.size	_ZN9rocsparseL18bsrxmvn_4x4_kernelILj128ELj4E21rocsparse_complex_numIfEllfS2_S2_EEvT3_20rocsparse_direction_NS_24const_host_device_scalarIT1_EES3_PKS3_PKT2_SC_S9_PKT4_PKT5_S7_PT6_21rocsparse_index_base_b, .Lfunc_end130-_ZN9rocsparseL18bsrxmvn_4x4_kernelILj128ELj4E21rocsparse_complex_numIfEllfS2_S2_EEvT3_20rocsparse_direction_NS_24const_host_device_scalarIT1_EES3_PKS3_PKT2_SC_S9_PKT4_PKT5_S7_PT6_21rocsparse_index_base_b
                                        ; -- End function
	.section	.AMDGPU.csdata,"",@progbits
; Kernel info:
; codeLenInByte = 6992
; NumSgprs: 24
; NumVgprs: 88
; NumAgprs: 0
; TotalNumVgprs: 88
; ScratchSize: 0
; MemoryBound: 0
; FloatMode: 240
; IeeeMode: 1
; LDSByteSize: 0 bytes/workgroup (compile time only)
; SGPRBlocks: 2
; VGPRBlocks: 10
; NumSGPRsForWavesPerEU: 24
; NumVGPRsForWavesPerEU: 88
; AccumOffset: 88
; Occupancy: 5
; WaveLimiterHint : 1
; COMPUTE_PGM_RSRC2:SCRATCH_EN: 0
; COMPUTE_PGM_RSRC2:USER_SGPR: 6
; COMPUTE_PGM_RSRC2:TRAP_HANDLER: 0
; COMPUTE_PGM_RSRC2:TGID_X_EN: 1
; COMPUTE_PGM_RSRC2:TGID_Y_EN: 0
; COMPUTE_PGM_RSRC2:TGID_Z_EN: 0
; COMPUTE_PGM_RSRC2:TIDIG_COMP_CNT: 0
; COMPUTE_PGM_RSRC3_GFX90A:ACCUM_OFFSET: 21
; COMPUTE_PGM_RSRC3_GFX90A:TG_SPLIT: 0
	.section	.text._ZN9rocsparseL18bsrxmvn_4x4_kernelILj128ELj8E21rocsparse_complex_numIfEllfS2_S2_EEvT3_20rocsparse_direction_NS_24const_host_device_scalarIT1_EES3_PKS3_PKT2_SC_S9_PKT4_PKT5_S7_PT6_21rocsparse_index_base_b,"axG",@progbits,_ZN9rocsparseL18bsrxmvn_4x4_kernelILj128ELj8E21rocsparse_complex_numIfEllfS2_S2_EEvT3_20rocsparse_direction_NS_24const_host_device_scalarIT1_EES3_PKS3_PKT2_SC_S9_PKT4_PKT5_S7_PT6_21rocsparse_index_base_b,comdat
	.globl	_ZN9rocsparseL18bsrxmvn_4x4_kernelILj128ELj8E21rocsparse_complex_numIfEllfS2_S2_EEvT3_20rocsparse_direction_NS_24const_host_device_scalarIT1_EES3_PKS3_PKT2_SC_S9_PKT4_PKT5_S7_PT6_21rocsparse_index_base_b ; -- Begin function _ZN9rocsparseL18bsrxmvn_4x4_kernelILj128ELj8E21rocsparse_complex_numIfEllfS2_S2_EEvT3_20rocsparse_direction_NS_24const_host_device_scalarIT1_EES3_PKS3_PKT2_SC_S9_PKT4_PKT5_S7_PT6_21rocsparse_index_base_b
	.p2align	8
	.type	_ZN9rocsparseL18bsrxmvn_4x4_kernelILj128ELj8E21rocsparse_complex_numIfEllfS2_S2_EEvT3_20rocsparse_direction_NS_24const_host_device_scalarIT1_EES3_PKS3_PKT2_SC_S9_PKT4_PKT5_S7_PT6_21rocsparse_index_base_b,@function
_ZN9rocsparseL18bsrxmvn_4x4_kernelILj128ELj8E21rocsparse_complex_numIfEllfS2_S2_EEvT3_20rocsparse_direction_NS_24const_host_device_scalarIT1_EES3_PKS3_PKT2_SC_S9_PKT4_PKT5_S7_PT6_21rocsparse_index_base_b: ; @_ZN9rocsparseL18bsrxmvn_4x4_kernelILj128ELj8E21rocsparse_complex_numIfEllfS2_S2_EEvT3_20rocsparse_direction_NS_24const_host_device_scalarIT1_EES3_PKS3_PKT2_SC_S9_PKT4_PKT5_S7_PT6_21rocsparse_index_base_b
; %bb.0:
	s_load_dwordx2 s[16:17], s[4:5], 0x60
	s_load_dwordx4 s[8:11], s[4:5], 0x10
	s_load_dwordx2 s[2:3], s[4:5], 0x50
	s_waitcnt lgkmcnt(0)
	s_bitcmp1_b32 s17, 0
	s_cselect_b64 s[0:1], -1, 0
	s_xor_b64 s[12:13], s[0:1], -1
	s_and_b64 vcc, exec, s[0:1]
	v_mov_b32_e32 v36, s8
	s_cbranch_vccnz .LBB131_2
; %bb.1:
	v_pk_mov_b32 v[2:3], s[8:9], s[8:9] op_sel:[0,1]
	flat_load_dword v36, v[2:3]
.LBB131_2:
	v_cndmask_b32_e64 v1, 0, 1, s[12:13]
	v_cmp_ne_u32_e64 s[0:1], 1, v1
	s_andn2_b64 vcc, exec, s[12:13]
	v_mov_b32_e32 v37, s9
	s_cbranch_vccz .LBB131_15
; %bb.3:
	s_and_b64 vcc, exec, s[0:1]
	v_mov_b32_e32 v38, s2
	s_cbranch_vccz .LBB131_16
.LBB131_4:
	s_and_b64 vcc, exec, s[0:1]
	v_mov_b32_e32 v39, s3
	s_cbranch_vccnz .LBB131_6
.LBB131_5:
	v_pk_mov_b32 v[2:3], s[2:3], s[2:3] op_sel:[0,1]
	flat_load_dword v39, v[2:3] offset:4
.LBB131_6:
	s_waitcnt vmcnt(0) lgkmcnt(0)
	v_and_b32_e32 v1, 0x7fffffff, v36
	v_cmp_eq_u32_e32 vcc, 0, v1
	v_cmp_eq_f32_e64 s[0:1], 0, v37
	s_and_b64 s[8:9], vcc, s[0:1]
	s_mov_b64 s[0:1], -1
	s_and_saveexec_b64 s[2:3], s[8:9]
; %bb.7:
	v_and_b32_e32 v1, 0x7fffffff, v39
	v_cmp_neq_f32_e32 vcc, 1.0, v38
	v_cmp_ne_u32_e64 s[0:1], 0, v1
	s_or_b64 s[0:1], vcc, s[0:1]
	s_orn2_b64 s[0:1], s[0:1], exec
; %bb.8:
	s_or_b64 exec, exec, s[2:3]
	s_and_saveexec_b64 s[2:3], s[0:1]
	s_cbranch_execz .LBB131_14
; %bb.9:
	s_load_dwordx2 s[2:3], s[4:5], 0x20
	v_lshrrev_b32_e32 v1, 3, v0
	v_lshl_or_b32 v2, s6, 4, v1
	v_mov_b32_e32 v3, 0
	s_mov_b64 s[0:1], 0
	s_waitcnt lgkmcnt(0)
	s_cmp_lg_u64 s[2:3], 0
	s_cbranch_scc0 .LBB131_17
; %bb.10:
	v_cmp_gt_i64_e32 vcc, s[10:11], v[2:3]
                                        ; implicit-def: $vgpr40_vgpr41
	s_and_saveexec_b64 s[6:7], vcc
	s_xor_b64 s[6:7], exec, s[6:7]
                                        ; implicit-def: $sgpr18_sgpr19
	s_cbranch_execz .LBB131_12
; %bb.11:
	v_lshlrev_b64 v[4:5], 3, v[2:3]
	v_mov_b32_e32 v1, s3
	v_add_co_u32_e32 v4, vcc, s2, v4
	v_addc_co_u32_e32 v5, vcc, v1, v5, vcc
	global_load_dwordx2 v[4:5], v[4:5], off
	s_mov_b64 s[0:1], exec
	s_mov_b32 s19, 0
	s_waitcnt vmcnt(0)
	v_subrev_co_u32_e32 v40, vcc, s16, v4
	v_subbrev_co_u32_e32 v41, vcc, 0, v5, vcc
.LBB131_12:
	s_or_b64 exec, exec, s[6:7]
.LBB131_13:
	s_and_b64 exec, exec, s[0:1]
	s_cbranch_execnz .LBB131_21
.LBB131_14:
	s_endpgm
.LBB131_15:
	v_pk_mov_b32 v[2:3], s[8:9], s[8:9] op_sel:[0,1]
	flat_load_dword v37, v[2:3] offset:4
	s_and_b64 vcc, exec, s[0:1]
	v_mov_b32_e32 v38, s2
	s_cbranch_vccnz .LBB131_4
.LBB131_16:
	v_pk_mov_b32 v[2:3], s[2:3], s[2:3] op_sel:[0,1]
	flat_load_dword v38, v[2:3]
	s_and_b64 vcc, exec, s[0:1]
	v_mov_b32_e32 v39, s3
	s_cbranch_vccz .LBB131_5
	s_branch .LBB131_6
.LBB131_17:
                                        ; implicit-def: $vgpr40_vgpr41
                                        ; implicit-def: $sgpr18_sgpr19
	s_cbranch_execz .LBB131_13
; %bb.18:
	s_load_dwordx2 s[2:3], s[4:5], 0x0
                                        ; implicit-def: $vgpr40_vgpr41
	s_waitcnt lgkmcnt(0)
	v_cmp_gt_i64_e32 vcc, s[2:3], v[2:3]
	s_and_saveexec_b64 s[2:3], vcc
                                        ; implicit-def: $sgpr18_sgpr19
; %bb.19:
	s_mov_b32 s19, 0
	s_or_b64 s[0:1], s[0:1], exec
	v_pk_mov_b32 v[40:41], v[2:3], v[2:3] op_sel:[0,1]
; %bb.20:
	s_or_b64 exec, exec, s[2:3]
	s_and_b64 exec, exec, s[0:1]
	s_cbranch_execz .LBB131_14
.LBB131_21:
	s_load_dwordx8 s[8:15], s[4:5], 0x28
	v_lshlrev_b64 v[2:3], 3, v[40:41]
	v_and_b32_e32 v42, 7, v0
	v_mov_b32_e32 v0, s19
	v_mov_b32_e32 v13, 0
	s_waitcnt lgkmcnt(0)
	v_mov_b32_e32 v1, s9
	v_add_co_u32_e32 v4, vcc, s8, v2
	v_addc_co_u32_e32 v5, vcc, v1, v3, vcc
	v_add_co_u32_e32 v1, vcc, 8, v4
	global_load_dwordx2 v[50:51], v[4:5], off
	v_addc_co_u32_e32 v4, vcc, 0, v5, vcc
	v_mov_b32_e32 v5, s11
	v_add_co_u32_e32 v2, vcc, s10, v2
	s_cmp_eq_u64 s[10:11], 0
	v_addc_co_u32_e32 v3, vcc, v5, v3, vcc
	s_cselect_b64 vcc, -1, 0
	v_cndmask_b32_e32 v3, v3, v4, vcc
	v_cndmask_b32_e32 v2, v2, v1, vcc
	global_load_dwordx2 v[2:3], v[2:3], off
	s_load_dwordx2 s[6:7], s[4:5], 0x48
	s_load_dword s0, s[4:5], 0x8
	v_mov_b32_e32 v4, s15
	s_waitcnt lgkmcnt(0)
	s_cmp_eq_u32 s0, 1
	s_waitcnt vmcnt(1)
	v_subrev_co_u32_e32 v1, vcc, s16, v50
	v_subb_co_u32_e32 v5, vcc, v51, v0, vcc
	v_add_co_u32_e32 v44, vcc, v1, v42
	v_addc_co_u32_e32 v45, vcc, 0, v5, vcc
	s_waitcnt vmcnt(0)
	v_subrev_co_u32_e32 v46, vcc, s16, v2
	v_subb_co_u32_e32 v47, vcc, v3, v0, vcc
	v_lshlrev_b64 v[0:1], 6, v[44:45]
	v_add_co_u32_e32 v48, vcc, s14, v0
	v_addc_co_u32_e32 v49, vcc, v4, v1, vcc
	v_cmp_lt_i64_e64 s[0:1], v[44:45], v[46:47]
	s_cbranch_scc1 .LBB131_33
; %bb.22:
	v_mov_b32_e32 v12, 0
	v_mov_b32_e32 v17, 0
	v_mov_b32_e32 v16, 0
	v_mov_b32_e32 v15, 0
	v_mov_b32_e32 v14, 0
	v_mov_b32_e32 v1, 0
	v_mov_b32_e32 v0, 0
	s_and_saveexec_b64 s[8:9], s[0:1]
	s_cbranch_execz .LBB131_32
; %bb.23:
	v_or_b32_e32 v0, 8, v42
	v_mov_b32_e32 v1, s19
	v_subrev_co_u32_e32 v0, vcc, s16, v0
	v_subb_co_u32_e32 v1, vcc, 0, v1, vcc
	v_add_co_u32_e32 v0, vcc, v0, v50
	v_addc_co_u32_e32 v1, vcc, v1, v51, vcc
	v_cmp_gt_i64_e32 vcc, v[0:1], v[46:47]
	v_cndmask_b32_e32 v1, v47, v1, vcc
	v_cndmask_b32_e32 v0, v46, v0, vcc
	v_mov_b32_e32 v4, s19
	v_sub_co_u32_e32 v5, vcc, s16, v42
	v_not_b32_e32 v3, v50
	v_subbrev_co_u32_e32 v4, vcc, 0, v4, vcc
	v_not_b32_e32 v2, v51
	v_add_co_u32_e32 v3, vcc, v5, v3
	v_addc_co_u32_e32 v4, vcc, v4, v2, vcc
	v_add_co_u32_e32 v2, vcc, v3, v0
	v_lshrrev_b32_e32 v0, 3, v2
	v_add_u32_e32 v0, 1, v0
	v_addc_co_u32_e32 v3, vcc, v4, v1, vcc
	v_and_b32_e32 v4, 3, v0
	v_mov_b32_e32 v0, 0
	v_cmp_ne_u32_e32 vcc, 0, v4
	v_mov_b32_e32 v1, v0
	v_mov_b32_e32 v14, v0
	;; [unrolled: 1-line block ×7, first 2 shown]
	v_pk_mov_b32 v[52:53], v[48:49], v[48:49] op_sel:[0,1]
	v_pk_mov_b32 v[54:55], v[44:45], v[44:45] op_sel:[0,1]
	s_and_saveexec_b64 s[2:3], vcc
	s_cbranch_execz .LBB131_27
; %bb.24:
	v_lshlrev_b64 v[0:1], 3, v[44:45]
	v_mov_b32_e32 v5, 0
	v_mov_b32_e32 v7, s13
	v_add_co_u32_e32 v6, vcc, s12, v0
	v_lshlrev_b32_e32 v4, 3, v4
	v_addc_co_u32_e32 v7, vcc, v7, v1, vcc
	s_mov_b64 s[10:11], 0
	s_movk_i32 s14, 0x200
	v_mov_b32_e32 v18, s19
	v_mov_b32_e32 v19, s7
	v_bfrev_b32_e32 v8, 1
	v_pk_mov_b32 v[10:11], v[4:5], v[4:5] op_sel:[0,1]
	v_pk_mov_b32 v[54:55], v[44:45], v[44:45] op_sel:[0,1]
	;; [unrolled: 1-line block ×3, first 2 shown]
	v_mov_b32_e32 v0, v5
	v_mov_b32_e32 v1, v5
	v_mov_b32_e32 v14, v5
	v_mov_b32_e32 v15, v5
	v_mov_b32_e32 v16, v5
	v_mov_b32_e32 v17, v5
	v_mov_b32_e32 v12, v5
	v_mov_b32_e32 v13, v5
.LBB131_25:                             ; =>This Inner Loop Header: Depth=1
	global_load_dwordx2 v[28:29], v[6:7], off
	global_load_dwordx4 v[20:23], v[52:53], off offset:16
	global_load_dwordx4 v[24:27], v[52:53], off
	s_waitcnt vmcnt(2)
	v_subrev_co_u32_e32 v28, vcc, s16, v28
	v_subb_co_u32_e32 v29, vcc, v29, v18, vcc
	v_lshlrev_b64 v[28:29], 5, v[28:29]
	v_add_co_u32_e32 v64, vcc, s6, v28
	v_addc_co_u32_e32 v65, vcc, v19, v29, vcc
	global_load_dwordx4 v[28:31], v[64:65], off
	global_load_dwordx4 v[32:35], v[64:65], off offset:16
	global_load_dwordx4 v[56:59], v[52:53], off offset:32
	;; [unrolled: 1-line block ×3, first 2 shown]
	s_waitcnt vmcnt(4)
	v_mov_b32_e32 v4, v24
	v_mov_b32_e32 v9, v24
	v_add_co_u32_e32 v52, vcc, s14, v52
	v_addc_co_u32_e32 v53, vcc, 0, v53, vcc
	v_add_co_u32_e32 v54, vcc, 8, v54
	v_addc_co_u32_e32 v55, vcc, 0, v55, vcc
	;; [unrolled: 2-line block ×3, first 2 shown]
	v_add_co_u32_e32 v10, vcc, -8, v10
	v_addc_co_u32_e32 v11, vcc, -1, v11, vcc
	v_cmp_eq_u64_e32 vcc, 0, v[10:11]
	s_or_b64 s[10:11], vcc, s[10:11]
	s_waitcnt vmcnt(3)
	v_pk_fma_f32 v[12:13], v[28:29], v[4:5], v[12:13] op_sel_hi:[0,1,1]
	v_mov_b32_e32 v4, v25
	v_pk_fma_f32 v[12:13], v[28:29], v[8:9], v[12:13] op_sel:[1,0,0]
	v_mov_b32_e32 v24, v31
	v_mov_b32_e32 v9, v25
	v_pk_fma_f32 v[12:13], v[30:31], v[4:5], v[12:13] op_sel_hi:[0,1,1]
	v_mov_b32_e32 v4, v26
	v_pk_fma_f32 v[12:13], v[24:25], v[8:9], v[12:13] op_sel_hi:[0,1,1]
	v_mov_b32_e32 v9, v26
	s_waitcnt vmcnt(2)
	v_pk_fma_f32 v[12:13], v[32:33], v[4:5], v[12:13] op_sel_hi:[0,1,1]
	v_mov_b32_e32 v4, v27
	v_pk_fma_f32 v[12:13], v[32:33], v[8:9], v[12:13] op_sel:[1,0,0]
	v_mov_b32_e32 v64, v35
	v_mov_b32_e32 v9, v27
	v_pk_fma_f32 v[12:13], v[34:35], v[4:5], v[12:13] op_sel_hi:[0,1,1]
	v_mov_b32_e32 v4, v20
	v_pk_fma_f32 v[12:13], v[64:65], v[8:9], v[12:13] op_sel_hi:[0,1,1]
	v_pk_fma_f32 v[16:17], v[28:29], v[4:5], v[16:17] op_sel_hi:[0,1,1]
	v_mov_b32_e32 v9, v20
	v_mov_b32_e32 v4, v21
	v_pk_fma_f32 v[16:17], v[28:29], v[8:9], v[16:17] op_sel:[1,0,0]
	v_mov_b32_e32 v9, v21
	v_pk_fma_f32 v[16:17], v[30:31], v[4:5], v[16:17] op_sel_hi:[0,1,1]
	v_mov_b32_e32 v4, v22
	v_pk_fma_f32 v[16:17], v[24:25], v[8:9], v[16:17] op_sel_hi:[0,1,1]
	v_mov_b32_e32 v9, v22
	v_pk_fma_f32 v[16:17], v[32:33], v[4:5], v[16:17] op_sel_hi:[0,1,1]
	v_mov_b32_e32 v4, v23
	v_pk_fma_f32 v[16:17], v[32:33], v[8:9], v[16:17] op_sel:[1,0,0]
	v_mov_b32_e32 v9, v23
	v_pk_fma_f32 v[16:17], v[34:35], v[4:5], v[16:17] op_sel_hi:[0,1,1]
	s_waitcnt vmcnt(1)
	v_mov_b32_e32 v4, v56
	v_pk_fma_f32 v[16:17], v[64:65], v[8:9], v[16:17] op_sel_hi:[0,1,1]
	v_pk_fma_f32 v[14:15], v[28:29], v[4:5], v[14:15] op_sel_hi:[0,1,1]
	v_mov_b32_e32 v9, v56
	v_mov_b32_e32 v4, v57
	v_pk_fma_f32 v[14:15], v[28:29], v[8:9], v[14:15] op_sel:[1,0,0]
	v_mov_b32_e32 v9, v57
	v_pk_fma_f32 v[14:15], v[30:31], v[4:5], v[14:15] op_sel_hi:[0,1,1]
	v_mov_b32_e32 v4, v58
	v_pk_fma_f32 v[14:15], v[24:25], v[8:9], v[14:15] op_sel_hi:[0,1,1]
	;; [unrolled: 2-line block ×3, first 2 shown]
	v_mov_b32_e32 v4, v59
	v_pk_fma_f32 v[14:15], v[32:33], v[8:9], v[14:15] op_sel:[1,0,0]
	v_mov_b32_e32 v9, v59
	v_pk_fma_f32 v[14:15], v[34:35], v[4:5], v[14:15] op_sel_hi:[0,1,1]
	s_waitcnt vmcnt(0)
	v_mov_b32_e32 v4, v60
	v_pk_fma_f32 v[14:15], v[64:65], v[8:9], v[14:15] op_sel_hi:[0,1,1]
	v_pk_fma_f32 v[0:1], v[28:29], v[4:5], v[0:1] op_sel_hi:[0,1,1]
	v_mov_b32_e32 v9, v60
	v_mov_b32_e32 v4, v61
	v_pk_fma_f32 v[0:1], v[28:29], v[8:9], v[0:1] op_sel:[1,0,0]
	v_mov_b32_e32 v9, v61
	v_pk_fma_f32 v[0:1], v[30:31], v[4:5], v[0:1] op_sel_hi:[0,1,1]
	v_mov_b32_e32 v4, v62
	v_pk_fma_f32 v[0:1], v[24:25], v[8:9], v[0:1] op_sel_hi:[0,1,1]
	;; [unrolled: 2-line block ×3, first 2 shown]
	v_mov_b32_e32 v4, v63
	v_pk_fma_f32 v[0:1], v[32:33], v[8:9], v[0:1] op_sel:[1,0,0]
	v_mov_b32_e32 v9, v63
	v_pk_fma_f32 v[0:1], v[34:35], v[4:5], v[0:1] op_sel_hi:[0,1,1]
	v_pk_fma_f32 v[0:1], v[64:65], v[8:9], v[0:1] op_sel_hi:[0,1,1]
	s_andn2_b64 exec, exec, s[10:11]
	s_cbranch_execnz .LBB131_25
; %bb.26:
	s_or_b64 exec, exec, s[10:11]
.LBB131_27:
	s_or_b64 exec, exec, s[2:3]
	v_cmp_lt_u64_e32 vcc, 23, v[2:3]
	s_and_saveexec_b64 s[10:11], vcc
	s_cbranch_execz .LBB131_31
; %bb.28:
	v_lshlrev_b64 v[2:3], 3, v[54:55]
	v_mov_b32_e32 v4, s13
	v_add_co_u32_e32 v2, vcc, s12, v2
	v_addc_co_u32_e32 v3, vcc, v3, v4, vcc
	v_add_co_u32_e32 v56, vcc, 0x80, v2
	v_addc_co_u32_e32 v57, vcc, 0, v3, vcc
	s_mov_b64 s[14:15], 0
	v_mov_b32_e32 v43, s19
	v_mov_b32_e32 v70, s7
	v_mov_b32_e32 v59, 0
	v_bfrev_b32_e32 v60, 1
.LBB131_29:                             ; =>This Inner Loop Header: Depth=1
	global_load_dwordx2 v[2:3], v[56:57], off offset:-128
	s_waitcnt vmcnt(0)
	v_subrev_co_u32_e32 v10, vcc, s16, v2
	v_subb_co_u32_e32 v11, vcc, v3, v43, vcc
	v_lshlrev_b64 v[10:11], 5, v[10:11]
	v_add_co_u32_e32 v10, vcc, s6, v10
	v_addc_co_u32_e32 v11, vcc, v70, v11, vcc
	global_load_dwordx4 v[2:5], v[52:53], off offset:48
	global_load_dwordx4 v[6:9], v[52:53], off offset:32
	;; [unrolled: 1-line block ×3, first 2 shown]
	global_load_dwordx4 v[66:69], v[52:53], off
	global_load_dwordx4 v[72:75], v[10:11], off offset:16
	global_load_dwordx4 v[76:79], v[10:11], off
	global_load_dwordx2 v[18:19], v[56:57], off offset:-64
	global_load_dwordx4 v[20:23], v[52:53], off offset:560
	global_load_dwordx4 v[32:35], v[52:53], off offset:544
	;; [unrolled: 1-line block ×4, first 2 shown]
	s_waitcnt vmcnt(7)
	v_mov_b32_e32 v58, v66
	s_waitcnt vmcnt(4)
	v_subrev_co_u32_e32 v10, vcc, s16, v18
	v_subb_co_u32_e32 v11, vcc, v19, v43, vcc
	v_lshlrev_b64 v[10:11], 5, v[10:11]
	v_add_co_u32_e32 v10, vcc, s6, v10
	v_addc_co_u32_e32 v11, vcc, v70, v11, vcc
	global_load_dwordx4 v[24:27], v[10:11], off offset:16
	global_load_dwordx4 v[28:31], v[10:11], off
	v_pk_fma_f32 v[10:11], v[76:77], v[58:59], v[12:13] op_sel_hi:[0,1,1]
	v_mov_b32_e32 v61, v66
	v_pk_fma_f32 v[10:11], v[76:77], v[60:61], v[10:11] op_sel:[1,0,0]
	v_mov_b32_e32 v58, v67
	v_pk_fma_f32 v[10:11], v[78:79], v[58:59], v[10:11] op_sel_hi:[0,1,1]
	v_mov_b32_e32 v12, v79
	v_mov_b32_e32 v61, v67
	v_pk_fma_f32 v[10:11], v[12:13], v[60:61], v[10:11] op_sel_hi:[0,1,1]
	v_mov_b32_e32 v58, v68
	v_pk_fma_f32 v[10:11], v[72:73], v[58:59], v[10:11] op_sel_hi:[0,1,1]
	v_mov_b32_e32 v61, v68
	v_pk_fma_f32 v[10:11], v[72:73], v[60:61], v[10:11] op_sel:[1,0,0]
	v_mov_b32_e32 v58, v69
	v_pk_fma_f32 v[10:11], v[74:75], v[58:59], v[10:11] op_sel_hi:[0,1,1]
	v_mov_b32_e32 v18, v75
	v_mov_b32_e32 v61, v69
	v_pk_fma_f32 v[10:11], v[18:19], v[60:61], v[10:11] op_sel_hi:[0,1,1]
	s_waitcnt vmcnt(2)
	v_mov_b32_e32 v58, v84
	v_mov_b32_e32 v61, v84
	s_waitcnt vmcnt(0)
	v_pk_fma_f32 v[10:11], v[28:29], v[58:59], v[10:11] op_sel_hi:[0,1,1]
	v_mov_b32_e32 v58, v62
	v_pk_fma_f32 v[68:69], v[28:29], v[60:61], v[10:11] op_sel:[1,0,0]
	v_pk_fma_f32 v[10:11], v[76:77], v[58:59], v[16:17] op_sel_hi:[0,1,1]
	v_mov_b32_e32 v61, v62
	v_pk_fma_f32 v[10:11], v[76:77], v[60:61], v[10:11] op_sel:[1,0,0]
	v_mov_b32_e32 v58, v63
	v_pk_fma_f32 v[10:11], v[78:79], v[58:59], v[10:11] op_sel_hi:[0,1,1]
	v_mov_b32_e32 v61, v63
	v_pk_fma_f32 v[10:11], v[12:13], v[60:61], v[10:11] op_sel_hi:[0,1,1]
	v_mov_b32_e32 v58, v64
	v_pk_fma_f32 v[10:11], v[72:73], v[58:59], v[10:11] op_sel_hi:[0,1,1]
	v_mov_b32_e32 v61, v64
	v_pk_fma_f32 v[10:11], v[72:73], v[60:61], v[10:11] op_sel:[1,0,0]
	v_mov_b32_e32 v58, v65
	v_pk_fma_f32 v[10:11], v[74:75], v[58:59], v[10:11] op_sel_hi:[0,1,1]
	v_mov_b32_e32 v61, v65
	v_pk_fma_f32 v[10:11], v[18:19], v[60:61], v[10:11] op_sel_hi:[0,1,1]
	v_mov_b32_e32 v58, v80
	v_pk_fma_f32 v[10:11], v[28:29], v[58:59], v[10:11] op_sel_hi:[0,1,1]
	v_mov_b32_e32 v61, v80
	v_mov_b32_e32 v58, v6
	v_pk_fma_f32 v[66:67], v[28:29], v[60:61], v[10:11] op_sel:[1,0,0]
	v_pk_fma_f32 v[10:11], v[76:77], v[58:59], v[14:15] op_sel_hi:[0,1,1]
	v_mov_b32_e32 v61, v6
	v_pk_fma_f32 v[10:11], v[76:77], v[60:61], v[10:11] op_sel:[1,0,0]
	v_mov_b32_e32 v58, v7
	v_pk_fma_f32 v[10:11], v[78:79], v[58:59], v[10:11] op_sel_hi:[0,1,1]
	v_mov_b32_e32 v61, v7
	v_pk_fma_f32 v[6:7], v[12:13], v[60:61], v[10:11] op_sel_hi:[0,1,1]
	v_mov_b32_e32 v58, v8
	v_pk_fma_f32 v[6:7], v[72:73], v[58:59], v[6:7] op_sel_hi:[0,1,1]
	v_mov_b32_e32 v61, v8
	v_pk_fma_f32 v[6:7], v[72:73], v[60:61], v[6:7] op_sel:[1,0,0]
	v_mov_b32_e32 v58, v9
	v_pk_fma_f32 v[6:7], v[74:75], v[58:59], v[6:7] op_sel_hi:[0,1,1]
	v_mov_b32_e32 v61, v9
	v_pk_fma_f32 v[6:7], v[18:19], v[60:61], v[6:7] op_sel_hi:[0,1,1]
	v_mov_b32_e32 v58, v32
	v_pk_fma_f32 v[6:7], v[28:29], v[58:59], v[6:7] op_sel_hi:[0,1,1]
	v_mov_b32_e32 v61, v32
	;; [unrolled: 20-line block ×3, first 2 shown]
	v_pk_fma_f32 v[62:63], v[28:29], v[60:61], v[0:1] op_sel:[1,0,0]
	global_load_dwordx2 v[0:1], v[56:57], off
	v_mov_b32_e32 v58, v85
	v_mov_b32_e32 v20, v31
	;; [unrolled: 1-line block ×4, first 2 shown]
	s_waitcnt vmcnt(0)
	v_subrev_co_u32_e32 v4, vcc, s16, v0
	v_subb_co_u32_e32 v5, vcc, v1, v43, vcc
	v_lshlrev_b64 v[4:5], 5, v[4:5]
	v_add_co_u32_e32 v28, vcc, s6, v4
	global_load_dwordx4 v[0:3], v[52:53], off offset:1072
	global_load_dwordx4 v[8:11], v[52:53], off offset:1056
	;; [unrolled: 1-line block ×4, first 2 shown]
	v_addc_co_u32_e32 v29, vcc, v70, v5, vcc
	global_load_dwordx4 v[4:7], v[28:29], off offset:16
	global_load_dwordx4 v[72:75], v[28:29], off
	v_pk_fma_f32 v[28:29], v[30:31], v[58:59], v[68:69] op_sel_hi:[0,1,1]
	v_pk_fma_f32 v[28:29], v[20:21], v[60:61], v[28:29] op_sel_hi:[0,1,1]
	v_mov_b32_e32 v58, v86
	v_pk_fma_f32 v[28:29], v[24:25], v[58:59], v[28:29] op_sel_hi:[0,1,1]
	v_mov_b32_e32 v61, v86
	v_pk_fma_f32 v[28:29], v[24:25], v[60:61], v[28:29] op_sel:[1,0,0]
	v_mov_b32_e32 v58, v87
	v_pk_fma_f32 v[28:29], v[26:27], v[58:59], v[28:29] op_sel_hi:[0,1,1]
	v_mov_b32_e32 v61, v87
	v_pk_fma_f32 v[28:29], v[32:33], v[60:61], v[28:29] op_sel_hi:[0,1,1]
	s_waitcnt vmcnt(2)
	v_mov_b32_e32 v58, v16
	v_mov_b32_e32 v61, v16
	s_waitcnt vmcnt(0)
	v_pk_fma_f32 v[28:29], v[72:73], v[58:59], v[28:29] op_sel_hi:[0,1,1]
	v_pk_fma_f32 v[28:29], v[72:73], v[60:61], v[28:29] op_sel:[1,0,0]
	v_mov_b32_e32 v58, v17
	v_pk_fma_f32 v[28:29], v[74:75], v[58:59], v[28:29] op_sel_hi:[0,1,1]
	v_mov_b32_e32 v68, v75
	v_mov_b32_e32 v61, v17
	v_pk_fma_f32 v[16:17], v[68:69], v[60:61], v[28:29] op_sel_hi:[0,1,1]
	v_mov_b32_e32 v58, v18
	v_pk_fma_f32 v[28:29], v[4:5], v[58:59], v[16:17] op_sel_hi:[0,1,1]
	v_mov_b32_e32 v58, v81
	v_pk_fma_f32 v[16:17], v[30:31], v[58:59], v[66:67] op_sel_hi:[0,1,1]
	v_mov_b32_e32 v61, v81
	v_pk_fma_f32 v[16:17], v[20:21], v[60:61], v[16:17] op_sel_hi:[0,1,1]
	v_mov_b32_e32 v58, v82
	v_pk_fma_f32 v[16:17], v[24:25], v[58:59], v[16:17] op_sel_hi:[0,1,1]
	v_mov_b32_e32 v61, v82
	v_pk_fma_f32 v[16:17], v[24:25], v[60:61], v[16:17] op_sel:[1,0,0]
	v_mov_b32_e32 v58, v83
	v_pk_fma_f32 v[16:17], v[26:27], v[58:59], v[16:17] op_sel_hi:[0,1,1]
	v_mov_b32_e32 v61, v83
	v_pk_fma_f32 v[16:17], v[32:33], v[60:61], v[16:17] op_sel_hi:[0,1,1]
	v_mov_b32_e32 v58, v12
	v_pk_fma_f32 v[16:17], v[72:73], v[58:59], v[16:17] op_sel_hi:[0,1,1]
	v_mov_b32_e32 v61, v12
	v_pk_fma_f32 v[16:17], v[72:73], v[60:61], v[16:17] op_sel:[1,0,0]
	v_mov_b32_e32 v58, v13
	v_pk_fma_f32 v[16:17], v[74:75], v[58:59], v[16:17] op_sel_hi:[0,1,1]
	v_mov_b32_e32 v61, v13
	v_pk_fma_f32 v[12:13], v[68:69], v[60:61], v[16:17] op_sel_hi:[0,1,1]
	v_mov_b32_e32 v58, v14
	v_pk_fma_f32 v[16:17], v[4:5], v[58:59], v[12:13] op_sel_hi:[0,1,1]
	v_mov_b32_e32 v58, v33
	v_pk_fma_f32 v[12:13], v[30:31], v[58:59], v[64:65] op_sel_hi:[0,1,1]
	v_mov_b32_e32 v61, v33
	v_pk_fma_f32 v[12:13], v[20:21], v[60:61], v[12:13] op_sel_hi:[0,1,1]
	v_mov_b32_e32 v58, v34
	v_pk_fma_f32 v[12:13], v[24:25], v[58:59], v[12:13] op_sel_hi:[0,1,1]
	v_mov_b32_e32 v61, v34
	v_pk_fma_f32 v[12:13], v[24:25], v[60:61], v[12:13] op_sel:[1,0,0]
	v_mov_b32_e32 v58, v35
	v_pk_fma_f32 v[12:13], v[26:27], v[58:59], v[12:13] op_sel_hi:[0,1,1]
	v_mov_b32_e32 v61, v35
	v_pk_fma_f32 v[12:13], v[32:33], v[60:61], v[12:13] op_sel_hi:[0,1,1]
	v_mov_b32_e32 v58, v8
	v_pk_fma_f32 v[12:13], v[72:73], v[58:59], v[12:13] op_sel_hi:[0,1,1]
	v_mov_b32_e32 v61, v8
	v_pk_fma_f32 v[12:13], v[72:73], v[60:61], v[12:13] op_sel:[1,0,0]
	v_mov_b32_e32 v58, v9
	v_pk_fma_f32 v[12:13], v[74:75], v[58:59], v[12:13] op_sel_hi:[0,1,1]
	;; [unrolled: 22-line block ×3, first 2 shown]
	v_mov_b32_e32 v61, v1
	v_pk_fma_f32 v[0:1], v[68:69], v[60:61], v[12:13] op_sel_hi:[0,1,1]
	global_load_dwordx2 v[12:13], v[56:57], off offset:64
	global_load_dwordx4 v[20:23], v[52:53], off offset:1584
	global_load_dwordx4 v[24:27], v[52:53], off offset:1568
	global_load_dwordx4 v[30:33], v[52:53], off offset:1552
	global_load_dwordx4 v[62:65], v[52:53], off offset:1536
	v_mov_b32_e32 v58, v2
	v_mov_b32_e32 v61, v18
	v_pk_fma_f32 v[0:1], v[4:5], v[58:59], v[0:1] op_sel_hi:[0,1,1]
	v_mov_b32_e32 v58, v19
	v_mov_b32_e32 v18, v7
	s_waitcnt vmcnt(4)
	v_subrev_co_u32_e32 v12, vcc, s16, v12
	v_subb_co_u32_e32 v13, vcc, v13, v43, vcc
	v_lshlrev_b64 v[12:13], 5, v[12:13]
	v_add_co_u32_e32 v12, vcc, s6, v12
	v_addc_co_u32_e32 v13, vcc, v70, v13, vcc
	global_load_dwordx4 v[66:69], v[12:13], off offset:16
	global_load_dwordx4 v[72:75], v[12:13], off
	v_pk_fma_f32 v[12:13], v[4:5], v[60:61], v[28:29] op_sel:[1,0,0]
	v_pk_fma_f32 v[12:13], v[6:7], v[58:59], v[12:13] op_sel_hi:[0,1,1]
	v_mov_b32_e32 v61, v19
	v_pk_fma_f32 v[12:13], v[18:19], v[60:61], v[12:13] op_sel_hi:[0,1,1]
	s_waitcnt vmcnt(2)
	v_mov_b32_e32 v58, v62
	v_mov_b32_e32 v61, v62
	v_add_co_u32_e32 v54, vcc, 32, v54
	v_addc_co_u32_e32 v55, vcc, 0, v55, vcc
	v_add_co_u32_e32 v56, vcc, 0x100, v56
	v_addc_co_u32_e32 v57, vcc, 0, v57, vcc
	v_cmp_ge_i64_e64 s[2:3], v[54:55], v[46:47]
	v_add_co_u32_e32 v52, vcc, 0x800, v52
	v_addc_co_u32_e32 v53, vcc, 0, v53, vcc
	s_or_b64 s[14:15], s[2:3], s[14:15]
	s_waitcnt vmcnt(1)
	v_mov_b32_e32 v34, v69
	s_waitcnt vmcnt(0)
	v_pk_fma_f32 v[12:13], v[72:73], v[58:59], v[12:13] op_sel_hi:[0,1,1]
	v_pk_fma_f32 v[12:13], v[72:73], v[60:61], v[12:13] op_sel:[1,0,0]
	v_mov_b32_e32 v58, v63
	v_pk_fma_f32 v[12:13], v[74:75], v[58:59], v[12:13] op_sel_hi:[0,1,1]
	v_mov_b32_e32 v28, v75
	v_mov_b32_e32 v61, v63
	v_pk_fma_f32 v[12:13], v[28:29], v[60:61], v[12:13] op_sel_hi:[0,1,1]
	v_mov_b32_e32 v58, v64
	v_pk_fma_f32 v[12:13], v[66:67], v[58:59], v[12:13] op_sel_hi:[0,1,1]
	v_mov_b32_e32 v61, v64
	v_pk_fma_f32 v[12:13], v[66:67], v[60:61], v[12:13] op_sel:[1,0,0]
	v_mov_b32_e32 v58, v65
	v_pk_fma_f32 v[12:13], v[68:69], v[58:59], v[12:13] op_sel_hi:[0,1,1]
	v_mov_b32_e32 v61, v65
	v_pk_fma_f32 v[12:13], v[34:35], v[60:61], v[12:13] op_sel_hi:[0,1,1]
	v_mov_b32_e32 v61, v14
	v_pk_fma_f32 v[16:17], v[4:5], v[60:61], v[16:17] op_sel:[1,0,0]
	v_mov_b32_e32 v58, v15
	v_pk_fma_f32 v[16:17], v[6:7], v[58:59], v[16:17] op_sel_hi:[0,1,1]
	v_mov_b32_e32 v61, v15
	v_pk_fma_f32 v[14:15], v[18:19], v[60:61], v[16:17] op_sel_hi:[0,1,1]
	v_mov_b32_e32 v58, v30
	v_pk_fma_f32 v[14:15], v[72:73], v[58:59], v[14:15] op_sel_hi:[0,1,1]
	v_mov_b32_e32 v61, v30
	v_pk_fma_f32 v[14:15], v[72:73], v[60:61], v[14:15] op_sel:[1,0,0]
	v_mov_b32_e32 v58, v31
	v_pk_fma_f32 v[14:15], v[74:75], v[58:59], v[14:15] op_sel_hi:[0,1,1]
	v_mov_b32_e32 v61, v31
	v_pk_fma_f32 v[14:15], v[28:29], v[60:61], v[14:15] op_sel_hi:[0,1,1]
	v_mov_b32_e32 v58, v32
	v_pk_fma_f32 v[14:15], v[66:67], v[58:59], v[14:15] op_sel_hi:[0,1,1]
	v_mov_b32_e32 v61, v32
	v_pk_fma_f32 v[14:15], v[66:67], v[60:61], v[14:15] op_sel:[1,0,0]
	v_mov_b32_e32 v58, v33
	v_pk_fma_f32 v[14:15], v[68:69], v[58:59], v[14:15] op_sel_hi:[0,1,1]
	v_mov_b32_e32 v61, v33
	v_pk_fma_f32 v[16:17], v[34:35], v[60:61], v[14:15] op_sel_hi:[0,1,1]
	v_mov_b32_e32 v61, v10
	v_pk_fma_f32 v[8:9], v[4:5], v[60:61], v[8:9] op_sel:[1,0,0]
	v_mov_b32_e32 v58, v11
	v_pk_fma_f32 v[8:9], v[6:7], v[58:59], v[8:9] op_sel_hi:[0,1,1]
	v_mov_b32_e32 v61, v11
	v_pk_fma_f32 v[8:9], v[18:19], v[60:61], v[8:9] op_sel_hi:[0,1,1]
	v_mov_b32_e32 v58, v24
	v_pk_fma_f32 v[8:9], v[72:73], v[58:59], v[8:9] op_sel_hi:[0,1,1]
	v_mov_b32_e32 v61, v24
	v_pk_fma_f32 v[8:9], v[72:73], v[60:61], v[8:9] op_sel:[1,0,0]
	v_mov_b32_e32 v58, v25
	v_pk_fma_f32 v[8:9], v[74:75], v[58:59], v[8:9] op_sel_hi:[0,1,1]
	;; [unrolled: 22-line block ×3, first 2 shown]
	v_mov_b32_e32 v61, v21
	v_pk_fma_f32 v[0:1], v[28:29], v[60:61], v[0:1] op_sel_hi:[0,1,1]
	v_mov_b32_e32 v58, v22
	v_pk_fma_f32 v[0:1], v[66:67], v[58:59], v[0:1] op_sel_hi:[0,1,1]
	v_mov_b32_e32 v61, v22
	v_pk_fma_f32 v[0:1], v[66:67], v[60:61], v[0:1] op_sel:[1,0,0]
	v_mov_b32_e32 v58, v23
	v_pk_fma_f32 v[0:1], v[68:69], v[58:59], v[0:1] op_sel_hi:[0,1,1]
	v_mov_b32_e32 v61, v23
	v_pk_fma_f32 v[0:1], v[34:35], v[60:61], v[0:1] op_sel_hi:[0,1,1]
	s_andn2_b64 exec, exec, s[14:15]
	s_cbranch_execnz .LBB131_29
; %bb.30:
	s_or_b64 exec, exec, s[14:15]
.LBB131_31:
	s_or_b64 exec, exec, s[10:11]
.LBB131_32:
	s_or_b64 exec, exec, s[8:9]
	s_cbranch_execz .LBB131_34
	s_branch .LBB131_45
.LBB131_33:
                                        ; implicit-def: $vgpr13
                                        ; implicit-def: $vgpr17
                                        ; implicit-def: $vgpr15
                                        ; implicit-def: $vgpr1
.LBB131_34:
	v_mov_b32_e32 v13, 0
	v_mov_b32_e32 v12, 0
	v_mov_b32_e32 v17, 0
	v_mov_b32_e32 v16, 0
	v_mov_b32_e32 v15, 0
	v_mov_b32_e32 v14, 0
	v_mov_b32_e32 v1, 0
	v_mov_b32_e32 v0, 0
	s_and_saveexec_b64 s[2:3], s[0:1]
	s_cbranch_execz .LBB131_44
; %bb.35:
	v_or_b32_e32 v0, 8, v42
	v_mov_b32_e32 v1, s19
	v_subrev_co_u32_e32 v0, vcc, s16, v0
	v_subb_co_u32_e32 v1, vcc, 0, v1, vcc
	v_add_co_u32_e32 v0, vcc, v0, v50
	v_addc_co_u32_e32 v1, vcc, v1, v51, vcc
	v_cmp_gt_i64_e32 vcc, v[0:1], v[46:47]
	v_cndmask_b32_e32 v1, v47, v1, vcc
	v_cndmask_b32_e32 v0, v46, v0, vcc
	v_mov_b32_e32 v4, s19
	v_sub_co_u32_e32 v5, vcc, s16, v42
	v_not_b32_e32 v3, v50
	v_subbrev_co_u32_e32 v4, vcc, 0, v4, vcc
	v_not_b32_e32 v2, v51
	v_add_co_u32_e32 v3, vcc, v5, v3
	v_addc_co_u32_e32 v4, vcc, v4, v2, vcc
	v_add_co_u32_e32 v2, vcc, v3, v0
	v_lshrrev_b32_e32 v0, 3, v2
	v_add_u32_e32 v0, 1, v0
	v_addc_co_u32_e32 v3, vcc, v4, v1, vcc
	v_and_b32_e32 v4, 3, v0
	v_mov_b32_e32 v0, 0
	v_cmp_ne_u32_e32 vcc, 0, v4
	v_mov_b32_e32 v1, v0
	v_mov_b32_e32 v14, v0
	;; [unrolled: 1-line block ×7, first 2 shown]
	s_and_saveexec_b64 s[0:1], vcc
	s_cbranch_execz .LBB131_39
; %bb.36:
	v_lshlrev_b64 v[0:1], 3, v[44:45]
	v_mov_b32_e32 v5, 0
	v_mov_b32_e32 v7, s13
	v_add_co_u32_e32 v6, vcc, s12, v0
	v_lshlrev_b32_e32 v4, 3, v4
	v_addc_co_u32_e32 v7, vcc, v7, v1, vcc
	s_mov_b64 s[8:9], 0
	s_movk_i32 s10, 0x200
	v_mov_b32_e32 v18, s19
	v_mov_b32_e32 v19, s7
	v_bfrev_b32_e32 v8, 1
	v_pk_mov_b32 v[10:11], v[4:5], v[4:5] op_sel:[0,1]
	v_mov_b32_e32 v0, v5
	v_mov_b32_e32 v1, v5
	;; [unrolled: 1-line block ×8, first 2 shown]
.LBB131_37:                             ; =>This Inner Loop Header: Depth=1
	global_load_dwordx2 v[32:33], v[6:7], off
	global_load_dwordx4 v[20:23], v[48:49], off offset:32
	global_load_dwordx4 v[24:27], v[48:49], off offset:16
	global_load_dwordx4 v[28:31], v[48:49], off
	s_waitcnt vmcnt(3)
	v_subrev_co_u32_e32 v32, vcc, s16, v32
	v_subb_co_u32_e32 v33, vcc, v33, v18, vcc
	v_lshlrev_b64 v[32:33], 5, v[32:33]
	v_add_co_u32_e32 v58, vcc, s6, v32
	v_addc_co_u32_e32 v59, vcc, v19, v33, vcc
	global_load_dwordx4 v[32:35], v[58:59], off
	global_load_dwordx4 v[50:53], v[58:59], off offset:16
	global_load_dwordx4 v[54:57], v[48:49], off offset:48
	s_waitcnt vmcnt(3)
	v_mov_b32_e32 v4, v28
	v_mov_b32_e32 v9, v28
	v_add_co_u32_e32 v48, vcc, s10, v48
	v_addc_co_u32_e32 v49, vcc, 0, v49, vcc
	v_add_co_u32_e32 v44, vcc, 8, v44
	v_addc_co_u32_e32 v45, vcc, 0, v45, vcc
	;; [unrolled: 2-line block ×3, first 2 shown]
	v_add_co_u32_e32 v10, vcc, -8, v10
	v_addc_co_u32_e32 v11, vcc, -1, v11, vcc
	v_cmp_eq_u64_e32 vcc, 0, v[10:11]
	s_or_b64 s[8:9], vcc, s[8:9]
	s_waitcnt vmcnt(2)
	v_pk_fma_f32 v[12:13], v[32:33], v[4:5], v[12:13] op_sel_hi:[0,1,1]
	v_mov_b32_e32 v4, v24
	v_pk_fma_f32 v[12:13], v[32:33], v[8:9], v[12:13] op_sel:[1,0,0]
	v_mov_b32_e32 v28, v35
	v_mov_b32_e32 v9, v24
	v_pk_fma_f32 v[12:13], v[34:35], v[4:5], v[12:13] op_sel_hi:[0,1,1]
	v_mov_b32_e32 v4, v20
	v_pk_fma_f32 v[12:13], v[28:29], v[8:9], v[12:13] op_sel_hi:[0,1,1]
	v_mov_b32_e32 v9, v20
	s_waitcnt vmcnt(1)
	v_pk_fma_f32 v[12:13], v[50:51], v[4:5], v[12:13] op_sel_hi:[0,1,1]
	s_waitcnt vmcnt(0)
	v_mov_b32_e32 v4, v54
	v_pk_fma_f32 v[12:13], v[50:51], v[8:9], v[12:13] op_sel:[1,0,0]
	v_mov_b32_e32 v58, v53
	v_mov_b32_e32 v9, v54
	v_pk_fma_f32 v[12:13], v[52:53], v[4:5], v[12:13] op_sel_hi:[0,1,1]
	v_mov_b32_e32 v4, v29
	v_pk_fma_f32 v[12:13], v[58:59], v[8:9], v[12:13] op_sel_hi:[0,1,1]
	v_pk_fma_f32 v[16:17], v[32:33], v[4:5], v[16:17] op_sel_hi:[0,1,1]
	v_mov_b32_e32 v9, v29
	v_mov_b32_e32 v4, v25
	v_pk_fma_f32 v[16:17], v[32:33], v[8:9], v[16:17] op_sel:[1,0,0]
	v_mov_b32_e32 v9, v25
	v_pk_fma_f32 v[16:17], v[34:35], v[4:5], v[16:17] op_sel_hi:[0,1,1]
	v_mov_b32_e32 v4, v21
	v_pk_fma_f32 v[16:17], v[28:29], v[8:9], v[16:17] op_sel_hi:[0,1,1]
	v_mov_b32_e32 v9, v21
	v_pk_fma_f32 v[16:17], v[50:51], v[4:5], v[16:17] op_sel_hi:[0,1,1]
	v_mov_b32_e32 v4, v55
	v_pk_fma_f32 v[16:17], v[50:51], v[8:9], v[16:17] op_sel:[1,0,0]
	v_mov_b32_e32 v9, v55
	v_pk_fma_f32 v[16:17], v[52:53], v[4:5], v[16:17] op_sel_hi:[0,1,1]
	v_mov_b32_e32 v4, v30
	v_pk_fma_f32 v[16:17], v[58:59], v[8:9], v[16:17] op_sel_hi:[0,1,1]
	v_pk_fma_f32 v[14:15], v[32:33], v[4:5], v[14:15] op_sel_hi:[0,1,1]
	v_mov_b32_e32 v9, v30
	v_mov_b32_e32 v4, v26
	v_pk_fma_f32 v[14:15], v[32:33], v[8:9], v[14:15] op_sel:[1,0,0]
	v_mov_b32_e32 v9, v26
	v_pk_fma_f32 v[14:15], v[34:35], v[4:5], v[14:15] op_sel_hi:[0,1,1]
	v_mov_b32_e32 v4, v22
	v_pk_fma_f32 v[14:15], v[28:29], v[8:9], v[14:15] op_sel_hi:[0,1,1]
	v_mov_b32_e32 v9, v22
	v_pk_fma_f32 v[14:15], v[50:51], v[4:5], v[14:15] op_sel_hi:[0,1,1]
	v_mov_b32_e32 v4, v56
	v_pk_fma_f32 v[14:15], v[50:51], v[8:9], v[14:15] op_sel:[1,0,0]
	;; [unrolled: 16-line block ×3, first 2 shown]
	v_mov_b32_e32 v9, v57
	v_pk_fma_f32 v[0:1], v[52:53], v[4:5], v[0:1] op_sel_hi:[0,1,1]
	v_pk_fma_f32 v[0:1], v[58:59], v[8:9], v[0:1] op_sel_hi:[0,1,1]
	s_andn2_b64 exec, exec, s[8:9]
	s_cbranch_execnz .LBB131_37
; %bb.38:
	s_or_b64 exec, exec, s[8:9]
.LBB131_39:
	s_or_b64 exec, exec, s[0:1]
	v_cmp_lt_u64_e32 vcc, 23, v[2:3]
	s_and_saveexec_b64 s[8:9], vcc
	s_cbranch_execz .LBB131_43
; %bb.40:
	v_lshlrev_b64 v[2:3], 3, v[44:45]
	v_mov_b32_e32 v4, s13
	v_add_co_u32_e32 v2, vcc, s12, v2
	v_addc_co_u32_e32 v3, vcc, v3, v4, vcc
	v_add_co_u32_e32 v18, vcc, 0x80, v2
	v_addc_co_u32_e32 v19, vcc, 0, v3, vcc
	s_mov_b64 s[10:11], 0
	v_mov_b32_e32 v26, s19
	v_mov_b32_e32 v27, s7
	;; [unrolled: 1-line block ×3, first 2 shown]
	v_bfrev_b32_e32 v22, 1
.LBB131_41:                             ; =>This Inner Loop Header: Depth=1
	global_load_dwordx2 v[2:3], v[18:19], off offset:-128
	global_load_dwordx4 v[28:31], v[48:49], off offset:48
	global_load_dwordx4 v[32:35], v[48:49], off offset:32
	;; [unrolled: 1-line block ×3, first 2 shown]
	global_load_dwordx4 v[54:57], v[48:49], off
	s_waitcnt vmcnt(4)
	v_subrev_co_u32_e32 v2, vcc, s16, v2
	v_subb_co_u32_e32 v3, vcc, v3, v26, vcc
	v_lshlrev_b64 v[2:3], 5, v[2:3]
	v_add_co_u32_e32 v2, vcc, s6, v2
	v_addc_co_u32_e32 v3, vcc, v27, v3, vcc
	global_load_dwordx4 v[58:61], v[2:3], off offset:16
	global_load_dwordx4 v[62:65], v[2:3], off
	global_load_dwordx2 v[4:5], v[18:19], off offset:-64
	global_load_dwordx4 v[66:69], v[48:49], off offset:560
	global_load_dwordx4 v[70:73], v[48:49], off offset:544
	;; [unrolled: 1-line block ×4, first 2 shown]
	s_waitcnt vmcnt(7)
	v_mov_b32_e32 v20, v54
	v_mov_b32_e32 v23, v54
	s_waitcnt vmcnt(5)
	v_mov_b32_e32 v54, v65
	s_waitcnt vmcnt(4)
	v_subrev_co_u32_e32 v2, vcc, s16, v4
	v_subb_co_u32_e32 v3, vcc, v5, v26, vcc
	v_lshlrev_b64 v[2:3], 5, v[2:3]
	v_add_co_u32_e32 v2, vcc, s6, v2
	v_addc_co_u32_e32 v3, vcc, v27, v3, vcc
	global_load_dwordx4 v[4:7], v[2:3], off offset:16
	global_load_dwordx4 v[8:11], v[2:3], off
	v_pk_fma_f32 v[2:3], v[62:63], v[20:21], v[12:13] op_sel_hi:[0,1,1]
	v_pk_fma_f32 v[2:3], v[62:63], v[22:23], v[2:3] op_sel:[1,0,0]
	v_mov_b32_e32 v20, v50
	v_pk_fma_f32 v[2:3], v[64:65], v[20:21], v[2:3] op_sel_hi:[0,1,1]
	v_mov_b32_e32 v23, v50
	v_pk_fma_f32 v[2:3], v[54:55], v[22:23], v[2:3] op_sel_hi:[0,1,1]
	v_mov_b32_e32 v20, v32
	v_pk_fma_f32 v[2:3], v[58:59], v[20:21], v[2:3] op_sel_hi:[0,1,1]
	v_mov_b32_e32 v23, v32
	v_pk_fma_f32 v[2:3], v[58:59], v[22:23], v[2:3] op_sel:[1,0,0]
	v_mov_b32_e32 v20, v28
	v_pk_fma_f32 v[2:3], v[60:61], v[20:21], v[2:3] op_sel_hi:[0,1,1]
	v_mov_b32_e32 v32, v61
	v_mov_b32_e32 v23, v28
	v_pk_fma_f32 v[2:3], v[32:33], v[22:23], v[2:3] op_sel_hi:[0,1,1]
	s_waitcnt vmcnt(2)
	v_mov_b32_e32 v20, v78
	v_mov_b32_e32 v23, v78
	s_waitcnt vmcnt(0)
	v_pk_fma_f32 v[2:3], v[8:9], v[20:21], v[2:3] op_sel_hi:[0,1,1]
	v_mov_b32_e32 v20, v55
	v_pk_fma_f32 v[12:13], v[8:9], v[22:23], v[2:3] op_sel:[1,0,0]
	v_pk_fma_f32 v[2:3], v[62:63], v[20:21], v[16:17] op_sel_hi:[0,1,1]
	v_mov_b32_e32 v23, v55
	v_pk_fma_f32 v[2:3], v[62:63], v[22:23], v[2:3] op_sel:[1,0,0]
	v_mov_b32_e32 v20, v51
	v_pk_fma_f32 v[2:3], v[64:65], v[20:21], v[2:3] op_sel_hi:[0,1,1]
	v_mov_b32_e32 v23, v51
	v_pk_fma_f32 v[2:3], v[54:55], v[22:23], v[2:3] op_sel_hi:[0,1,1]
	v_mov_b32_e32 v20, v33
	v_pk_fma_f32 v[2:3], v[58:59], v[20:21], v[2:3] op_sel_hi:[0,1,1]
	v_mov_b32_e32 v23, v33
	v_pk_fma_f32 v[2:3], v[58:59], v[22:23], v[2:3] op_sel:[1,0,0]
	v_mov_b32_e32 v20, v29
	v_pk_fma_f32 v[2:3], v[60:61], v[20:21], v[2:3] op_sel_hi:[0,1,1]
	v_mov_b32_e32 v23, v29
	v_pk_fma_f32 v[2:3], v[32:33], v[22:23], v[2:3] op_sel_hi:[0,1,1]
	v_mov_b32_e32 v20, v79
	v_pk_fma_f32 v[2:3], v[8:9], v[20:21], v[2:3] op_sel_hi:[0,1,1]
	v_mov_b32_e32 v23, v79
	v_mov_b32_e32 v20, v56
	v_pk_fma_f32 v[24:25], v[8:9], v[22:23], v[2:3] op_sel:[1,0,0]
	v_pk_fma_f32 v[2:3], v[62:63], v[20:21], v[14:15] op_sel_hi:[0,1,1]
	v_mov_b32_e32 v23, v56
	v_pk_fma_f32 v[2:3], v[62:63], v[22:23], v[2:3] op_sel:[1,0,0]
	v_mov_b32_e32 v20, v52
	v_pk_fma_f32 v[2:3], v[64:65], v[20:21], v[2:3] op_sel_hi:[0,1,1]
	v_mov_b32_e32 v23, v52
	v_pk_fma_f32 v[2:3], v[54:55], v[22:23], v[2:3] op_sel_hi:[0,1,1]
	v_mov_b32_e32 v20, v34
	v_pk_fma_f32 v[2:3], v[58:59], v[20:21], v[2:3] op_sel_hi:[0,1,1]
	v_mov_b32_e32 v23, v34
	v_pk_fma_f32 v[2:3], v[58:59], v[22:23], v[2:3] op_sel:[1,0,0]
	v_mov_b32_e32 v20, v30
	v_pk_fma_f32 v[2:3], v[60:61], v[20:21], v[2:3] op_sel_hi:[0,1,1]
	v_mov_b32_e32 v23, v30
	v_pk_fma_f32 v[2:3], v[32:33], v[22:23], v[2:3] op_sel_hi:[0,1,1]
	v_mov_b32_e32 v20, v80
	v_pk_fma_f32 v[2:3], v[8:9], v[20:21], v[2:3] op_sel_hi:[0,1,1]
	v_mov_b32_e32 v23, v80
	;; [unrolled: 20-line block ×3, first 2 shown]
	v_pk_fma_f32 v[16:17], v[8:9], v[22:23], v[0:1] op_sel:[1,0,0]
	global_load_dwordx2 v[0:1], v[18:19], off
	global_load_dwordx4 v[28:31], v[48:49], off offset:1072
	global_load_dwordx4 v[32:35], v[48:49], off offset:1056
	;; [unrolled: 1-line block ×4, first 2 shown]
	v_mov_b32_e32 v20, v74
	v_mov_b32_e32 v62, v11
	;; [unrolled: 1-line block ×4, first 2 shown]
	s_waitcnt vmcnt(4)
	v_subrev_co_u32_e32 v0, vcc, s16, v0
	v_subb_co_u32_e32 v1, vcc, v1, v26, vcc
	v_lshlrev_b64 v[0:1], 5, v[0:1]
	v_add_co_u32_e32 v8, vcc, s6, v0
	v_addc_co_u32_e32 v9, vcc, v27, v1, vcc
	global_load_dwordx4 v[0:3], v[8:9], off offset:16
	global_load_dwordx4 v[58:61], v[8:9], off
	v_pk_fma_f32 v[8:9], v[10:11], v[20:21], v[12:13] op_sel_hi:[0,1,1]
	v_pk_fma_f32 v[8:9], v[62:63], v[22:23], v[8:9] op_sel_hi:[0,1,1]
	v_mov_b32_e32 v20, v70
	v_pk_fma_f32 v[8:9], v[4:5], v[20:21], v[8:9] op_sel_hi:[0,1,1]
	v_mov_b32_e32 v23, v70
	v_pk_fma_f32 v[8:9], v[4:5], v[22:23], v[8:9] op_sel:[1,0,0]
	v_mov_b32_e32 v20, v66
	v_pk_fma_f32 v[8:9], v[6:7], v[20:21], v[8:9] op_sel_hi:[0,1,1]
	v_mov_b32_e32 v23, v66
	v_pk_fma_f32 v[8:9], v[64:65], v[22:23], v[8:9] op_sel_hi:[0,1,1]
	s_waitcnt vmcnt(2)
	v_mov_b32_e32 v20, v54
	v_mov_b32_e32 v23, v54
	s_waitcnt vmcnt(0)
	v_pk_fma_f32 v[8:9], v[58:59], v[20:21], v[8:9] op_sel_hi:[0,1,1]
	v_pk_fma_f32 v[8:9], v[58:59], v[22:23], v[8:9] op_sel:[1,0,0]
	v_mov_b32_e32 v20, v50
	v_pk_fma_f32 v[8:9], v[60:61], v[20:21], v[8:9] op_sel_hi:[0,1,1]
	v_mov_b32_e32 v54, v61
	v_mov_b32_e32 v23, v50
	v_pk_fma_f32 v[8:9], v[54:55], v[22:23], v[8:9] op_sel_hi:[0,1,1]
	v_mov_b32_e32 v20, v32
	v_pk_fma_f32 v[12:13], v[0:1], v[20:21], v[8:9] op_sel_hi:[0,1,1]
	;; [unrolled: 2-line block ×5, first 2 shown]
	v_mov_b32_e32 v23, v71
	v_pk_fma_f32 v[8:9], v[4:5], v[22:23], v[8:9] op_sel:[1,0,0]
	v_mov_b32_e32 v20, v67
	v_pk_fma_f32 v[8:9], v[6:7], v[20:21], v[8:9] op_sel_hi:[0,1,1]
	v_mov_b32_e32 v23, v67
	v_pk_fma_f32 v[8:9], v[64:65], v[22:23], v[8:9] op_sel_hi:[0,1,1]
	;; [unrolled: 2-line block ×3, first 2 shown]
	v_mov_b32_e32 v23, v55
	v_pk_fma_f32 v[8:9], v[58:59], v[22:23], v[8:9] op_sel:[1,0,0]
	v_mov_b32_e32 v20, v51
	v_pk_fma_f32 v[8:9], v[60:61], v[20:21], v[8:9] op_sel_hi:[0,1,1]
	v_mov_b32_e32 v23, v51
	v_pk_fma_f32 v[8:9], v[54:55], v[22:23], v[8:9] op_sel_hi:[0,1,1]
	;; [unrolled: 2-line block ×6, first 2 shown]
	v_mov_b32_e32 v23, v72
	v_pk_fma_f32 v[14:15], v[4:5], v[22:23], v[14:15] op_sel:[1,0,0]
	v_mov_b32_e32 v20, v68
	v_pk_fma_f32 v[14:15], v[6:7], v[20:21], v[14:15] op_sel_hi:[0,1,1]
	v_mov_b32_e32 v23, v68
	v_pk_fma_f32 v[14:15], v[64:65], v[22:23], v[14:15] op_sel_hi:[0,1,1]
	;; [unrolled: 2-line block ×3, first 2 shown]
	v_mov_b32_e32 v23, v56
	v_pk_fma_f32 v[14:15], v[58:59], v[22:23], v[14:15] op_sel:[1,0,0]
	v_mov_b32_e32 v20, v52
	v_pk_fma_f32 v[14:15], v[60:61], v[20:21], v[14:15] op_sel_hi:[0,1,1]
	v_mov_b32_e32 v23, v52
	v_pk_fma_f32 v[14:15], v[54:55], v[22:23], v[14:15] op_sel_hi:[0,1,1]
	v_mov_b32_e32 v20, v34
	v_pk_fma_f32 v[14:15], v[0:1], v[20:21], v[14:15] op_sel_hi:[0,1,1]
	v_mov_b32_e32 v20, v77
	v_pk_fma_f32 v[10:11], v[10:11], v[20:21], v[16:17] op_sel_hi:[0,1,1]
	v_mov_b32_e32 v23, v77
	v_pk_fma_f32 v[10:11], v[62:63], v[22:23], v[10:11] op_sel_hi:[0,1,1]
	v_mov_b32_e32 v20, v73
	v_pk_fma_f32 v[10:11], v[4:5], v[20:21], v[10:11] op_sel_hi:[0,1,1]
	v_mov_b32_e32 v23, v73
	v_pk_fma_f32 v[4:5], v[4:5], v[22:23], v[10:11] op_sel:[1,0,0]
	v_mov_b32_e32 v20, v69
	v_pk_fma_f32 v[4:5], v[6:7], v[20:21], v[4:5] op_sel_hi:[0,1,1]
	global_load_dwordx2 v[6:7], v[18:19], off offset:64
	v_mov_b32_e32 v23, v69
	v_pk_fma_f32 v[4:5], v[64:65], v[22:23], v[4:5] op_sel_hi:[0,1,1]
	v_mov_b32_e32 v20, v57
	v_pk_fma_f32 v[4:5], v[58:59], v[20:21], v[4:5] op_sel_hi:[0,1,1]
	v_mov_b32_e32 v23, v57
	v_pk_fma_f32 v[4:5], v[58:59], v[22:23], v[4:5] op_sel:[1,0,0]
	v_mov_b32_e32 v20, v53
	v_pk_fma_f32 v[4:5], v[60:61], v[20:21], v[4:5] op_sel_hi:[0,1,1]
	v_mov_b32_e32 v23, v53
	v_pk_fma_f32 v[4:5], v[54:55], v[22:23], v[4:5] op_sel_hi:[0,1,1]
	global_load_dwordx4 v[50:53], v[48:49], off offset:1584
	global_load_dwordx4 v[54:57], v[48:49], off offset:1568
	;; [unrolled: 1-line block ×4, first 2 shown]
	v_mov_b32_e32 v20, v35
	v_mov_b32_e32 v23, v32
	v_pk_fma_f32 v[4:5], v[0:1], v[20:21], v[4:5] op_sel_hi:[0,1,1]
	v_mov_b32_e32 v20, v28
	v_mov_b32_e32 v10, v3
	s_waitcnt vmcnt(4)
	v_subrev_co_u32_e32 v6, vcc, s16, v6
	v_subb_co_u32_e32 v7, vcc, v7, v26, vcc
	v_lshlrev_b64 v[6:7], 5, v[6:7]
	v_add_co_u32_e32 v6, vcc, s6, v6
	v_addc_co_u32_e32 v7, vcc, v27, v7, vcc
	global_load_dwordx4 v[66:69], v[6:7], off offset:16
	global_load_dwordx4 v[70:73], v[6:7], off
	v_pk_fma_f32 v[6:7], v[0:1], v[22:23], v[12:13] op_sel:[1,0,0]
	v_pk_fma_f32 v[6:7], v[2:3], v[20:21], v[6:7] op_sel_hi:[0,1,1]
	v_mov_b32_e32 v23, v28
	v_pk_fma_f32 v[6:7], v[10:11], v[22:23], v[6:7] op_sel_hi:[0,1,1]
	s_waitcnt vmcnt(2)
	v_mov_b32_e32 v20, v62
	v_mov_b32_e32 v23, v62
	v_add_co_u32_e32 v44, vcc, 32, v44
	v_addc_co_u32_e32 v45, vcc, 0, v45, vcc
	v_add_co_u32_e32 v18, vcc, 0x100, v18
	v_addc_co_u32_e32 v19, vcc, 0, v19, vcc
	v_cmp_ge_i64_e64 s[0:1], v[44:45], v[46:47]
	v_add_co_u32_e32 v48, vcc, 0x800, v48
	v_addc_co_u32_e32 v49, vcc, 0, v49, vcc
	s_or_b64 s[10:11], s[0:1], s[10:11]
	s_waitcnt vmcnt(1)
	v_mov_b32_e32 v28, v69
	s_waitcnt vmcnt(0)
	v_pk_fma_f32 v[6:7], v[70:71], v[20:21], v[6:7] op_sel_hi:[0,1,1]
	v_pk_fma_f32 v[6:7], v[70:71], v[22:23], v[6:7] op_sel:[1,0,0]
	v_mov_b32_e32 v20, v58
	v_pk_fma_f32 v[6:7], v[72:73], v[20:21], v[6:7] op_sel_hi:[0,1,1]
	v_mov_b32_e32 v24, v73
	v_mov_b32_e32 v23, v58
	v_pk_fma_f32 v[6:7], v[24:25], v[22:23], v[6:7] op_sel_hi:[0,1,1]
	v_mov_b32_e32 v20, v54
	v_pk_fma_f32 v[6:7], v[66:67], v[20:21], v[6:7] op_sel_hi:[0,1,1]
	v_mov_b32_e32 v23, v54
	v_pk_fma_f32 v[6:7], v[66:67], v[22:23], v[6:7] op_sel:[1,0,0]
	v_mov_b32_e32 v20, v50
	v_pk_fma_f32 v[6:7], v[68:69], v[20:21], v[6:7] op_sel_hi:[0,1,1]
	v_mov_b32_e32 v23, v50
	v_pk_fma_f32 v[12:13], v[28:29], v[22:23], v[6:7] op_sel_hi:[0,1,1]
	v_mov_b32_e32 v23, v33
	v_pk_fma_f32 v[6:7], v[0:1], v[22:23], v[8:9] op_sel:[1,0,0]
	v_mov_b32_e32 v20, v29
	v_pk_fma_f32 v[6:7], v[2:3], v[20:21], v[6:7] op_sel_hi:[0,1,1]
	v_mov_b32_e32 v23, v29
	v_pk_fma_f32 v[6:7], v[10:11], v[22:23], v[6:7] op_sel_hi:[0,1,1]
	v_mov_b32_e32 v20, v63
	v_pk_fma_f32 v[6:7], v[70:71], v[20:21], v[6:7] op_sel_hi:[0,1,1]
	v_mov_b32_e32 v23, v63
	v_pk_fma_f32 v[6:7], v[70:71], v[22:23], v[6:7] op_sel:[1,0,0]
	v_mov_b32_e32 v20, v59
	v_pk_fma_f32 v[6:7], v[72:73], v[20:21], v[6:7] op_sel_hi:[0,1,1]
	v_mov_b32_e32 v23, v59
	v_pk_fma_f32 v[6:7], v[24:25], v[22:23], v[6:7] op_sel_hi:[0,1,1]
	v_mov_b32_e32 v20, v55
	v_pk_fma_f32 v[6:7], v[66:67], v[20:21], v[6:7] op_sel_hi:[0,1,1]
	v_mov_b32_e32 v23, v55
	v_pk_fma_f32 v[6:7], v[66:67], v[22:23], v[6:7] op_sel:[1,0,0]
	v_mov_b32_e32 v20, v51
	v_pk_fma_f32 v[6:7], v[68:69], v[20:21], v[6:7] op_sel_hi:[0,1,1]
	v_mov_b32_e32 v23, v51
	v_pk_fma_f32 v[16:17], v[28:29], v[22:23], v[6:7] op_sel_hi:[0,1,1]
	v_mov_b32_e32 v23, v34
	v_pk_fma_f32 v[6:7], v[0:1], v[22:23], v[14:15] op_sel:[1,0,0]
	v_mov_b32_e32 v20, v30
	v_pk_fma_f32 v[6:7], v[2:3], v[20:21], v[6:7] op_sel_hi:[0,1,1]
	v_mov_b32_e32 v23, v30
	v_pk_fma_f32 v[6:7], v[10:11], v[22:23], v[6:7] op_sel_hi:[0,1,1]
	v_mov_b32_e32 v20, v64
	v_pk_fma_f32 v[6:7], v[70:71], v[20:21], v[6:7] op_sel_hi:[0,1,1]
	v_mov_b32_e32 v23, v64
	v_pk_fma_f32 v[6:7], v[70:71], v[22:23], v[6:7] op_sel:[1,0,0]
	v_mov_b32_e32 v20, v60
	v_pk_fma_f32 v[6:7], v[72:73], v[20:21], v[6:7] op_sel_hi:[0,1,1]
	;; [unrolled: 22-line block ×3, first 2 shown]
	v_mov_b32_e32 v23, v61
	v_pk_fma_f32 v[0:1], v[24:25], v[22:23], v[0:1] op_sel_hi:[0,1,1]
	v_mov_b32_e32 v20, v57
	v_pk_fma_f32 v[0:1], v[66:67], v[20:21], v[0:1] op_sel_hi:[0,1,1]
	v_mov_b32_e32 v23, v57
	v_pk_fma_f32 v[0:1], v[66:67], v[22:23], v[0:1] op_sel:[1,0,0]
	v_mov_b32_e32 v20, v53
	v_pk_fma_f32 v[0:1], v[68:69], v[20:21], v[0:1] op_sel_hi:[0,1,1]
	v_mov_b32_e32 v23, v53
	v_pk_fma_f32 v[0:1], v[28:29], v[22:23], v[0:1] op_sel_hi:[0,1,1]
	s_andn2_b64 exec, exec, s[10:11]
	s_cbranch_execnz .LBB131_41
; %bb.42:
	s_or_b64 exec, exec, s[10:11]
.LBB131_43:
	s_or_b64 exec, exec, s[8:9]
.LBB131_44:
	s_or_b64 exec, exec, s[2:3]
.LBB131_45:
	v_mov_b32_dpp v8, v17 row_shr:1 row_mask:0xf bank_mask:0xf
	v_add_f32_e32 v8, v17, v8
	v_mov_b32_dpp v2, v12 row_shr:1 row_mask:0xf bank_mask:0xf
	v_add_f32_e32 v2, v12, v2
	;; [unrolled: 2-line block ×4, first 2 shown]
	v_mov_b32_dpp v4, v13 row_shr:1 row_mask:0xf bank_mask:0xf
	v_mov_b32_dpp v6, v16 row_shr:1 row_mask:0xf bank_mask:0xf
	;; [unrolled: 1-line block ×3, first 2 shown]
	v_add_f32_e32 v11, v8, v11
	v_mov_b32_dpp v8, v15 row_shr:1 row_mask:0xf bank_mask:0xf
	v_add_f32_e32 v8, v15, v8
	v_add_f32_e32 v4, v13, v4
	;; [unrolled: 1-line block ×3, first 2 shown]
	v_mov_b32_dpp v12, v8 row_shr:2 row_mask:0xf bank_mask:0xf
	v_add_f32_e32 v15, v8, v12
	v_mov_b32_dpp v8, v0 row_shr:1 row_mask:0xf bank_mask:0xf
	v_add_f32_e32 v0, v0, v8
	v_mov_b32_dpp v3, v2 row_shr:2 row_mask:0xf bank_mask:0xf
	v_mov_b32_dpp v5, v4 row_shr:2 row_mask:0xf bank_mask:0xf
	;; [unrolled: 1-line block ×3, first 2 shown]
	v_add_f32_e32 v0, v0, v8
	v_mov_b32_dpp v7, v6 row_shr:2 row_mask:0xf bank_mask:0xf
	v_mov_b32_dpp v8, v1 row_shr:1 row_mask:0xf bank_mask:0xf
	v_add_f32_e32 v1, v1, v8
	v_add_f32_e32 v2, v2, v3
	;; [unrolled: 1-line block ×3, first 2 shown]
	v_mov_b32_dpp v8, v1 row_shr:2 row_mask:0xf bank_mask:0xf
	v_add_f32_e32 v6, v6, v7
	v_add_f32_e32 v1, v1, v8
	v_mov_b32_dpp v3, v2 row_shr:4 row_mask:0xf bank_mask:0xe
	v_mov_b32_dpp v5, v4 row_shr:4 row_mask:0xf bank_mask:0xe
	;; [unrolled: 1-line block ×8, first 2 shown]
	v_cmp_eq_u32_e32 vcc, 7, v42
	s_and_b64 exec, exec, vcc
	s_cbranch_execz .LBB131_14
; %bb.46:
	s_load_dwordx2 s[2:3], s[4:5], 0x58
	v_add_f32_e32 v14, v4, v5
	v_add_f32_e32 v4, v1, v18
	v_and_b32_e32 v1, 0x7fffffff, v38
	v_cmp_eq_u32_e32 vcc, 0, v1
	v_cmp_eq_f32_e64 s[0:1], 0, v39
	v_add_f32_e32 v8, v2, v3
	v_add_f32_e32 v6, v6, v7
	;; [unrolled: 1-line block ×6, first 2 shown]
	s_and_b64 s[0:1], vcc, s[0:1]
	v_lshlrev_b64 v[16:17], 5, v[40:41]
	s_and_saveexec_b64 s[4:5], s[0:1]
	s_xor_b64 s[0:1], exec, s[4:5]
	s_cbranch_execz .LBB131_48
; %bb.47:
	v_xor_b32_e32 v18, 0x80000000, v37
	v_mov_b32_e32 v19, v36
	v_pk_mul_f32 v[14:15], v[14:15], v[18:19] op_sel_hi:[0,1]
	s_waitcnt lgkmcnt(0)
	v_mov_b32_e32 v1, s3
	v_add_co_u32_e32 v20, vcc, s2, v16
	v_pk_fma_f32 v[14:15], v[36:37], v[8:9], v[14:15] op_sel_hi:[1,0,1]
	v_pk_mul_f32 v[8:9], v[12:13], v[18:19] op_sel_hi:[0,1]
	v_addc_co_u32_e32 v21, vcc, v1, v17, vcc
	v_pk_fma_f32 v[16:17], v[36:37], v[6:7], v[8:9] op_sel_hi:[1,0,1]
	v_pk_mul_f32 v[6:7], v[10:11], v[18:19] op_sel_hi:[0,1]
	v_pk_mul_f32 v[4:5], v[4:5], v[18:19] op_sel_hi:[0,1]
	v_pk_fma_f32 v[2:3], v[36:37], v[2:3], v[6:7] op_sel_hi:[1,0,1]
	v_pk_fma_f32 v[4:5], v[36:37], v[0:1], v[4:5] op_sel_hi:[1,0,1]
	global_store_dwordx4 v[20:21], v[14:17], off
	global_store_dwordx4 v[20:21], v[2:5], off offset:16
                                        ; implicit-def: $vgpr37
                                        ; implicit-def: $vgpr38
                                        ; implicit-def: $vgpr8
                                        ; implicit-def: $vgpr14
                                        ; implicit-def: $vgpr6
                                        ; implicit-def: $vgpr12
                                        ; implicit-def: $vgpr2
                                        ; implicit-def: $vgpr10
                                        ; implicit-def: $vgpr0
                                        ; implicit-def: $vgpr4
                                        ; implicit-def: $vgpr16_vgpr17
.LBB131_48:
	s_andn2_saveexec_b64 s[0:1], s[0:1]
	s_cbranch_execz .LBB131_14
; %bb.49:
	s_waitcnt lgkmcnt(0)
	v_mov_b32_e32 v1, s3
	v_add_co_u32_e32 v24, vcc, s2, v16
	v_addc_co_u32_e32 v25, vcc, v1, v17, vcc
	global_load_dwordx4 v[16:19], v[24:25], off
	global_load_dwordx4 v[20:23], v[24:25], off offset:16
	v_xor_b32_e32 v26, 0x80000000, v37
	v_mov_b32_e32 v27, v36
	v_pk_mul_f32 v[14:15], v[14:15], v[26:27] op_sel_hi:[0,1]
	v_pk_mul_f32 v[12:13], v[12:13], v[26:27] op_sel_hi:[0,1]
	;; [unrolled: 1-line block ×4, first 2 shown]
	v_pk_fma_f32 v[8:9], v[36:37], v[8:9], v[14:15] op_sel_hi:[1,0,1]
	v_pk_fma_f32 v[6:7], v[36:37], v[6:7], v[12:13] op_sel_hi:[1,0,1]
	v_xor_b32_e32 v28, 0x80000000, v39
	v_mov_b32_e32 v29, v38
	v_pk_fma_f32 v[2:3], v[36:37], v[2:3], v[10:11] op_sel_hi:[1,0,1]
	v_pk_fma_f32 v[0:1], v[36:37], v[0:1], v[4:5] op_sel_hi:[1,0,1]
	s_waitcnt vmcnt(1)
	v_pk_fma_f32 v[4:5], v[38:39], v[16:17], v[8:9] op_sel_hi:[1,0,1]
	v_pk_fma_f32 v[6:7], v[38:39], v[18:19], v[6:7] op_sel_hi:[1,0,1]
	v_mov_b32_e32 v8, v19
	s_waitcnt vmcnt(0)
	v_pk_fma_f32 v[10:11], v[38:39], v[20:21], v[2:3] op_sel_hi:[1,0,1]
	v_pk_fma_f32 v[12:13], v[38:39], v[22:23], v[0:1] op_sel_hi:[1,0,1]
	v_mov_b32_e32 v14, v23
	v_pk_fma_f32 v[0:1], v[28:29], v[16:17], v[4:5] op_sel:[0,1,0]
	v_pk_fma_f32 v[2:3], v[28:29], v[8:9], v[6:7] op_sel_hi:[1,0,1]
	v_pk_fma_f32 v[4:5], v[28:29], v[20:21], v[10:11] op_sel:[0,1,0]
	v_pk_fma_f32 v[6:7], v[28:29], v[14:15], v[12:13] op_sel_hi:[1,0,1]
	global_store_dwordx4 v[24:25], v[0:3], off
	global_store_dwordx4 v[24:25], v[4:7], off offset:16
	s_endpgm
	.section	.rodata,"a",@progbits
	.p2align	6, 0x0
	.amdhsa_kernel _ZN9rocsparseL18bsrxmvn_4x4_kernelILj128ELj8E21rocsparse_complex_numIfEllfS2_S2_EEvT3_20rocsparse_direction_NS_24const_host_device_scalarIT1_EES3_PKS3_PKT2_SC_S9_PKT4_PKT5_S7_PT6_21rocsparse_index_base_b
		.amdhsa_group_segment_fixed_size 0
		.amdhsa_private_segment_fixed_size 0
		.amdhsa_kernarg_size 104
		.amdhsa_user_sgpr_count 6
		.amdhsa_user_sgpr_private_segment_buffer 1
		.amdhsa_user_sgpr_dispatch_ptr 0
		.amdhsa_user_sgpr_queue_ptr 0
		.amdhsa_user_sgpr_kernarg_segment_ptr 1
		.amdhsa_user_sgpr_dispatch_id 0
		.amdhsa_user_sgpr_flat_scratch_init 0
		.amdhsa_user_sgpr_kernarg_preload_length 0
		.amdhsa_user_sgpr_kernarg_preload_offset 0
		.amdhsa_user_sgpr_private_segment_size 0
		.amdhsa_uses_dynamic_stack 0
		.amdhsa_system_sgpr_private_segment_wavefront_offset 0
		.amdhsa_system_sgpr_workgroup_id_x 1
		.amdhsa_system_sgpr_workgroup_id_y 0
		.amdhsa_system_sgpr_workgroup_id_z 0
		.amdhsa_system_sgpr_workgroup_info 0
		.amdhsa_system_vgpr_workitem_id 0
		.amdhsa_next_free_vgpr 88
		.amdhsa_next_free_sgpr 20
		.amdhsa_accum_offset 88
		.amdhsa_reserve_vcc 1
		.amdhsa_reserve_flat_scratch 0
		.amdhsa_float_round_mode_32 0
		.amdhsa_float_round_mode_16_64 0
		.amdhsa_float_denorm_mode_32 3
		.amdhsa_float_denorm_mode_16_64 3
		.amdhsa_dx10_clamp 1
		.amdhsa_ieee_mode 1
		.amdhsa_fp16_overflow 0
		.amdhsa_tg_split 0
		.amdhsa_exception_fp_ieee_invalid_op 0
		.amdhsa_exception_fp_denorm_src 0
		.amdhsa_exception_fp_ieee_div_zero 0
		.amdhsa_exception_fp_ieee_overflow 0
		.amdhsa_exception_fp_ieee_underflow 0
		.amdhsa_exception_fp_ieee_inexact 0
		.amdhsa_exception_int_div_zero 0
	.end_amdhsa_kernel
	.section	.text._ZN9rocsparseL18bsrxmvn_4x4_kernelILj128ELj8E21rocsparse_complex_numIfEllfS2_S2_EEvT3_20rocsparse_direction_NS_24const_host_device_scalarIT1_EES3_PKS3_PKT2_SC_S9_PKT4_PKT5_S7_PT6_21rocsparse_index_base_b,"axG",@progbits,_ZN9rocsparseL18bsrxmvn_4x4_kernelILj128ELj8E21rocsparse_complex_numIfEllfS2_S2_EEvT3_20rocsparse_direction_NS_24const_host_device_scalarIT1_EES3_PKS3_PKT2_SC_S9_PKT4_PKT5_S7_PT6_21rocsparse_index_base_b,comdat
.Lfunc_end131:
	.size	_ZN9rocsparseL18bsrxmvn_4x4_kernelILj128ELj8E21rocsparse_complex_numIfEllfS2_S2_EEvT3_20rocsparse_direction_NS_24const_host_device_scalarIT1_EES3_PKS3_PKT2_SC_S9_PKT4_PKT5_S7_PT6_21rocsparse_index_base_b, .Lfunc_end131-_ZN9rocsparseL18bsrxmvn_4x4_kernelILj128ELj8E21rocsparse_complex_numIfEllfS2_S2_EEvT3_20rocsparse_direction_NS_24const_host_device_scalarIT1_EES3_PKS3_PKT2_SC_S9_PKT4_PKT5_S7_PT6_21rocsparse_index_base_b
                                        ; -- End function
	.section	.AMDGPU.csdata,"",@progbits
; Kernel info:
; codeLenInByte = 7096
; NumSgprs: 24
; NumVgprs: 88
; NumAgprs: 0
; TotalNumVgprs: 88
; ScratchSize: 0
; MemoryBound: 0
; FloatMode: 240
; IeeeMode: 1
; LDSByteSize: 0 bytes/workgroup (compile time only)
; SGPRBlocks: 2
; VGPRBlocks: 10
; NumSGPRsForWavesPerEU: 24
; NumVGPRsForWavesPerEU: 88
; AccumOffset: 88
; Occupancy: 5
; WaveLimiterHint : 1
; COMPUTE_PGM_RSRC2:SCRATCH_EN: 0
; COMPUTE_PGM_RSRC2:USER_SGPR: 6
; COMPUTE_PGM_RSRC2:TRAP_HANDLER: 0
; COMPUTE_PGM_RSRC2:TGID_X_EN: 1
; COMPUTE_PGM_RSRC2:TGID_Y_EN: 0
; COMPUTE_PGM_RSRC2:TGID_Z_EN: 0
; COMPUTE_PGM_RSRC2:TIDIG_COMP_CNT: 0
; COMPUTE_PGM_RSRC3_GFX90A:ACCUM_OFFSET: 21
; COMPUTE_PGM_RSRC3_GFX90A:TG_SPLIT: 0
	.section	.text._ZN9rocsparseL18bsrxmvn_4x4_kernelILj128ELj16E21rocsparse_complex_numIfEllfS2_S2_EEvT3_20rocsparse_direction_NS_24const_host_device_scalarIT1_EES3_PKS3_PKT2_SC_S9_PKT4_PKT5_S7_PT6_21rocsparse_index_base_b,"axG",@progbits,_ZN9rocsparseL18bsrxmvn_4x4_kernelILj128ELj16E21rocsparse_complex_numIfEllfS2_S2_EEvT3_20rocsparse_direction_NS_24const_host_device_scalarIT1_EES3_PKS3_PKT2_SC_S9_PKT4_PKT5_S7_PT6_21rocsparse_index_base_b,comdat
	.globl	_ZN9rocsparseL18bsrxmvn_4x4_kernelILj128ELj16E21rocsparse_complex_numIfEllfS2_S2_EEvT3_20rocsparse_direction_NS_24const_host_device_scalarIT1_EES3_PKS3_PKT2_SC_S9_PKT4_PKT5_S7_PT6_21rocsparse_index_base_b ; -- Begin function _ZN9rocsparseL18bsrxmvn_4x4_kernelILj128ELj16E21rocsparse_complex_numIfEllfS2_S2_EEvT3_20rocsparse_direction_NS_24const_host_device_scalarIT1_EES3_PKS3_PKT2_SC_S9_PKT4_PKT5_S7_PT6_21rocsparse_index_base_b
	.p2align	8
	.type	_ZN9rocsparseL18bsrxmvn_4x4_kernelILj128ELj16E21rocsparse_complex_numIfEllfS2_S2_EEvT3_20rocsparse_direction_NS_24const_host_device_scalarIT1_EES3_PKS3_PKT2_SC_S9_PKT4_PKT5_S7_PT6_21rocsparse_index_base_b,@function
_ZN9rocsparseL18bsrxmvn_4x4_kernelILj128ELj16E21rocsparse_complex_numIfEllfS2_S2_EEvT3_20rocsparse_direction_NS_24const_host_device_scalarIT1_EES3_PKS3_PKT2_SC_S9_PKT4_PKT5_S7_PT6_21rocsparse_index_base_b: ; @_ZN9rocsparseL18bsrxmvn_4x4_kernelILj128ELj16E21rocsparse_complex_numIfEllfS2_S2_EEvT3_20rocsparse_direction_NS_24const_host_device_scalarIT1_EES3_PKS3_PKT2_SC_S9_PKT4_PKT5_S7_PT6_21rocsparse_index_base_b
; %bb.0:
	s_load_dwordx2 s[16:17], s[4:5], 0x60
	s_load_dwordx4 s[8:11], s[4:5], 0x10
	s_load_dwordx2 s[2:3], s[4:5], 0x50
	s_waitcnt lgkmcnt(0)
	s_bitcmp1_b32 s17, 0
	s_cselect_b64 s[0:1], -1, 0
	s_xor_b64 s[12:13], s[0:1], -1
	s_and_b64 vcc, exec, s[0:1]
	v_mov_b32_e32 v36, s8
	s_cbranch_vccnz .LBB132_2
; %bb.1:
	v_pk_mov_b32 v[2:3], s[8:9], s[8:9] op_sel:[0,1]
	flat_load_dword v36, v[2:3]
.LBB132_2:
	v_cndmask_b32_e64 v1, 0, 1, s[12:13]
	v_cmp_ne_u32_e64 s[0:1], 1, v1
	s_andn2_b64 vcc, exec, s[12:13]
	v_mov_b32_e32 v37, s9
	s_cbranch_vccz .LBB132_15
; %bb.3:
	s_and_b64 vcc, exec, s[0:1]
	v_mov_b32_e32 v38, s2
	s_cbranch_vccz .LBB132_16
.LBB132_4:
	s_and_b64 vcc, exec, s[0:1]
	v_mov_b32_e32 v39, s3
	s_cbranch_vccnz .LBB132_6
.LBB132_5:
	v_pk_mov_b32 v[2:3], s[2:3], s[2:3] op_sel:[0,1]
	flat_load_dword v39, v[2:3] offset:4
.LBB132_6:
	s_waitcnt vmcnt(0) lgkmcnt(0)
	v_and_b32_e32 v1, 0x7fffffff, v36
	v_cmp_eq_u32_e32 vcc, 0, v1
	v_cmp_eq_f32_e64 s[0:1], 0, v37
	s_and_b64 s[8:9], vcc, s[0:1]
	s_mov_b64 s[0:1], -1
	s_and_saveexec_b64 s[2:3], s[8:9]
; %bb.7:
	v_and_b32_e32 v1, 0x7fffffff, v39
	v_cmp_neq_f32_e32 vcc, 1.0, v38
	v_cmp_ne_u32_e64 s[0:1], 0, v1
	s_or_b64 s[0:1], vcc, s[0:1]
	s_orn2_b64 s[0:1], s[0:1], exec
; %bb.8:
	s_or_b64 exec, exec, s[2:3]
	s_and_saveexec_b64 s[2:3], s[0:1]
	s_cbranch_execz .LBB132_14
; %bb.9:
	s_load_dwordx2 s[2:3], s[4:5], 0x20
	v_lshrrev_b32_e32 v1, 4, v0
	v_lshl_or_b32 v2, s6, 3, v1
	v_mov_b32_e32 v3, 0
	s_mov_b64 s[0:1], 0
	s_waitcnt lgkmcnt(0)
	s_cmp_lg_u64 s[2:3], 0
	s_cbranch_scc0 .LBB132_17
; %bb.10:
	v_cmp_gt_i64_e32 vcc, s[10:11], v[2:3]
                                        ; implicit-def: $vgpr40_vgpr41
	s_and_saveexec_b64 s[6:7], vcc
	s_xor_b64 s[6:7], exec, s[6:7]
                                        ; implicit-def: $sgpr18_sgpr19
	s_cbranch_execz .LBB132_12
; %bb.11:
	v_lshlrev_b64 v[4:5], 3, v[2:3]
	v_mov_b32_e32 v1, s3
	v_add_co_u32_e32 v4, vcc, s2, v4
	v_addc_co_u32_e32 v5, vcc, v1, v5, vcc
	global_load_dwordx2 v[4:5], v[4:5], off
	s_mov_b64 s[0:1], exec
	s_mov_b32 s19, 0
	s_waitcnt vmcnt(0)
	v_subrev_co_u32_e32 v40, vcc, s16, v4
	v_subbrev_co_u32_e32 v41, vcc, 0, v5, vcc
.LBB132_12:
	s_or_b64 exec, exec, s[6:7]
.LBB132_13:
	s_and_b64 exec, exec, s[0:1]
	s_cbranch_execnz .LBB132_21
.LBB132_14:
	s_endpgm
.LBB132_15:
	v_pk_mov_b32 v[2:3], s[8:9], s[8:9] op_sel:[0,1]
	flat_load_dword v37, v[2:3] offset:4
	s_and_b64 vcc, exec, s[0:1]
	v_mov_b32_e32 v38, s2
	s_cbranch_vccnz .LBB132_4
.LBB132_16:
	v_pk_mov_b32 v[2:3], s[2:3], s[2:3] op_sel:[0,1]
	flat_load_dword v38, v[2:3]
	s_and_b64 vcc, exec, s[0:1]
	v_mov_b32_e32 v39, s3
	s_cbranch_vccz .LBB132_5
	s_branch .LBB132_6
.LBB132_17:
                                        ; implicit-def: $vgpr40_vgpr41
                                        ; implicit-def: $sgpr18_sgpr19
	s_cbranch_execz .LBB132_13
; %bb.18:
	s_load_dwordx2 s[2:3], s[4:5], 0x0
                                        ; implicit-def: $vgpr40_vgpr41
	s_waitcnt lgkmcnt(0)
	v_cmp_gt_i64_e32 vcc, s[2:3], v[2:3]
	s_and_saveexec_b64 s[2:3], vcc
                                        ; implicit-def: $sgpr18_sgpr19
; %bb.19:
	s_mov_b32 s19, 0
	s_or_b64 s[0:1], s[0:1], exec
	v_pk_mov_b32 v[40:41], v[2:3], v[2:3] op_sel:[0,1]
; %bb.20:
	s_or_b64 exec, exec, s[2:3]
	s_and_b64 exec, exec, s[0:1]
	s_cbranch_execz .LBB132_14
.LBB132_21:
	s_load_dwordx8 s[8:15], s[4:5], 0x28
	v_lshlrev_b64 v[2:3], 3, v[40:41]
	v_and_b32_e32 v42, 15, v0
	v_mov_b32_e32 v0, s19
	v_mov_b32_e32 v17, 0
	s_waitcnt lgkmcnt(0)
	v_mov_b32_e32 v1, s9
	v_add_co_u32_e32 v4, vcc, s8, v2
	v_addc_co_u32_e32 v5, vcc, v1, v3, vcc
	v_add_co_u32_e32 v1, vcc, 8, v4
	global_load_dwordx2 v[50:51], v[4:5], off
	v_addc_co_u32_e32 v4, vcc, 0, v5, vcc
	v_mov_b32_e32 v5, s11
	v_add_co_u32_e32 v2, vcc, s10, v2
	s_cmp_eq_u64 s[10:11], 0
	v_addc_co_u32_e32 v3, vcc, v5, v3, vcc
	s_cselect_b64 vcc, -1, 0
	v_cndmask_b32_e32 v3, v3, v4, vcc
	v_cndmask_b32_e32 v2, v2, v1, vcc
	global_load_dwordx2 v[2:3], v[2:3], off
	s_load_dwordx2 s[6:7], s[4:5], 0x48
	s_load_dword s0, s[4:5], 0x8
	v_mov_b32_e32 v4, s15
	s_waitcnt lgkmcnt(0)
	s_cmp_eq_u32 s0, 1
	s_waitcnt vmcnt(1)
	v_subrev_co_u32_e32 v1, vcc, s16, v50
	v_subb_co_u32_e32 v5, vcc, v51, v0, vcc
	v_add_co_u32_e32 v44, vcc, v1, v42
	v_addc_co_u32_e32 v45, vcc, 0, v5, vcc
	s_waitcnt vmcnt(0)
	v_subrev_co_u32_e32 v46, vcc, s16, v2
	v_subb_co_u32_e32 v47, vcc, v3, v0, vcc
	v_lshlrev_b64 v[0:1], 6, v[44:45]
	v_add_co_u32_e32 v48, vcc, s14, v0
	v_addc_co_u32_e32 v49, vcc, v4, v1, vcc
	v_cmp_lt_i64_e64 s[0:1], v[44:45], v[46:47]
	s_cbranch_scc1 .LBB132_33
; %bb.22:
	v_mov_b32_e32 v16, 0
	v_mov_b32_e32 v15, 0
	;; [unrolled: 1-line block ×7, first 2 shown]
	s_and_saveexec_b64 s[8:9], s[0:1]
	s_cbranch_execz .LBB132_32
; %bb.23:
	v_or_b32_e32 v0, 16, v42
	v_mov_b32_e32 v1, s19
	v_subrev_co_u32_e32 v0, vcc, s16, v0
	v_subb_co_u32_e32 v1, vcc, 0, v1, vcc
	v_add_co_u32_e32 v0, vcc, v0, v50
	v_addc_co_u32_e32 v1, vcc, v1, v51, vcc
	v_cmp_gt_i64_e32 vcc, v[0:1], v[46:47]
	v_cndmask_b32_e32 v1, v47, v1, vcc
	v_cndmask_b32_e32 v0, v46, v0, vcc
	v_mov_b32_e32 v4, s19
	v_sub_co_u32_e32 v5, vcc, s16, v42
	v_not_b32_e32 v3, v50
	v_subbrev_co_u32_e32 v4, vcc, 0, v4, vcc
	v_not_b32_e32 v2, v51
	v_add_co_u32_e32 v3, vcc, v5, v3
	v_addc_co_u32_e32 v4, vcc, v4, v2, vcc
	v_add_co_u32_e32 v2, vcc, v3, v0
	v_lshrrev_b32_e32 v0, 4, v2
	v_add_u32_e32 v0, 1, v0
	v_addc_co_u32_e32 v3, vcc, v4, v1, vcc
	v_and_b32_e32 v4, 3, v0
	v_mov_b32_e32 v0, 0
	v_cmp_ne_u32_e32 vcc, 0, v4
	v_mov_b32_e32 v1, v0
	v_mov_b32_e32 v12, v0
	;; [unrolled: 1-line block ×7, first 2 shown]
	v_pk_mov_b32 v[52:53], v[48:49], v[48:49] op_sel:[0,1]
	v_pk_mov_b32 v[54:55], v[44:45], v[44:45] op_sel:[0,1]
	s_and_saveexec_b64 s[10:11], vcc
	s_cbranch_execz .LBB132_27
; %bb.24:
	v_lshlrev_b64 v[0:1], 3, v[44:45]
	v_mov_b32_e32 v5, 0
	v_mov_b32_e32 v7, s13
	v_add_co_u32_e32 v6, vcc, s12, v0
	v_lshlrev_b32_e32 v4, 3, v4
	v_addc_co_u32_e32 v7, vcc, v7, v1, vcc
	s_mov_b64 s[14:15], 0
	s_movk_i32 s17, 0x400
	v_mov_b32_e32 v18, s19
	v_mov_b32_e32 v19, s7
	v_bfrev_b32_e32 v8, 1
	v_pk_mov_b32 v[10:11], v[4:5], v[4:5] op_sel:[0,1]
	v_pk_mov_b32 v[54:55], v[44:45], v[44:45] op_sel:[0,1]
	;; [unrolled: 1-line block ×3, first 2 shown]
	v_mov_b32_e32 v0, v5
	v_mov_b32_e32 v1, v5
	;; [unrolled: 1-line block ×8, first 2 shown]
.LBB132_25:                             ; =>This Inner Loop Header: Depth=1
	global_load_dwordx2 v[28:29], v[6:7], off
	global_load_dwordx4 v[20:23], v[52:53], off offset:16
	global_load_dwordx4 v[24:27], v[52:53], off
	v_add_co_u32_e64 v54, s[2:3], 16, v54
	v_addc_co_u32_e64 v55, s[2:3], 0, v55, s[2:3]
	v_add_co_u32_e64 v10, s[2:3], -8, v10
	v_addc_co_u32_e64 v11, s[2:3], -1, v11, s[2:3]
	v_cmp_eq_u64_e64 s[2:3], 0, v[10:11]
	s_or_b64 s[14:15], s[2:3], s[14:15]
	s_waitcnt vmcnt(2)
	v_subrev_co_u32_e32 v28, vcc, s16, v28
	v_subb_co_u32_e32 v29, vcc, v29, v18, vcc
	v_lshlrev_b64 v[28:29], 5, v[28:29]
	v_add_co_u32_e32 v64, vcc, s6, v28
	v_addc_co_u32_e32 v65, vcc, v19, v29, vcc
	global_load_dwordx4 v[28:31], v[64:65], off
	global_load_dwordx4 v[32:35], v[64:65], off offset:16
	global_load_dwordx4 v[56:59], v[52:53], off offset:32
	;; [unrolled: 1-line block ×3, first 2 shown]
	s_waitcnt vmcnt(4)
	v_mov_b32_e32 v4, v24
	v_mov_b32_e32 v9, v24
	v_add_co_u32_e32 v52, vcc, s17, v52
	v_addc_co_u32_e32 v53, vcc, 0, v53, vcc
	v_add_co_u32_e32 v6, vcc, 0x80, v6
	v_addc_co_u32_e32 v7, vcc, 0, v7, vcc
	s_waitcnt vmcnt(3)
	v_pk_fma_f32 v[16:17], v[28:29], v[4:5], v[16:17] op_sel_hi:[0,1,1]
	v_mov_b32_e32 v4, v25
	v_pk_fma_f32 v[16:17], v[28:29], v[8:9], v[16:17] op_sel:[1,0,0]
	v_mov_b32_e32 v24, v31
	v_mov_b32_e32 v9, v25
	v_pk_fma_f32 v[16:17], v[30:31], v[4:5], v[16:17] op_sel_hi:[0,1,1]
	v_mov_b32_e32 v4, v26
	v_pk_fma_f32 v[16:17], v[24:25], v[8:9], v[16:17] op_sel_hi:[0,1,1]
	v_mov_b32_e32 v9, v26
	s_waitcnt vmcnt(2)
	v_pk_fma_f32 v[16:17], v[32:33], v[4:5], v[16:17] op_sel_hi:[0,1,1]
	v_mov_b32_e32 v4, v27
	v_pk_fma_f32 v[16:17], v[32:33], v[8:9], v[16:17] op_sel:[1,0,0]
	v_mov_b32_e32 v64, v35
	v_mov_b32_e32 v9, v27
	v_pk_fma_f32 v[16:17], v[34:35], v[4:5], v[16:17] op_sel_hi:[0,1,1]
	v_mov_b32_e32 v4, v20
	v_pk_fma_f32 v[16:17], v[64:65], v[8:9], v[16:17] op_sel_hi:[0,1,1]
	v_pk_fma_f32 v[14:15], v[28:29], v[4:5], v[14:15] op_sel_hi:[0,1,1]
	v_mov_b32_e32 v9, v20
	v_mov_b32_e32 v4, v21
	v_pk_fma_f32 v[14:15], v[28:29], v[8:9], v[14:15] op_sel:[1,0,0]
	v_mov_b32_e32 v9, v21
	v_pk_fma_f32 v[14:15], v[30:31], v[4:5], v[14:15] op_sel_hi:[0,1,1]
	v_mov_b32_e32 v4, v22
	v_pk_fma_f32 v[14:15], v[24:25], v[8:9], v[14:15] op_sel_hi:[0,1,1]
	;; [unrolled: 2-line block ×3, first 2 shown]
	v_mov_b32_e32 v4, v23
	v_pk_fma_f32 v[14:15], v[32:33], v[8:9], v[14:15] op_sel:[1,0,0]
	v_mov_b32_e32 v9, v23
	v_pk_fma_f32 v[14:15], v[34:35], v[4:5], v[14:15] op_sel_hi:[0,1,1]
	s_waitcnt vmcnt(1)
	v_mov_b32_e32 v4, v56
	v_pk_fma_f32 v[14:15], v[64:65], v[8:9], v[14:15] op_sel_hi:[0,1,1]
	v_pk_fma_f32 v[12:13], v[28:29], v[4:5], v[12:13] op_sel_hi:[0,1,1]
	v_mov_b32_e32 v9, v56
	v_mov_b32_e32 v4, v57
	v_pk_fma_f32 v[12:13], v[28:29], v[8:9], v[12:13] op_sel:[1,0,0]
	v_mov_b32_e32 v9, v57
	v_pk_fma_f32 v[12:13], v[30:31], v[4:5], v[12:13] op_sel_hi:[0,1,1]
	v_mov_b32_e32 v4, v58
	v_pk_fma_f32 v[12:13], v[24:25], v[8:9], v[12:13] op_sel_hi:[0,1,1]
	;; [unrolled: 2-line block ×3, first 2 shown]
	v_mov_b32_e32 v4, v59
	v_pk_fma_f32 v[12:13], v[32:33], v[8:9], v[12:13] op_sel:[1,0,0]
	v_mov_b32_e32 v9, v59
	v_pk_fma_f32 v[12:13], v[34:35], v[4:5], v[12:13] op_sel_hi:[0,1,1]
	s_waitcnt vmcnt(0)
	v_mov_b32_e32 v4, v60
	v_pk_fma_f32 v[12:13], v[64:65], v[8:9], v[12:13] op_sel_hi:[0,1,1]
	v_pk_fma_f32 v[0:1], v[28:29], v[4:5], v[0:1] op_sel_hi:[0,1,1]
	v_mov_b32_e32 v9, v60
	v_mov_b32_e32 v4, v61
	v_pk_fma_f32 v[0:1], v[28:29], v[8:9], v[0:1] op_sel:[1,0,0]
	v_mov_b32_e32 v9, v61
	v_pk_fma_f32 v[0:1], v[30:31], v[4:5], v[0:1] op_sel_hi:[0,1,1]
	v_mov_b32_e32 v4, v62
	v_pk_fma_f32 v[0:1], v[24:25], v[8:9], v[0:1] op_sel_hi:[0,1,1]
	;; [unrolled: 2-line block ×3, first 2 shown]
	v_mov_b32_e32 v4, v63
	v_pk_fma_f32 v[0:1], v[32:33], v[8:9], v[0:1] op_sel:[1,0,0]
	v_mov_b32_e32 v9, v63
	v_pk_fma_f32 v[0:1], v[34:35], v[4:5], v[0:1] op_sel_hi:[0,1,1]
	v_pk_fma_f32 v[0:1], v[64:65], v[8:9], v[0:1] op_sel_hi:[0,1,1]
	s_andn2_b64 exec, exec, s[14:15]
	s_cbranch_execnz .LBB132_25
; %bb.26:
	s_or_b64 exec, exec, s[14:15]
.LBB132_27:
	s_or_b64 exec, exec, s[10:11]
	v_cmp_lt_u64_e32 vcc, 47, v[2:3]
	s_and_saveexec_b64 s[10:11], vcc
	s_cbranch_execz .LBB132_31
; %bb.28:
	v_lshlrev_b64 v[2:3], 3, v[54:55]
	v_mov_b32_e32 v4, s13
	v_add_co_u32_e32 v2, vcc, s12, v2
	v_addc_co_u32_e32 v3, vcc, v3, v4, vcc
	v_add_co_u32_e32 v56, vcc, 0x100, v2
	v_addc_co_u32_e32 v57, vcc, 0, v3, vcc
	s_mov_b64 s[14:15], 0
	v_mov_b32_e32 v43, s19
	v_mov_b32_e32 v68, s7
	;; [unrolled: 1-line block ×3, first 2 shown]
	v_bfrev_b32_e32 v60, 1
.LBB132_29:                             ; =>This Inner Loop Header: Depth=1
	global_load_dwordx2 v[2:3], v[56:57], off offset:-256
	s_waitcnt vmcnt(0)
	v_subrev_co_u32_e32 v10, vcc, s16, v2
	v_subb_co_u32_e32 v11, vcc, v3, v43, vcc
	v_lshlrev_b64 v[10:11], 5, v[10:11]
	v_add_co_u32_e32 v10, vcc, s6, v10
	v_addc_co_u32_e32 v11, vcc, v68, v11, vcc
	global_load_dwordx4 v[2:5], v[52:53], off offset:48
	global_load_dwordx4 v[6:9], v[52:53], off offset:32
	;; [unrolled: 1-line block ×3, first 2 shown]
	global_load_dwordx4 v[70:73], v[52:53], off
	global_load_dwordx4 v[74:77], v[10:11], off offset:16
	global_load_dwordx4 v[78:81], v[10:11], off
	global_load_dwordx2 v[18:19], v[56:57], off offset:-128
	global_load_dwordx4 v[20:23], v[52:53], off offset:1072
	global_load_dwordx4 v[32:35], v[52:53], off offset:1056
	;; [unrolled: 1-line block ×4, first 2 shown]
	s_waitcnt vmcnt(7)
	v_mov_b32_e32 v58, v70
	s_waitcnt vmcnt(4)
	v_subrev_co_u32_e32 v10, vcc, s16, v18
	v_subb_co_u32_e32 v11, vcc, v19, v43, vcc
	v_lshlrev_b64 v[10:11], 5, v[10:11]
	v_add_co_u32_e32 v10, vcc, s6, v10
	v_addc_co_u32_e32 v11, vcc, v68, v11, vcc
	global_load_dwordx4 v[24:27], v[10:11], off offset:16
	global_load_dwordx4 v[28:31], v[10:11], off
	v_pk_fma_f32 v[10:11], v[78:79], v[58:59], v[16:17] op_sel_hi:[0,1,1]
	v_mov_b32_e32 v61, v70
	v_pk_fma_f32 v[10:11], v[78:79], v[60:61], v[10:11] op_sel:[1,0,0]
	v_mov_b32_e32 v58, v71
	v_pk_fma_f32 v[10:11], v[80:81], v[58:59], v[10:11] op_sel_hi:[0,1,1]
	v_mov_b32_e32 v16, v81
	v_mov_b32_e32 v61, v71
	v_pk_fma_f32 v[10:11], v[16:17], v[60:61], v[10:11] op_sel_hi:[0,1,1]
	v_mov_b32_e32 v58, v72
	v_pk_fma_f32 v[10:11], v[74:75], v[58:59], v[10:11] op_sel_hi:[0,1,1]
	v_mov_b32_e32 v61, v72
	v_pk_fma_f32 v[10:11], v[74:75], v[60:61], v[10:11] op_sel:[1,0,0]
	v_mov_b32_e32 v58, v73
	v_pk_fma_f32 v[10:11], v[76:77], v[58:59], v[10:11] op_sel_hi:[0,1,1]
	v_mov_b32_e32 v18, v77
	v_mov_b32_e32 v61, v73
	v_pk_fma_f32 v[10:11], v[18:19], v[60:61], v[10:11] op_sel_hi:[0,1,1]
	s_waitcnt vmcnt(2)
	v_mov_b32_e32 v58, v86
	v_mov_b32_e32 v61, v86
	s_waitcnt vmcnt(0)
	v_pk_fma_f32 v[10:11], v[28:29], v[58:59], v[10:11] op_sel_hi:[0,1,1]
	v_mov_b32_e32 v58, v62
	v_pk_fma_f32 v[66:67], v[28:29], v[60:61], v[10:11] op_sel:[1,0,0]
	v_pk_fma_f32 v[10:11], v[78:79], v[58:59], v[14:15] op_sel_hi:[0,1,1]
	v_mov_b32_e32 v61, v62
	v_pk_fma_f32 v[10:11], v[78:79], v[60:61], v[10:11] op_sel:[1,0,0]
	v_mov_b32_e32 v58, v63
	v_pk_fma_f32 v[10:11], v[80:81], v[58:59], v[10:11] op_sel_hi:[0,1,1]
	v_mov_b32_e32 v61, v63
	v_pk_fma_f32 v[10:11], v[16:17], v[60:61], v[10:11] op_sel_hi:[0,1,1]
	v_mov_b32_e32 v58, v64
	v_pk_fma_f32 v[10:11], v[74:75], v[58:59], v[10:11] op_sel_hi:[0,1,1]
	v_mov_b32_e32 v61, v64
	v_pk_fma_f32 v[10:11], v[74:75], v[60:61], v[10:11] op_sel:[1,0,0]
	v_mov_b32_e32 v58, v65
	v_pk_fma_f32 v[10:11], v[76:77], v[58:59], v[10:11] op_sel_hi:[0,1,1]
	v_mov_b32_e32 v61, v65
	v_pk_fma_f32 v[10:11], v[18:19], v[60:61], v[10:11] op_sel_hi:[0,1,1]
	v_mov_b32_e32 v58, v82
	v_pk_fma_f32 v[10:11], v[28:29], v[58:59], v[10:11] op_sel_hi:[0,1,1]
	v_mov_b32_e32 v61, v82
	v_mov_b32_e32 v58, v6
	v_pk_fma_f32 v[64:65], v[28:29], v[60:61], v[10:11] op_sel:[1,0,0]
	v_pk_fma_f32 v[10:11], v[78:79], v[58:59], v[12:13] op_sel_hi:[0,1,1]
	v_mov_b32_e32 v61, v6
	v_pk_fma_f32 v[10:11], v[78:79], v[60:61], v[10:11] op_sel:[1,0,0]
	v_mov_b32_e32 v58, v7
	v_pk_fma_f32 v[10:11], v[80:81], v[58:59], v[10:11] op_sel_hi:[0,1,1]
	v_mov_b32_e32 v61, v7
	v_pk_fma_f32 v[6:7], v[16:17], v[60:61], v[10:11] op_sel_hi:[0,1,1]
	v_mov_b32_e32 v58, v8
	v_pk_fma_f32 v[6:7], v[74:75], v[58:59], v[6:7] op_sel_hi:[0,1,1]
	v_mov_b32_e32 v61, v8
	v_pk_fma_f32 v[6:7], v[74:75], v[60:61], v[6:7] op_sel:[1,0,0]
	v_mov_b32_e32 v58, v9
	v_pk_fma_f32 v[6:7], v[76:77], v[58:59], v[6:7] op_sel_hi:[0,1,1]
	v_mov_b32_e32 v61, v9
	v_pk_fma_f32 v[6:7], v[18:19], v[60:61], v[6:7] op_sel_hi:[0,1,1]
	v_mov_b32_e32 v58, v32
	v_pk_fma_f32 v[6:7], v[28:29], v[58:59], v[6:7] op_sel_hi:[0,1,1]
	v_mov_b32_e32 v61, v32
	;; [unrolled: 20-line block ×3, first 2 shown]
	v_pk_fma_f32 v[28:29], v[28:29], v[60:61], v[0:1] op_sel:[1,0,0]
	global_load_dwordx2 v[0:1], v[56:57], off
	v_mov_b32_e32 v58, v87
	v_pk_fma_f32 v[66:67], v[30:31], v[58:59], v[66:67] op_sel_hi:[0,1,1]
	v_mov_b32_e32 v20, v31
	v_mov_b32_e32 v61, v87
	v_pk_fma_f32 v[66:67], v[20:21], v[60:61], v[66:67] op_sel_hi:[0,1,1]
	v_mov_b32_e32 v58, v88
	v_pk_fma_f32 v[66:67], v[24:25], v[58:59], v[66:67] op_sel_hi:[0,1,1]
	v_mov_b32_e32 v61, v88
	v_pk_fma_f32 v[66:67], v[24:25], v[60:61], v[66:67] op_sel:[1,0,0]
	v_mov_b32_e32 v58, v89
	v_pk_fma_f32 v[66:67], v[26:27], v[58:59], v[66:67] op_sel_hi:[0,1,1]
	v_mov_b32_e32 v32, v27
	v_mov_b32_e32 v61, v89
	v_pk_fma_f32 v[66:67], v[32:33], v[60:61], v[66:67] op_sel_hi:[0,1,1]
	s_waitcnt vmcnt(0)
	v_subrev_co_u32_e32 v4, vcc, s16, v0
	v_subb_co_u32_e32 v5, vcc, v1, v43, vcc
	v_lshlrev_b64 v[4:5], 5, v[4:5]
	v_add_co_u32_e32 v74, vcc, s6, v4
	global_load_dwordx4 v[0:3], v[52:53], off offset:2096
	global_load_dwordx4 v[8:11], v[52:53], off offset:2080
	;; [unrolled: 1-line block ×4, first 2 shown]
	v_addc_co_u32_e32 v75, vcc, v68, v5, vcc
	global_load_dwordx4 v[4:7], v[74:75], off offset:16
	global_load_dwordx4 v[70:73], v[74:75], off
	s_waitcnt vmcnt(2)
	v_mov_b32_e32 v58, v16
	v_mov_b32_e32 v61, v16
	s_waitcnt vmcnt(0)
	v_pk_fma_f32 v[66:67], v[70:71], v[58:59], v[66:67] op_sel_hi:[0,1,1]
	v_pk_fma_f32 v[66:67], v[70:71], v[60:61], v[66:67] op_sel:[1,0,0]
	v_mov_b32_e32 v58, v17
	v_pk_fma_f32 v[66:67], v[72:73], v[58:59], v[66:67] op_sel_hi:[0,1,1]
	v_mov_b32_e32 v74, v73
	v_mov_b32_e32 v61, v17
	v_pk_fma_f32 v[16:17], v[74:75], v[60:61], v[66:67] op_sel_hi:[0,1,1]
	v_mov_b32_e32 v58, v18
	v_pk_fma_f32 v[16:17], v[4:5], v[58:59], v[16:17] op_sel_hi:[0,1,1]
	v_mov_b32_e32 v58, v83
	v_pk_fma_f32 v[64:65], v[30:31], v[58:59], v[64:65] op_sel_hi:[0,1,1]
	v_mov_b32_e32 v61, v83
	v_pk_fma_f32 v[64:65], v[20:21], v[60:61], v[64:65] op_sel_hi:[0,1,1]
	v_mov_b32_e32 v58, v84
	v_pk_fma_f32 v[64:65], v[24:25], v[58:59], v[64:65] op_sel_hi:[0,1,1]
	v_mov_b32_e32 v61, v84
	v_pk_fma_f32 v[64:65], v[24:25], v[60:61], v[64:65] op_sel:[1,0,0]
	v_mov_b32_e32 v58, v85
	v_pk_fma_f32 v[64:65], v[26:27], v[58:59], v[64:65] op_sel_hi:[0,1,1]
	v_mov_b32_e32 v61, v85
	v_pk_fma_f32 v[64:65], v[32:33], v[60:61], v[64:65] op_sel_hi:[0,1,1]
	v_mov_b32_e32 v58, v12
	v_pk_fma_f32 v[64:65], v[70:71], v[58:59], v[64:65] op_sel_hi:[0,1,1]
	v_mov_b32_e32 v61, v12
	v_pk_fma_f32 v[64:65], v[70:71], v[60:61], v[64:65] op_sel:[1,0,0]
	v_mov_b32_e32 v58, v13
	v_pk_fma_f32 v[64:65], v[72:73], v[58:59], v[64:65] op_sel_hi:[0,1,1]
	v_mov_b32_e32 v61, v13
	v_pk_fma_f32 v[12:13], v[74:75], v[60:61], v[64:65] op_sel_hi:[0,1,1]
	v_mov_b32_e32 v58, v14
	v_pk_fma_f32 v[12:13], v[4:5], v[58:59], v[12:13] op_sel_hi:[0,1,1]
	v_mov_b32_e32 v58, v33
	v_pk_fma_f32 v[62:63], v[30:31], v[58:59], v[62:63] op_sel_hi:[0,1,1]
	v_mov_b32_e32 v61, v33
	v_pk_fma_f32 v[62:63], v[20:21], v[60:61], v[62:63] op_sel_hi:[0,1,1]
	v_mov_b32_e32 v58, v34
	v_pk_fma_f32 v[62:63], v[24:25], v[58:59], v[62:63] op_sel_hi:[0,1,1]
	v_mov_b32_e32 v61, v34
	v_pk_fma_f32 v[62:63], v[24:25], v[60:61], v[62:63] op_sel:[1,0,0]
	v_mov_b32_e32 v58, v35
	v_pk_fma_f32 v[62:63], v[26:27], v[58:59], v[62:63] op_sel_hi:[0,1,1]
	v_mov_b32_e32 v61, v35
	v_pk_fma_f32 v[34:35], v[32:33], v[60:61], v[62:63] op_sel_hi:[0,1,1]
	v_mov_b32_e32 v58, v8
	v_pk_fma_f32 v[34:35], v[70:71], v[58:59], v[34:35] op_sel_hi:[0,1,1]
	v_mov_b32_e32 v61, v8
	v_pk_fma_f32 v[34:35], v[70:71], v[60:61], v[34:35] op_sel:[1,0,0]
	v_mov_b32_e32 v58, v9
	v_pk_fma_f32 v[34:35], v[72:73], v[58:59], v[34:35] op_sel_hi:[0,1,1]
	;; [unrolled: 22-line block ×3, first 2 shown]
	v_mov_b32_e32 v61, v1
	v_pk_fma_f32 v[0:1], v[74:75], v[60:61], v[20:21] op_sel_hi:[0,1,1]
	global_load_dwordx2 v[20:21], v[56:57], off offset:128
	v_mov_b32_e32 v58, v2
	v_mov_b32_e32 v61, v18
	v_pk_fma_f32 v[0:1], v[4:5], v[58:59], v[0:1] op_sel_hi:[0,1,1]
	v_pk_fma_f32 v[16:17], v[4:5], v[60:61], v[16:17] op_sel:[1,0,0]
	v_mov_b32_e32 v58, v19
	v_pk_fma_f32 v[16:17], v[6:7], v[58:59], v[16:17] op_sel_hi:[0,1,1]
	v_mov_b32_e32 v18, v7
	v_mov_b32_e32 v61, v19
	v_pk_fma_f32 v[16:17], v[18:19], v[60:61], v[16:17] op_sel_hi:[0,1,1]
	s_waitcnt vmcnt(0)
	v_subrev_co_u32_e32 v62, vcc, s16, v20
	v_subb_co_u32_e32 v63, vcc, v21, v43, vcc
	v_lshlrev_b64 v[62:63], 5, v[62:63]
	v_add_co_u32_e32 v66, vcc, s6, v62
	global_load_dwordx4 v[20:23], v[52:53], off offset:3120
	global_load_dwordx4 v[24:27], v[52:53], off offset:3104
	;; [unrolled: 1-line block ×4, first 2 shown]
	v_addc_co_u32_e32 v67, vcc, v68, v63, vcc
	global_load_dwordx4 v[62:65], v[66:67], off offset:16
	global_load_dwordx4 v[70:73], v[66:67], off
	v_add_co_u32_e32 v54, vcc, 64, v54
	v_addc_co_u32_e32 v55, vcc, 0, v55, vcc
	v_add_co_u32_e32 v56, vcc, 0x200, v56
	v_addc_co_u32_e32 v57, vcc, 0, v57, vcc
	v_cmp_ge_i64_e64 s[2:3], v[54:55], v[46:47]
	v_add_co_u32_e32 v52, vcc, 0x1000, v52
	v_addc_co_u32_e32 v53, vcc, 0, v53, vcc
	s_or_b64 s[14:15], s[2:3], s[14:15]
	s_waitcnt vmcnt(2)
	v_mov_b32_e32 v58, v32
	v_mov_b32_e32 v61, v32
	s_waitcnt vmcnt(0)
	v_pk_fma_f32 v[16:17], v[70:71], v[58:59], v[16:17] op_sel_hi:[0,1,1]
	v_pk_fma_f32 v[16:17], v[70:71], v[60:61], v[16:17] op_sel:[1,0,0]
	v_mov_b32_e32 v58, v33
	v_pk_fma_f32 v[16:17], v[72:73], v[58:59], v[16:17] op_sel_hi:[0,1,1]
	v_mov_b32_e32 v32, v73
	v_mov_b32_e32 v61, v33
	v_pk_fma_f32 v[16:17], v[32:33], v[60:61], v[16:17] op_sel_hi:[0,1,1]
	v_mov_b32_e32 v58, v34
	v_pk_fma_f32 v[16:17], v[62:63], v[58:59], v[16:17] op_sel_hi:[0,1,1]
	v_mov_b32_e32 v61, v34
	v_pk_fma_f32 v[16:17], v[62:63], v[60:61], v[16:17] op_sel:[1,0,0]
	v_mov_b32_e32 v58, v35
	v_pk_fma_f32 v[16:17], v[64:65], v[58:59], v[16:17] op_sel_hi:[0,1,1]
	v_mov_b32_e32 v34, v65
	v_mov_b32_e32 v61, v35
	v_pk_fma_f32 v[16:17], v[34:35], v[60:61], v[16:17] op_sel_hi:[0,1,1]
	v_mov_b32_e32 v61, v14
	v_pk_fma_f32 v[12:13], v[4:5], v[60:61], v[12:13] op_sel:[1,0,0]
	v_mov_b32_e32 v58, v15
	v_pk_fma_f32 v[12:13], v[6:7], v[58:59], v[12:13] op_sel_hi:[0,1,1]
	v_mov_b32_e32 v61, v15
	v_pk_fma_f32 v[12:13], v[18:19], v[60:61], v[12:13] op_sel_hi:[0,1,1]
	v_mov_b32_e32 v58, v28
	v_pk_fma_f32 v[12:13], v[70:71], v[58:59], v[12:13] op_sel_hi:[0,1,1]
	v_mov_b32_e32 v61, v28
	v_pk_fma_f32 v[12:13], v[70:71], v[60:61], v[12:13] op_sel:[1,0,0]
	v_mov_b32_e32 v58, v29
	v_pk_fma_f32 v[12:13], v[72:73], v[58:59], v[12:13] op_sel_hi:[0,1,1]
	v_mov_b32_e32 v61, v29
	v_pk_fma_f32 v[12:13], v[32:33], v[60:61], v[12:13] op_sel_hi:[0,1,1]
	v_mov_b32_e32 v58, v30
	v_pk_fma_f32 v[12:13], v[62:63], v[58:59], v[12:13] op_sel_hi:[0,1,1]
	v_mov_b32_e32 v61, v30
	v_pk_fma_f32 v[12:13], v[62:63], v[60:61], v[12:13] op_sel:[1,0,0]
	v_mov_b32_e32 v58, v31
	v_pk_fma_f32 v[12:13], v[64:65], v[58:59], v[12:13] op_sel_hi:[0,1,1]
	v_mov_b32_e32 v61, v31
	v_pk_fma_f32 v[14:15], v[34:35], v[60:61], v[12:13] op_sel_hi:[0,1,1]
	v_mov_b32_e32 v61, v10
	v_pk_fma_f32 v[8:9], v[4:5], v[60:61], v[8:9] op_sel:[1,0,0]
	v_mov_b32_e32 v58, v11
	v_pk_fma_f32 v[8:9], v[6:7], v[58:59], v[8:9] op_sel_hi:[0,1,1]
	v_mov_b32_e32 v61, v11
	v_pk_fma_f32 v[8:9], v[18:19], v[60:61], v[8:9] op_sel_hi:[0,1,1]
	v_mov_b32_e32 v58, v24
	v_pk_fma_f32 v[8:9], v[70:71], v[58:59], v[8:9] op_sel_hi:[0,1,1]
	v_mov_b32_e32 v61, v24
	v_pk_fma_f32 v[8:9], v[70:71], v[60:61], v[8:9] op_sel:[1,0,0]
	v_mov_b32_e32 v58, v25
	v_pk_fma_f32 v[8:9], v[72:73], v[58:59], v[8:9] op_sel_hi:[0,1,1]
	v_mov_b32_e32 v61, v25
	v_pk_fma_f32 v[8:9], v[32:33], v[60:61], v[8:9] op_sel_hi:[0,1,1]
	v_mov_b32_e32 v58, v26
	v_pk_fma_f32 v[8:9], v[62:63], v[58:59], v[8:9] op_sel_hi:[0,1,1]
	v_mov_b32_e32 v61, v26
	v_pk_fma_f32 v[8:9], v[62:63], v[60:61], v[8:9] op_sel:[1,0,0]
	v_mov_b32_e32 v58, v27
	v_pk_fma_f32 v[8:9], v[64:65], v[58:59], v[8:9] op_sel_hi:[0,1,1]
	;; [unrolled: 22-line block ×3, first 2 shown]
	v_mov_b32_e32 v61, v23
	v_pk_fma_f32 v[0:1], v[34:35], v[60:61], v[0:1] op_sel_hi:[0,1,1]
	s_andn2_b64 exec, exec, s[14:15]
	s_cbranch_execnz .LBB132_29
; %bb.30:
	s_or_b64 exec, exec, s[14:15]
.LBB132_31:
	s_or_b64 exec, exec, s[10:11]
.LBB132_32:
	s_or_b64 exec, exec, s[8:9]
	s_cbranch_execz .LBB132_34
	s_branch .LBB132_45
.LBB132_33:
                                        ; implicit-def: $vgpr17
                                        ; implicit-def: $vgpr15
                                        ; implicit-def: $vgpr13
                                        ; implicit-def: $vgpr1
.LBB132_34:
	v_mov_b32_e32 v17, 0
	v_mov_b32_e32 v16, 0
	;; [unrolled: 1-line block ×8, first 2 shown]
	s_and_saveexec_b64 s[2:3], s[0:1]
	s_cbranch_execz .LBB132_44
; %bb.35:
	v_or_b32_e32 v0, 16, v42
	v_mov_b32_e32 v1, s19
	v_subrev_co_u32_e32 v0, vcc, s16, v0
	v_subb_co_u32_e32 v1, vcc, 0, v1, vcc
	v_add_co_u32_e32 v0, vcc, v0, v50
	v_addc_co_u32_e32 v1, vcc, v1, v51, vcc
	v_cmp_gt_i64_e32 vcc, v[0:1], v[46:47]
	v_cndmask_b32_e32 v1, v47, v1, vcc
	v_cndmask_b32_e32 v0, v46, v0, vcc
	v_mov_b32_e32 v4, s19
	v_sub_co_u32_e32 v5, vcc, s16, v42
	v_not_b32_e32 v3, v50
	v_subbrev_co_u32_e32 v4, vcc, 0, v4, vcc
	v_not_b32_e32 v2, v51
	v_add_co_u32_e32 v3, vcc, v5, v3
	v_addc_co_u32_e32 v4, vcc, v4, v2, vcc
	v_add_co_u32_e32 v2, vcc, v3, v0
	v_lshrrev_b32_e32 v0, 4, v2
	v_add_u32_e32 v0, 1, v0
	v_addc_co_u32_e32 v3, vcc, v4, v1, vcc
	v_and_b32_e32 v4, 3, v0
	v_mov_b32_e32 v0, 0
	v_cmp_ne_u32_e32 vcc, 0, v4
	v_mov_b32_e32 v1, v0
	v_mov_b32_e32 v12, v0
	;; [unrolled: 1-line block ×7, first 2 shown]
	s_and_saveexec_b64 s[8:9], vcc
	s_cbranch_execz .LBB132_39
; %bb.36:
	v_lshlrev_b64 v[0:1], 3, v[44:45]
	v_mov_b32_e32 v5, 0
	v_mov_b32_e32 v7, s13
	v_add_co_u32_e32 v6, vcc, s12, v0
	v_lshlrev_b32_e32 v4, 3, v4
	v_addc_co_u32_e32 v7, vcc, v7, v1, vcc
	s_mov_b64 s[10:11], 0
	s_movk_i32 s14, 0x400
	v_mov_b32_e32 v18, s19
	v_mov_b32_e32 v19, s7
	v_bfrev_b32_e32 v8, 1
	v_pk_mov_b32 v[10:11], v[4:5], v[4:5] op_sel:[0,1]
	v_mov_b32_e32 v0, v5
	v_mov_b32_e32 v1, v5
	;; [unrolled: 1-line block ×8, first 2 shown]
.LBB132_37:                             ; =>This Inner Loop Header: Depth=1
	global_load_dwordx2 v[32:33], v[6:7], off
	global_load_dwordx4 v[20:23], v[48:49], off offset:32
	global_load_dwordx4 v[24:27], v[48:49], off offset:16
	global_load_dwordx4 v[28:31], v[48:49], off
	v_add_co_u32_e64 v44, s[0:1], 16, v44
	v_addc_co_u32_e64 v45, s[0:1], 0, v45, s[0:1]
	v_add_co_u32_e64 v10, s[0:1], -8, v10
	v_addc_co_u32_e64 v11, s[0:1], -1, v11, s[0:1]
	v_cmp_eq_u64_e64 s[0:1], 0, v[10:11]
	s_or_b64 s[10:11], s[0:1], s[10:11]
	s_waitcnt vmcnt(3)
	v_subrev_co_u32_e32 v32, vcc, s16, v32
	v_subb_co_u32_e32 v33, vcc, v33, v18, vcc
	v_lshlrev_b64 v[32:33], 5, v[32:33]
	v_add_co_u32_e32 v58, vcc, s6, v32
	v_addc_co_u32_e32 v59, vcc, v19, v33, vcc
	global_load_dwordx4 v[32:35], v[58:59], off
	global_load_dwordx4 v[50:53], v[58:59], off offset:16
	global_load_dwordx4 v[54:57], v[48:49], off offset:48
	s_waitcnt vmcnt(3)
	v_mov_b32_e32 v4, v28
	v_mov_b32_e32 v9, v28
	v_add_co_u32_e32 v48, vcc, s14, v48
	v_addc_co_u32_e32 v49, vcc, 0, v49, vcc
	v_add_co_u32_e32 v6, vcc, 0x80, v6
	v_addc_co_u32_e32 v7, vcc, 0, v7, vcc
	s_waitcnt vmcnt(2)
	v_pk_fma_f32 v[16:17], v[32:33], v[4:5], v[16:17] op_sel_hi:[0,1,1]
	v_mov_b32_e32 v4, v24
	v_pk_fma_f32 v[16:17], v[32:33], v[8:9], v[16:17] op_sel:[1,0,0]
	v_mov_b32_e32 v28, v35
	v_mov_b32_e32 v9, v24
	v_pk_fma_f32 v[16:17], v[34:35], v[4:5], v[16:17] op_sel_hi:[0,1,1]
	v_mov_b32_e32 v4, v20
	v_pk_fma_f32 v[16:17], v[28:29], v[8:9], v[16:17] op_sel_hi:[0,1,1]
	v_mov_b32_e32 v9, v20
	s_waitcnt vmcnt(1)
	v_pk_fma_f32 v[16:17], v[50:51], v[4:5], v[16:17] op_sel_hi:[0,1,1]
	s_waitcnt vmcnt(0)
	v_mov_b32_e32 v4, v54
	v_pk_fma_f32 v[16:17], v[50:51], v[8:9], v[16:17] op_sel:[1,0,0]
	v_mov_b32_e32 v58, v53
	v_mov_b32_e32 v9, v54
	v_pk_fma_f32 v[16:17], v[52:53], v[4:5], v[16:17] op_sel_hi:[0,1,1]
	v_mov_b32_e32 v4, v29
	v_pk_fma_f32 v[16:17], v[58:59], v[8:9], v[16:17] op_sel_hi:[0,1,1]
	v_pk_fma_f32 v[14:15], v[32:33], v[4:5], v[14:15] op_sel_hi:[0,1,1]
	v_mov_b32_e32 v9, v29
	v_mov_b32_e32 v4, v25
	v_pk_fma_f32 v[14:15], v[32:33], v[8:9], v[14:15] op_sel:[1,0,0]
	v_mov_b32_e32 v9, v25
	v_pk_fma_f32 v[14:15], v[34:35], v[4:5], v[14:15] op_sel_hi:[0,1,1]
	v_mov_b32_e32 v4, v21
	v_pk_fma_f32 v[14:15], v[28:29], v[8:9], v[14:15] op_sel_hi:[0,1,1]
	v_mov_b32_e32 v9, v21
	v_pk_fma_f32 v[14:15], v[50:51], v[4:5], v[14:15] op_sel_hi:[0,1,1]
	v_mov_b32_e32 v4, v55
	v_pk_fma_f32 v[14:15], v[50:51], v[8:9], v[14:15] op_sel:[1,0,0]
	v_mov_b32_e32 v9, v55
	v_pk_fma_f32 v[14:15], v[52:53], v[4:5], v[14:15] op_sel_hi:[0,1,1]
	v_mov_b32_e32 v4, v30
	v_pk_fma_f32 v[14:15], v[58:59], v[8:9], v[14:15] op_sel_hi:[0,1,1]
	v_pk_fma_f32 v[12:13], v[32:33], v[4:5], v[12:13] op_sel_hi:[0,1,1]
	v_mov_b32_e32 v9, v30
	v_mov_b32_e32 v4, v26
	v_pk_fma_f32 v[12:13], v[32:33], v[8:9], v[12:13] op_sel:[1,0,0]
	v_mov_b32_e32 v9, v26
	v_pk_fma_f32 v[12:13], v[34:35], v[4:5], v[12:13] op_sel_hi:[0,1,1]
	v_mov_b32_e32 v4, v22
	v_pk_fma_f32 v[12:13], v[28:29], v[8:9], v[12:13] op_sel_hi:[0,1,1]
	v_mov_b32_e32 v9, v22
	v_pk_fma_f32 v[12:13], v[50:51], v[4:5], v[12:13] op_sel_hi:[0,1,1]
	v_mov_b32_e32 v4, v56
	v_pk_fma_f32 v[12:13], v[50:51], v[8:9], v[12:13] op_sel:[1,0,0]
	;; [unrolled: 16-line block ×3, first 2 shown]
	v_mov_b32_e32 v9, v57
	v_pk_fma_f32 v[0:1], v[52:53], v[4:5], v[0:1] op_sel_hi:[0,1,1]
	v_pk_fma_f32 v[0:1], v[58:59], v[8:9], v[0:1] op_sel_hi:[0,1,1]
	s_andn2_b64 exec, exec, s[10:11]
	s_cbranch_execnz .LBB132_37
; %bb.38:
	s_or_b64 exec, exec, s[10:11]
.LBB132_39:
	s_or_b64 exec, exec, s[8:9]
	v_cmp_lt_u64_e32 vcc, 47, v[2:3]
	s_and_saveexec_b64 s[8:9], vcc
	s_cbranch_execz .LBB132_43
; %bb.40:
	v_lshlrev_b64 v[2:3], 3, v[44:45]
	v_mov_b32_e32 v4, s13
	v_add_co_u32_e32 v2, vcc, s12, v2
	v_addc_co_u32_e32 v3, vcc, v3, v4, vcc
	v_add_co_u32_e32 v18, vcc, 0x100, v2
	v_addc_co_u32_e32 v19, vcc, 0, v3, vcc
	s_mov_b64 s[10:11], 0
	v_mov_b32_e32 v28, s19
	v_mov_b32_e32 v29, s7
	v_mov_b32_e32 v21, 0
	v_bfrev_b32_e32 v22, 1
.LBB132_41:                             ; =>This Inner Loop Header: Depth=1
	global_load_dwordx2 v[2:3], v[18:19], off offset:-256
	global_load_dwordx4 v[30:33], v[48:49], off offset:48
	global_load_dwordx4 v[50:53], v[48:49], off offset:32
	;; [unrolled: 1-line block ×3, first 2 shown]
	global_load_dwordx4 v[58:61], v[48:49], off
	s_waitcnt vmcnt(4)
	v_subrev_co_u32_e32 v2, vcc, s16, v2
	v_subb_co_u32_e32 v3, vcc, v3, v28, vcc
	v_lshlrev_b64 v[2:3], 5, v[2:3]
	v_add_co_u32_e32 v2, vcc, s6, v2
	v_addc_co_u32_e32 v3, vcc, v29, v3, vcc
	global_load_dwordx4 v[62:65], v[2:3], off offset:16
	global_load_dwordx4 v[66:69], v[2:3], off
	global_load_dwordx2 v[4:5], v[18:19], off offset:-128
	global_load_dwordx4 v[70:73], v[48:49], off offset:1072
	global_load_dwordx4 v[74:77], v[48:49], off offset:1056
	;; [unrolled: 1-line block ×4, first 2 shown]
	s_waitcnt vmcnt(7)
	v_mov_b32_e32 v20, v58
	v_mov_b32_e32 v23, v58
	s_waitcnt vmcnt(6)
	v_mov_b32_e32 v34, v65
	s_waitcnt vmcnt(4)
	v_subrev_co_u32_e32 v2, vcc, s16, v4
	v_subb_co_u32_e32 v3, vcc, v5, v28, vcc
	v_lshlrev_b64 v[2:3], 5, v[2:3]
	v_add_co_u32_e32 v2, vcc, s6, v2
	v_addc_co_u32_e32 v3, vcc, v29, v3, vcc
	global_load_dwordx4 v[4:7], v[2:3], off offset:16
	global_load_dwordx4 v[8:11], v[2:3], off
	v_pk_fma_f32 v[2:3], v[66:67], v[20:21], v[16:17] op_sel_hi:[0,1,1]
	v_pk_fma_f32 v[2:3], v[66:67], v[22:23], v[2:3] op_sel:[1,0,0]
	v_mov_b32_e32 v20, v54
	v_pk_fma_f32 v[2:3], v[68:69], v[20:21], v[2:3] op_sel_hi:[0,1,1]
	v_mov_b32_e32 v16, v69
	v_mov_b32_e32 v23, v54
	v_pk_fma_f32 v[2:3], v[16:17], v[22:23], v[2:3] op_sel_hi:[0,1,1]
	v_mov_b32_e32 v20, v50
	v_pk_fma_f32 v[2:3], v[62:63], v[20:21], v[2:3] op_sel_hi:[0,1,1]
	v_mov_b32_e32 v23, v50
	v_pk_fma_f32 v[2:3], v[62:63], v[22:23], v[2:3] op_sel:[1,0,0]
	v_mov_b32_e32 v20, v30
	v_pk_fma_f32 v[2:3], v[64:65], v[20:21], v[2:3] op_sel_hi:[0,1,1]
	v_mov_b32_e32 v23, v30
	v_pk_fma_f32 v[2:3], v[34:35], v[22:23], v[2:3] op_sel_hi:[0,1,1]
	s_waitcnt vmcnt(2)
	v_mov_b32_e32 v20, v82
	v_mov_b32_e32 v23, v82
	s_waitcnt vmcnt(0)
	v_pk_fma_f32 v[2:3], v[8:9], v[20:21], v[2:3] op_sel_hi:[0,1,1]
	v_mov_b32_e32 v20, v59
	v_pk_fma_f32 v[26:27], v[8:9], v[22:23], v[2:3] op_sel:[1,0,0]
	v_pk_fma_f32 v[2:3], v[66:67], v[20:21], v[14:15] op_sel_hi:[0,1,1]
	v_mov_b32_e32 v23, v59
	v_pk_fma_f32 v[2:3], v[66:67], v[22:23], v[2:3] op_sel:[1,0,0]
	v_mov_b32_e32 v20, v55
	v_pk_fma_f32 v[2:3], v[68:69], v[20:21], v[2:3] op_sel_hi:[0,1,1]
	v_mov_b32_e32 v23, v55
	v_pk_fma_f32 v[2:3], v[16:17], v[22:23], v[2:3] op_sel_hi:[0,1,1]
	v_mov_b32_e32 v20, v51
	v_pk_fma_f32 v[2:3], v[62:63], v[20:21], v[2:3] op_sel_hi:[0,1,1]
	v_mov_b32_e32 v23, v51
	v_pk_fma_f32 v[2:3], v[62:63], v[22:23], v[2:3] op_sel:[1,0,0]
	v_mov_b32_e32 v20, v31
	v_pk_fma_f32 v[2:3], v[64:65], v[20:21], v[2:3] op_sel_hi:[0,1,1]
	v_mov_b32_e32 v23, v31
	v_pk_fma_f32 v[2:3], v[34:35], v[22:23], v[2:3] op_sel_hi:[0,1,1]
	v_mov_b32_e32 v20, v83
	v_pk_fma_f32 v[2:3], v[8:9], v[20:21], v[2:3] op_sel_hi:[0,1,1]
	v_mov_b32_e32 v23, v83
	v_mov_b32_e32 v20, v60
	v_pk_fma_f32 v[24:25], v[8:9], v[22:23], v[2:3] op_sel:[1,0,0]
	v_pk_fma_f32 v[2:3], v[66:67], v[20:21], v[12:13] op_sel_hi:[0,1,1]
	v_mov_b32_e32 v23, v60
	v_pk_fma_f32 v[2:3], v[66:67], v[22:23], v[2:3] op_sel:[1,0,0]
	v_mov_b32_e32 v20, v56
	v_pk_fma_f32 v[2:3], v[68:69], v[20:21], v[2:3] op_sel_hi:[0,1,1]
	v_mov_b32_e32 v23, v56
	v_pk_fma_f32 v[2:3], v[16:17], v[22:23], v[2:3] op_sel_hi:[0,1,1]
	v_mov_b32_e32 v20, v52
	v_pk_fma_f32 v[2:3], v[62:63], v[20:21], v[2:3] op_sel_hi:[0,1,1]
	v_mov_b32_e32 v23, v52
	v_pk_fma_f32 v[2:3], v[62:63], v[22:23], v[2:3] op_sel:[1,0,0]
	v_mov_b32_e32 v20, v32
	v_pk_fma_f32 v[2:3], v[64:65], v[20:21], v[2:3] op_sel_hi:[0,1,1]
	v_mov_b32_e32 v23, v32
	v_pk_fma_f32 v[2:3], v[34:35], v[22:23], v[2:3] op_sel_hi:[0,1,1]
	v_mov_b32_e32 v20, v84
	v_pk_fma_f32 v[2:3], v[8:9], v[20:21], v[2:3] op_sel_hi:[0,1,1]
	v_mov_b32_e32 v23, v84
	;; [unrolled: 20-line block ×3, first 2 shown]
	v_pk_fma_f32 v[16:17], v[8:9], v[22:23], v[0:1] op_sel:[1,0,0]
	global_load_dwordx2 v[0:1], v[18:19], off
	global_load_dwordx4 v[30:33], v[48:49], off offset:2096
	global_load_dwordx4 v[50:53], v[48:49], off offset:2080
	;; [unrolled: 1-line block ×4, first 2 shown]
	v_mov_b32_e32 v20, v78
	v_mov_b32_e32 v23, v78
	;; [unrolled: 1-line block ×3, first 2 shown]
	s_waitcnt vmcnt(4)
	v_subrev_co_u32_e32 v0, vcc, s16, v0
	v_subb_co_u32_e32 v1, vcc, v1, v28, vcc
	v_lshlrev_b64 v[0:1], 5, v[0:1]
	v_add_co_u32_e32 v8, vcc, s6, v0
	v_addc_co_u32_e32 v9, vcc, v29, v1, vcc
	global_load_dwordx4 v[0:3], v[8:9], off offset:16
	global_load_dwordx4 v[62:65], v[8:9], off
	v_pk_fma_f32 v[8:9], v[10:11], v[20:21], v[26:27] op_sel_hi:[0,1,1]
	v_mov_b32_e32 v26, v11
	v_pk_fma_f32 v[8:9], v[26:27], v[22:23], v[8:9] op_sel_hi:[0,1,1]
	v_mov_b32_e32 v20, v74
	v_pk_fma_f32 v[8:9], v[4:5], v[20:21], v[8:9] op_sel_hi:[0,1,1]
	v_mov_b32_e32 v23, v74
	v_pk_fma_f32 v[8:9], v[4:5], v[22:23], v[8:9] op_sel:[1,0,0]
	v_mov_b32_e32 v20, v70
	v_pk_fma_f32 v[8:9], v[6:7], v[20:21], v[8:9] op_sel_hi:[0,1,1]
	v_mov_b32_e32 v23, v70
	v_pk_fma_f32 v[8:9], v[34:35], v[22:23], v[8:9] op_sel_hi:[0,1,1]
	s_waitcnt vmcnt(2)
	v_mov_b32_e32 v20, v58
	v_mov_b32_e32 v23, v58
	s_waitcnt vmcnt(0)
	v_pk_fma_f32 v[8:9], v[62:63], v[20:21], v[8:9] op_sel_hi:[0,1,1]
	v_pk_fma_f32 v[8:9], v[62:63], v[22:23], v[8:9] op_sel:[1,0,0]
	v_mov_b32_e32 v20, v54
	v_pk_fma_f32 v[8:9], v[64:65], v[20:21], v[8:9] op_sel_hi:[0,1,1]
	v_mov_b32_e32 v58, v65
	v_mov_b32_e32 v23, v54
	v_pk_fma_f32 v[8:9], v[58:59], v[22:23], v[8:9] op_sel_hi:[0,1,1]
	v_mov_b32_e32 v20, v50
	v_pk_fma_f32 v[14:15], v[0:1], v[20:21], v[8:9] op_sel_hi:[0,1,1]
	v_mov_b32_e32 v20, v79
	v_pk_fma_f32 v[8:9], v[10:11], v[20:21], v[24:25] op_sel_hi:[0,1,1]
	v_mov_b32_e32 v23, v79
	v_pk_fma_f32 v[8:9], v[26:27], v[22:23], v[8:9] op_sel_hi:[0,1,1]
	v_mov_b32_e32 v20, v75
	v_pk_fma_f32 v[8:9], v[4:5], v[20:21], v[8:9] op_sel_hi:[0,1,1]
	v_mov_b32_e32 v23, v75
	v_pk_fma_f32 v[8:9], v[4:5], v[22:23], v[8:9] op_sel:[1,0,0]
	v_mov_b32_e32 v20, v71
	v_pk_fma_f32 v[8:9], v[6:7], v[20:21], v[8:9] op_sel_hi:[0,1,1]
	v_mov_b32_e32 v23, v71
	v_pk_fma_f32 v[8:9], v[34:35], v[22:23], v[8:9] op_sel_hi:[0,1,1]
	;; [unrolled: 2-line block ×3, first 2 shown]
	v_mov_b32_e32 v23, v59
	v_pk_fma_f32 v[8:9], v[62:63], v[22:23], v[8:9] op_sel:[1,0,0]
	v_mov_b32_e32 v20, v55
	v_pk_fma_f32 v[8:9], v[64:65], v[20:21], v[8:9] op_sel_hi:[0,1,1]
	v_mov_b32_e32 v23, v55
	v_pk_fma_f32 v[8:9], v[58:59], v[22:23], v[8:9] op_sel_hi:[0,1,1]
	;; [unrolled: 2-line block ×6, first 2 shown]
	v_mov_b32_e32 v23, v76
	v_pk_fma_f32 v[12:13], v[4:5], v[22:23], v[12:13] op_sel:[1,0,0]
	v_mov_b32_e32 v20, v72
	v_pk_fma_f32 v[12:13], v[6:7], v[20:21], v[12:13] op_sel_hi:[0,1,1]
	v_mov_b32_e32 v23, v72
	v_pk_fma_f32 v[12:13], v[34:35], v[22:23], v[12:13] op_sel_hi:[0,1,1]
	;; [unrolled: 2-line block ×3, first 2 shown]
	v_mov_b32_e32 v23, v60
	v_pk_fma_f32 v[12:13], v[62:63], v[22:23], v[12:13] op_sel:[1,0,0]
	v_mov_b32_e32 v20, v56
	v_pk_fma_f32 v[12:13], v[64:65], v[20:21], v[12:13] op_sel_hi:[0,1,1]
	v_mov_b32_e32 v23, v56
	v_pk_fma_f32 v[12:13], v[58:59], v[22:23], v[12:13] op_sel_hi:[0,1,1]
	v_mov_b32_e32 v20, v52
	v_pk_fma_f32 v[12:13], v[0:1], v[20:21], v[12:13] op_sel_hi:[0,1,1]
	v_mov_b32_e32 v20, v81
	v_pk_fma_f32 v[10:11], v[10:11], v[20:21], v[16:17] op_sel_hi:[0,1,1]
	v_mov_b32_e32 v23, v81
	v_pk_fma_f32 v[10:11], v[26:27], v[22:23], v[10:11] op_sel_hi:[0,1,1]
	v_mov_b32_e32 v20, v77
	v_pk_fma_f32 v[10:11], v[4:5], v[20:21], v[10:11] op_sel_hi:[0,1,1]
	v_mov_b32_e32 v23, v77
	v_pk_fma_f32 v[4:5], v[4:5], v[22:23], v[10:11] op_sel:[1,0,0]
	v_mov_b32_e32 v20, v73
	v_pk_fma_f32 v[4:5], v[6:7], v[20:21], v[4:5] op_sel_hi:[0,1,1]
	global_load_dwordx2 v[6:7], v[18:19], off offset:128
	v_mov_b32_e32 v23, v73
	v_pk_fma_f32 v[4:5], v[34:35], v[22:23], v[4:5] op_sel_hi:[0,1,1]
	v_mov_b32_e32 v20, v61
	v_pk_fma_f32 v[4:5], v[62:63], v[20:21], v[4:5] op_sel_hi:[0,1,1]
	v_mov_b32_e32 v23, v61
	v_pk_fma_f32 v[4:5], v[62:63], v[22:23], v[4:5] op_sel:[1,0,0]
	v_mov_b32_e32 v20, v57
	v_pk_fma_f32 v[4:5], v[64:65], v[20:21], v[4:5] op_sel_hi:[0,1,1]
	v_mov_b32_e32 v23, v57
	v_pk_fma_f32 v[4:5], v[58:59], v[22:23], v[4:5] op_sel_hi:[0,1,1]
	global_load_dwordx4 v[24:27], v[48:49], off offset:3120
	global_load_dwordx4 v[54:57], v[48:49], off offset:3104
	;; [unrolled: 1-line block ×4, first 2 shown]
	v_mov_b32_e32 v20, v53
	v_mov_b32_e32 v23, v50
	v_pk_fma_f32 v[4:5], v[0:1], v[20:21], v[4:5] op_sel_hi:[0,1,1]
	v_mov_b32_e32 v20, v30
	v_mov_b32_e32 v10, v3
	s_waitcnt vmcnt(4)
	v_subrev_co_u32_e32 v6, vcc, s16, v6
	v_subb_co_u32_e32 v7, vcc, v7, v28, vcc
	v_lshlrev_b64 v[6:7], 5, v[6:7]
	v_add_co_u32_e32 v6, vcc, s6, v6
	v_addc_co_u32_e32 v7, vcc, v29, v7, vcc
	global_load_dwordx4 v[66:69], v[6:7], off offset:16
	global_load_dwordx4 v[70:73], v[6:7], off
	v_pk_fma_f32 v[6:7], v[0:1], v[22:23], v[14:15] op_sel:[1,0,0]
	v_pk_fma_f32 v[6:7], v[2:3], v[20:21], v[6:7] op_sel_hi:[0,1,1]
	v_mov_b32_e32 v23, v30
	v_pk_fma_f32 v[6:7], v[10:11], v[22:23], v[6:7] op_sel_hi:[0,1,1]
	s_waitcnt vmcnt(2)
	v_mov_b32_e32 v20, v62
	v_mov_b32_e32 v23, v62
	v_add_co_u32_e32 v44, vcc, 64, v44
	v_addc_co_u32_e32 v45, vcc, 0, v45, vcc
	v_add_co_u32_e32 v18, vcc, 0x200, v18
	v_addc_co_u32_e32 v19, vcc, 0, v19, vcc
	v_cmp_ge_i64_e64 s[0:1], v[44:45], v[46:47]
	v_add_co_u32_e32 v48, vcc, 0x1000, v48
	v_addc_co_u32_e32 v49, vcc, 0, v49, vcc
	s_or_b64 s[10:11], s[0:1], s[10:11]
	s_waitcnt vmcnt(1)
	v_mov_b32_e32 v34, v69
	s_waitcnt vmcnt(0)
	v_pk_fma_f32 v[6:7], v[70:71], v[20:21], v[6:7] op_sel_hi:[0,1,1]
	v_pk_fma_f32 v[6:7], v[70:71], v[22:23], v[6:7] op_sel:[1,0,0]
	v_mov_b32_e32 v20, v58
	v_pk_fma_f32 v[6:7], v[72:73], v[20:21], v[6:7] op_sel_hi:[0,1,1]
	v_mov_b32_e32 v30, v73
	v_mov_b32_e32 v23, v58
	v_pk_fma_f32 v[6:7], v[30:31], v[22:23], v[6:7] op_sel_hi:[0,1,1]
	v_mov_b32_e32 v20, v54
	v_pk_fma_f32 v[6:7], v[66:67], v[20:21], v[6:7] op_sel_hi:[0,1,1]
	v_mov_b32_e32 v23, v54
	v_pk_fma_f32 v[6:7], v[66:67], v[22:23], v[6:7] op_sel:[1,0,0]
	v_mov_b32_e32 v20, v24
	v_pk_fma_f32 v[6:7], v[68:69], v[20:21], v[6:7] op_sel_hi:[0,1,1]
	v_mov_b32_e32 v23, v24
	v_pk_fma_f32 v[16:17], v[34:35], v[22:23], v[6:7] op_sel_hi:[0,1,1]
	v_mov_b32_e32 v23, v51
	v_pk_fma_f32 v[6:7], v[0:1], v[22:23], v[8:9] op_sel:[1,0,0]
	v_mov_b32_e32 v20, v31
	v_pk_fma_f32 v[6:7], v[2:3], v[20:21], v[6:7] op_sel_hi:[0,1,1]
	v_mov_b32_e32 v23, v31
	v_pk_fma_f32 v[6:7], v[10:11], v[22:23], v[6:7] op_sel_hi:[0,1,1]
	v_mov_b32_e32 v20, v63
	v_pk_fma_f32 v[6:7], v[70:71], v[20:21], v[6:7] op_sel_hi:[0,1,1]
	v_mov_b32_e32 v23, v63
	v_pk_fma_f32 v[6:7], v[70:71], v[22:23], v[6:7] op_sel:[1,0,0]
	v_mov_b32_e32 v20, v59
	v_pk_fma_f32 v[6:7], v[72:73], v[20:21], v[6:7] op_sel_hi:[0,1,1]
	v_mov_b32_e32 v23, v59
	v_pk_fma_f32 v[6:7], v[30:31], v[22:23], v[6:7] op_sel_hi:[0,1,1]
	v_mov_b32_e32 v20, v55
	v_pk_fma_f32 v[6:7], v[66:67], v[20:21], v[6:7] op_sel_hi:[0,1,1]
	v_mov_b32_e32 v23, v55
	v_pk_fma_f32 v[6:7], v[66:67], v[22:23], v[6:7] op_sel:[1,0,0]
	v_mov_b32_e32 v20, v25
	v_pk_fma_f32 v[6:7], v[68:69], v[20:21], v[6:7] op_sel_hi:[0,1,1]
	v_mov_b32_e32 v23, v25
	v_pk_fma_f32 v[14:15], v[34:35], v[22:23], v[6:7] op_sel_hi:[0,1,1]
	v_mov_b32_e32 v23, v52
	v_pk_fma_f32 v[6:7], v[0:1], v[22:23], v[12:13] op_sel:[1,0,0]
	v_mov_b32_e32 v20, v32
	v_pk_fma_f32 v[6:7], v[2:3], v[20:21], v[6:7] op_sel_hi:[0,1,1]
	v_mov_b32_e32 v23, v32
	v_pk_fma_f32 v[6:7], v[10:11], v[22:23], v[6:7] op_sel_hi:[0,1,1]
	v_mov_b32_e32 v20, v64
	v_pk_fma_f32 v[6:7], v[70:71], v[20:21], v[6:7] op_sel_hi:[0,1,1]
	v_mov_b32_e32 v23, v64
	v_pk_fma_f32 v[6:7], v[70:71], v[22:23], v[6:7] op_sel:[1,0,0]
	v_mov_b32_e32 v20, v60
	v_pk_fma_f32 v[6:7], v[72:73], v[20:21], v[6:7] op_sel_hi:[0,1,1]
	;; [unrolled: 22-line block ×3, first 2 shown]
	v_mov_b32_e32 v23, v61
	v_pk_fma_f32 v[0:1], v[30:31], v[22:23], v[0:1] op_sel_hi:[0,1,1]
	v_mov_b32_e32 v20, v57
	v_pk_fma_f32 v[0:1], v[66:67], v[20:21], v[0:1] op_sel_hi:[0,1,1]
	v_mov_b32_e32 v23, v57
	v_pk_fma_f32 v[0:1], v[66:67], v[22:23], v[0:1] op_sel:[1,0,0]
	v_mov_b32_e32 v20, v27
	v_pk_fma_f32 v[0:1], v[68:69], v[20:21], v[0:1] op_sel_hi:[0,1,1]
	v_mov_b32_e32 v23, v27
	v_pk_fma_f32 v[0:1], v[34:35], v[22:23], v[0:1] op_sel_hi:[0,1,1]
	s_andn2_b64 exec, exec, s[10:11]
	s_cbranch_execnz .LBB132_41
; %bb.42:
	s_or_b64 exec, exec, s[10:11]
.LBB132_43:
	s_or_b64 exec, exec, s[8:9]
.LBB132_44:
	s_or_b64 exec, exec, s[2:3]
.LBB132_45:
	v_mov_b32_dpp v8, v15 row_shr:1 row_mask:0xf bank_mask:0xf
	v_add_f32_e32 v8, v15, v8
	v_mov_b32_dpp v2, v16 row_shr:1 row_mask:0xf bank_mask:0xf
	v_mov_b32_dpp v4, v17 row_shr:1 row_mask:0xf bank_mask:0xf
	;; [unrolled: 1-line block ×3, first 2 shown]
	v_add_f32_e32 v8, v8, v9
	v_mov_b32_dpp v6, v14 row_shr:1 row_mask:0xf bank_mask:0xf
	v_add_f32_e32 v2, v16, v2
	v_mov_b32_dpp v9, v8 row_shr:4 row_mask:0xf bank_mask:0xe
	;; [unrolled: 2-line block ×3, first 2 shown]
	v_add_f32_e32 v8, v12, v8
	v_add_f32_e32 v4, v17, v4
	;; [unrolled: 1-line block ×3, first 2 shown]
	v_mov_b32_dpp v11, v8 row_shr:2 row_mask:0xf bank_mask:0xf
	v_add_f32_e32 v8, v8, v11
	v_mov_b32_dpp v3, v2 row_shr:2 row_mask:0xf bank_mask:0xf
	v_mov_b32_dpp v5, v4 row_shr:2 row_mask:0xf bank_mask:0xf
	;; [unrolled: 1-line block ×3, first 2 shown]
	v_add_f32_e32 v11, v8, v11
	v_mov_b32_dpp v8, v13 row_shr:1 row_mask:0xf bank_mask:0xf
	v_add_f32_e32 v8, v13, v8
	v_mov_b32_dpp v7, v6 row_shr:2 row_mask:0xf bank_mask:0xf
	;; [unrolled: 2-line block ×3, first 2 shown]
	v_add_f32_e32 v8, v8, v12
	v_add_f32_e32 v4, v4, v5
	v_add_f32_e32 v6, v6, v7
	v_mov_b32_dpp v12, v8 row_shr:4 row_mask:0xf bank_mask:0xe
	v_add_f32_e32 v13, v8, v12
	v_mov_b32_dpp v8, v0 row_shr:1 row_mask:0xf bank_mask:0xf
	v_add_f32_e32 v0, v0, v8
	v_mov_b32_dpp v3, v2 row_shr:4 row_mask:0xf bank_mask:0xe
	v_mov_b32_dpp v5, v4 row_shr:4 row_mask:0xf bank_mask:0xe
	;; [unrolled: 1-line block ×3, first 2 shown]
	v_add_f32_e32 v0, v0, v8
	v_mov_b32_dpp v7, v6 row_shr:4 row_mask:0xf bank_mask:0xe
	v_add_f32_e32 v2, v2, v3
	v_mov_b32_dpp v8, v0 row_shr:4 row_mask:0xf bank_mask:0xe
	v_add_f32_e32 v0, v0, v8
	v_add_f32_e32 v4, v4, v5
	v_mov_b32_dpp v8, v1 row_shr:1 row_mask:0xf bank_mask:0xf
	v_add_f32_e32 v1, v1, v8
	v_add_f32_e32 v6, v6, v7
	v_mov_b32_dpp v3, v2 row_shr:8 row_mask:0xf bank_mask:0xc
	v_mov_b32_dpp v8, v1 row_shr:2 row_mask:0xf bank_mask:0xf
	v_add_f32_e32 v1, v1, v8
	v_mov_b32_dpp v5, v4 row_shr:8 row_mask:0xf bank_mask:0xc
	v_mov_b32_dpp v7, v6 row_shr:8 row_mask:0xf bank_mask:0xc
	;; [unrolled: 1-line block ×3, first 2 shown]
	v_add_f32_e32 v1, v1, v8
	v_mov_b32_dpp v10, v9 row_shr:8 row_mask:0xf bank_mask:0xc
	v_mov_b32_dpp v15, v11 row_shr:8 row_mask:0xf bank_mask:0xc
	;; [unrolled: 1-line block ×5, first 2 shown]
	v_cmp_eq_u32_e32 vcc, 15, v42
	s_and_b64 exec, exec, vcc
	s_cbranch_execz .LBB132_14
; %bb.46:
	s_load_dwordx2 s[2:3], s[4:5], 0x58
	v_add_f32_e32 v14, v4, v5
	v_add_f32_e32 v4, v1, v18
	v_and_b32_e32 v1, 0x7fffffff, v38
	v_cmp_eq_u32_e32 vcc, 0, v1
	v_cmp_eq_f32_e64 s[0:1], 0, v39
	v_add_f32_e32 v8, v2, v3
	v_add_f32_e32 v6, v6, v7
	v_add_f32_e32 v12, v9, v10
	v_add_f32_e32 v2, v11, v15
	v_add_f32_e32 v10, v13, v16
	v_add_f32_e32 v0, v0, v17
	s_and_b64 s[0:1], vcc, s[0:1]
	v_lshlrev_b64 v[16:17], 5, v[40:41]
	s_and_saveexec_b64 s[4:5], s[0:1]
	s_xor_b64 s[0:1], exec, s[4:5]
	s_cbranch_execz .LBB132_48
; %bb.47:
	v_xor_b32_e32 v18, 0x80000000, v37
	v_mov_b32_e32 v19, v36
	v_pk_mul_f32 v[14:15], v[14:15], v[18:19] op_sel_hi:[0,1]
	s_waitcnt lgkmcnt(0)
	v_mov_b32_e32 v1, s3
	v_add_co_u32_e32 v20, vcc, s2, v16
	v_pk_fma_f32 v[14:15], v[36:37], v[8:9], v[14:15] op_sel_hi:[1,0,1]
	v_pk_mul_f32 v[8:9], v[12:13], v[18:19] op_sel_hi:[0,1]
	v_addc_co_u32_e32 v21, vcc, v1, v17, vcc
	v_pk_fma_f32 v[16:17], v[36:37], v[6:7], v[8:9] op_sel_hi:[1,0,1]
	v_pk_mul_f32 v[6:7], v[10:11], v[18:19] op_sel_hi:[0,1]
	v_pk_mul_f32 v[4:5], v[4:5], v[18:19] op_sel_hi:[0,1]
	v_pk_fma_f32 v[2:3], v[36:37], v[2:3], v[6:7] op_sel_hi:[1,0,1]
	v_pk_fma_f32 v[4:5], v[36:37], v[0:1], v[4:5] op_sel_hi:[1,0,1]
	global_store_dwordx4 v[20:21], v[14:17], off
	global_store_dwordx4 v[20:21], v[2:5], off offset:16
                                        ; implicit-def: $vgpr37
                                        ; implicit-def: $vgpr38
                                        ; implicit-def: $vgpr8
                                        ; implicit-def: $vgpr14
                                        ; implicit-def: $vgpr6
                                        ; implicit-def: $vgpr12
                                        ; implicit-def: $vgpr2
                                        ; implicit-def: $vgpr10
                                        ; implicit-def: $vgpr0
                                        ; implicit-def: $vgpr4
                                        ; implicit-def: $vgpr16_vgpr17
.LBB132_48:
	s_andn2_saveexec_b64 s[0:1], s[0:1]
	s_cbranch_execz .LBB132_14
; %bb.49:
	s_waitcnt lgkmcnt(0)
	v_mov_b32_e32 v1, s3
	v_add_co_u32_e32 v24, vcc, s2, v16
	v_addc_co_u32_e32 v25, vcc, v1, v17, vcc
	global_load_dwordx4 v[16:19], v[24:25], off
	global_load_dwordx4 v[20:23], v[24:25], off offset:16
	v_xor_b32_e32 v26, 0x80000000, v37
	v_mov_b32_e32 v27, v36
	v_pk_mul_f32 v[14:15], v[14:15], v[26:27] op_sel_hi:[0,1]
	v_pk_mul_f32 v[12:13], v[12:13], v[26:27] op_sel_hi:[0,1]
	;; [unrolled: 1-line block ×4, first 2 shown]
	v_pk_fma_f32 v[8:9], v[36:37], v[8:9], v[14:15] op_sel_hi:[1,0,1]
	v_pk_fma_f32 v[6:7], v[36:37], v[6:7], v[12:13] op_sel_hi:[1,0,1]
	v_xor_b32_e32 v28, 0x80000000, v39
	v_mov_b32_e32 v29, v38
	v_pk_fma_f32 v[2:3], v[36:37], v[2:3], v[10:11] op_sel_hi:[1,0,1]
	v_pk_fma_f32 v[0:1], v[36:37], v[0:1], v[4:5] op_sel_hi:[1,0,1]
	s_waitcnt vmcnt(1)
	v_pk_fma_f32 v[4:5], v[38:39], v[16:17], v[8:9] op_sel_hi:[1,0,1]
	v_pk_fma_f32 v[6:7], v[38:39], v[18:19], v[6:7] op_sel_hi:[1,0,1]
	v_mov_b32_e32 v8, v19
	s_waitcnt vmcnt(0)
	v_pk_fma_f32 v[10:11], v[38:39], v[20:21], v[2:3] op_sel_hi:[1,0,1]
	v_pk_fma_f32 v[12:13], v[38:39], v[22:23], v[0:1] op_sel_hi:[1,0,1]
	v_mov_b32_e32 v14, v23
	v_pk_fma_f32 v[0:1], v[28:29], v[16:17], v[4:5] op_sel:[0,1,0]
	v_pk_fma_f32 v[2:3], v[28:29], v[8:9], v[6:7] op_sel_hi:[1,0,1]
	v_pk_fma_f32 v[4:5], v[28:29], v[20:21], v[10:11] op_sel:[0,1,0]
	v_pk_fma_f32 v[6:7], v[28:29], v[14:15], v[12:13] op_sel_hi:[1,0,1]
	global_store_dwordx4 v[24:25], v[0:3], off
	global_store_dwordx4 v[24:25], v[4:7], off offset:16
	s_endpgm
	.section	.rodata,"a",@progbits
	.p2align	6, 0x0
	.amdhsa_kernel _ZN9rocsparseL18bsrxmvn_4x4_kernelILj128ELj16E21rocsparse_complex_numIfEllfS2_S2_EEvT3_20rocsparse_direction_NS_24const_host_device_scalarIT1_EES3_PKS3_PKT2_SC_S9_PKT4_PKT5_S7_PT6_21rocsparse_index_base_b
		.amdhsa_group_segment_fixed_size 0
		.amdhsa_private_segment_fixed_size 0
		.amdhsa_kernarg_size 104
		.amdhsa_user_sgpr_count 6
		.amdhsa_user_sgpr_private_segment_buffer 1
		.amdhsa_user_sgpr_dispatch_ptr 0
		.amdhsa_user_sgpr_queue_ptr 0
		.amdhsa_user_sgpr_kernarg_segment_ptr 1
		.amdhsa_user_sgpr_dispatch_id 0
		.amdhsa_user_sgpr_flat_scratch_init 0
		.amdhsa_user_sgpr_kernarg_preload_length 0
		.amdhsa_user_sgpr_kernarg_preload_offset 0
		.amdhsa_user_sgpr_private_segment_size 0
		.amdhsa_uses_dynamic_stack 0
		.amdhsa_system_sgpr_private_segment_wavefront_offset 0
		.amdhsa_system_sgpr_workgroup_id_x 1
		.amdhsa_system_sgpr_workgroup_id_y 0
		.amdhsa_system_sgpr_workgroup_id_z 0
		.amdhsa_system_sgpr_workgroup_info 0
		.amdhsa_system_vgpr_workitem_id 0
		.amdhsa_next_free_vgpr 90
		.amdhsa_next_free_sgpr 20
		.amdhsa_accum_offset 92
		.amdhsa_reserve_vcc 1
		.amdhsa_reserve_flat_scratch 0
		.amdhsa_float_round_mode_32 0
		.amdhsa_float_round_mode_16_64 0
		.amdhsa_float_denorm_mode_32 3
		.amdhsa_float_denorm_mode_16_64 3
		.amdhsa_dx10_clamp 1
		.amdhsa_ieee_mode 1
		.amdhsa_fp16_overflow 0
		.amdhsa_tg_split 0
		.amdhsa_exception_fp_ieee_invalid_op 0
		.amdhsa_exception_fp_denorm_src 0
		.amdhsa_exception_fp_ieee_div_zero 0
		.amdhsa_exception_fp_ieee_overflow 0
		.amdhsa_exception_fp_ieee_underflow 0
		.amdhsa_exception_fp_ieee_inexact 0
		.amdhsa_exception_int_div_zero 0
	.end_amdhsa_kernel
	.section	.text._ZN9rocsparseL18bsrxmvn_4x4_kernelILj128ELj16E21rocsparse_complex_numIfEllfS2_S2_EEvT3_20rocsparse_direction_NS_24const_host_device_scalarIT1_EES3_PKS3_PKT2_SC_S9_PKT4_PKT5_S7_PT6_21rocsparse_index_base_b,"axG",@progbits,_ZN9rocsparseL18bsrxmvn_4x4_kernelILj128ELj16E21rocsparse_complex_numIfEllfS2_S2_EEvT3_20rocsparse_direction_NS_24const_host_device_scalarIT1_EES3_PKS3_PKT2_SC_S9_PKT4_PKT5_S7_PT6_21rocsparse_index_base_b,comdat
.Lfunc_end132:
	.size	_ZN9rocsparseL18bsrxmvn_4x4_kernelILj128ELj16E21rocsparse_complex_numIfEllfS2_S2_EEvT3_20rocsparse_direction_NS_24const_host_device_scalarIT1_EES3_PKS3_PKT2_SC_S9_PKT4_PKT5_S7_PT6_21rocsparse_index_base_b, .Lfunc_end132-_ZN9rocsparseL18bsrxmvn_4x4_kernelILj128ELj16E21rocsparse_complex_numIfEllfS2_S2_EEvT3_20rocsparse_direction_NS_24const_host_device_scalarIT1_EES3_PKS3_PKT2_SC_S9_PKT4_PKT5_S7_PT6_21rocsparse_index_base_b
                                        ; -- End function
	.section	.AMDGPU.csdata,"",@progbits
; Kernel info:
; codeLenInByte = 7236
; NumSgprs: 24
; NumVgprs: 90
; NumAgprs: 0
; TotalNumVgprs: 90
; ScratchSize: 0
; MemoryBound: 0
; FloatMode: 240
; IeeeMode: 1
; LDSByteSize: 0 bytes/workgroup (compile time only)
; SGPRBlocks: 2
; VGPRBlocks: 11
; NumSGPRsForWavesPerEU: 24
; NumVGPRsForWavesPerEU: 90
; AccumOffset: 92
; Occupancy: 5
; WaveLimiterHint : 1
; COMPUTE_PGM_RSRC2:SCRATCH_EN: 0
; COMPUTE_PGM_RSRC2:USER_SGPR: 6
; COMPUTE_PGM_RSRC2:TRAP_HANDLER: 0
; COMPUTE_PGM_RSRC2:TGID_X_EN: 1
; COMPUTE_PGM_RSRC2:TGID_Y_EN: 0
; COMPUTE_PGM_RSRC2:TGID_Z_EN: 0
; COMPUTE_PGM_RSRC2:TIDIG_COMP_CNT: 0
; COMPUTE_PGM_RSRC3_GFX90A:ACCUM_OFFSET: 22
; COMPUTE_PGM_RSRC3_GFX90A:TG_SPLIT: 0
	.section	.text._ZN9rocsparseL18bsrxmvn_4x4_kernelILj128ELj32E21rocsparse_complex_numIfEllfS2_S2_EEvT3_20rocsparse_direction_NS_24const_host_device_scalarIT1_EES3_PKS3_PKT2_SC_S9_PKT4_PKT5_S7_PT6_21rocsparse_index_base_b,"axG",@progbits,_ZN9rocsparseL18bsrxmvn_4x4_kernelILj128ELj32E21rocsparse_complex_numIfEllfS2_S2_EEvT3_20rocsparse_direction_NS_24const_host_device_scalarIT1_EES3_PKS3_PKT2_SC_S9_PKT4_PKT5_S7_PT6_21rocsparse_index_base_b,comdat
	.globl	_ZN9rocsparseL18bsrxmvn_4x4_kernelILj128ELj32E21rocsparse_complex_numIfEllfS2_S2_EEvT3_20rocsparse_direction_NS_24const_host_device_scalarIT1_EES3_PKS3_PKT2_SC_S9_PKT4_PKT5_S7_PT6_21rocsparse_index_base_b ; -- Begin function _ZN9rocsparseL18bsrxmvn_4x4_kernelILj128ELj32E21rocsparse_complex_numIfEllfS2_S2_EEvT3_20rocsparse_direction_NS_24const_host_device_scalarIT1_EES3_PKS3_PKT2_SC_S9_PKT4_PKT5_S7_PT6_21rocsparse_index_base_b
	.p2align	8
	.type	_ZN9rocsparseL18bsrxmvn_4x4_kernelILj128ELj32E21rocsparse_complex_numIfEllfS2_S2_EEvT3_20rocsparse_direction_NS_24const_host_device_scalarIT1_EES3_PKS3_PKT2_SC_S9_PKT4_PKT5_S7_PT6_21rocsparse_index_base_b,@function
_ZN9rocsparseL18bsrxmvn_4x4_kernelILj128ELj32E21rocsparse_complex_numIfEllfS2_S2_EEvT3_20rocsparse_direction_NS_24const_host_device_scalarIT1_EES3_PKS3_PKT2_SC_S9_PKT4_PKT5_S7_PT6_21rocsparse_index_base_b: ; @_ZN9rocsparseL18bsrxmvn_4x4_kernelILj128ELj32E21rocsparse_complex_numIfEllfS2_S2_EEvT3_20rocsparse_direction_NS_24const_host_device_scalarIT1_EES3_PKS3_PKT2_SC_S9_PKT4_PKT5_S7_PT6_21rocsparse_index_base_b
; %bb.0:
	s_load_dwordx2 s[16:17], s[4:5], 0x60
	s_load_dwordx4 s[8:11], s[4:5], 0x10
	s_load_dwordx2 s[2:3], s[4:5], 0x50
	s_waitcnt lgkmcnt(0)
	s_bitcmp1_b32 s17, 0
	s_cselect_b64 s[0:1], -1, 0
	s_xor_b64 s[12:13], s[0:1], -1
	s_and_b64 vcc, exec, s[0:1]
	v_mov_b32_e32 v32, s8
	s_cbranch_vccnz .LBB133_2
; %bb.1:
	v_pk_mov_b32 v[2:3], s[8:9], s[8:9] op_sel:[0,1]
	flat_load_dword v32, v[2:3]
.LBB133_2:
	v_cndmask_b32_e64 v1, 0, 1, s[12:13]
	v_cmp_ne_u32_e64 s[0:1], 1, v1
	s_andn2_b64 vcc, exec, s[12:13]
	v_mov_b32_e32 v33, s9
	s_cbranch_vccz .LBB133_15
; %bb.3:
	s_and_b64 vcc, exec, s[0:1]
	v_mov_b32_e32 v34, s2
	s_cbranch_vccz .LBB133_16
.LBB133_4:
	s_and_b64 vcc, exec, s[0:1]
	v_mov_b32_e32 v35, s3
	s_cbranch_vccnz .LBB133_6
.LBB133_5:
	v_pk_mov_b32 v[2:3], s[2:3], s[2:3] op_sel:[0,1]
	flat_load_dword v35, v[2:3] offset:4
.LBB133_6:
	s_waitcnt vmcnt(0) lgkmcnt(0)
	v_and_b32_e32 v1, 0x7fffffff, v32
	v_cmp_eq_u32_e32 vcc, 0, v1
	v_cmp_eq_f32_e64 s[0:1], 0, v33
	s_and_b64 s[8:9], vcc, s[0:1]
	s_mov_b64 s[0:1], -1
	s_and_saveexec_b64 s[2:3], s[8:9]
; %bb.7:
	v_and_b32_e32 v1, 0x7fffffff, v35
	v_cmp_neq_f32_e32 vcc, 1.0, v34
	v_cmp_ne_u32_e64 s[0:1], 0, v1
	s_or_b64 s[0:1], vcc, s[0:1]
	s_orn2_b64 s[0:1], s[0:1], exec
; %bb.8:
	s_or_b64 exec, exec, s[2:3]
	s_and_saveexec_b64 s[2:3], s[0:1]
	s_cbranch_execz .LBB133_14
; %bb.9:
	s_load_dwordx2 s[2:3], s[4:5], 0x20
	v_lshrrev_b32_e32 v1, 5, v0
	v_lshl_or_b32 v2, s6, 2, v1
	v_mov_b32_e32 v3, 0
	s_mov_b64 s[0:1], 0
	s_waitcnt lgkmcnt(0)
	s_cmp_lg_u64 s[2:3], 0
	s_cbranch_scc0 .LBB133_17
; %bb.10:
	v_cmp_gt_i64_e32 vcc, s[10:11], v[2:3]
                                        ; implicit-def: $vgpr36_vgpr37
	s_and_saveexec_b64 s[6:7], vcc
	s_xor_b64 s[6:7], exec, s[6:7]
                                        ; implicit-def: $sgpr18_sgpr19
	s_cbranch_execz .LBB133_12
; %bb.11:
	v_lshlrev_b64 v[4:5], 3, v[2:3]
	v_mov_b32_e32 v1, s3
	v_add_co_u32_e32 v4, vcc, s2, v4
	v_addc_co_u32_e32 v5, vcc, v1, v5, vcc
	global_load_dwordx2 v[4:5], v[4:5], off
	s_mov_b64 s[0:1], exec
	s_mov_b32 s19, 0
	s_waitcnt vmcnt(0)
	v_subrev_co_u32_e32 v36, vcc, s16, v4
	v_subbrev_co_u32_e32 v37, vcc, 0, v5, vcc
.LBB133_12:
	s_or_b64 exec, exec, s[6:7]
.LBB133_13:
	s_and_b64 exec, exec, s[0:1]
	s_cbranch_execnz .LBB133_21
.LBB133_14:
	s_endpgm
.LBB133_15:
	v_pk_mov_b32 v[2:3], s[8:9], s[8:9] op_sel:[0,1]
	flat_load_dword v33, v[2:3] offset:4
	s_and_b64 vcc, exec, s[0:1]
	v_mov_b32_e32 v34, s2
	s_cbranch_vccnz .LBB133_4
.LBB133_16:
	v_pk_mov_b32 v[2:3], s[2:3], s[2:3] op_sel:[0,1]
	flat_load_dword v34, v[2:3]
	s_and_b64 vcc, exec, s[0:1]
	v_mov_b32_e32 v35, s3
	s_cbranch_vccz .LBB133_5
	s_branch .LBB133_6
.LBB133_17:
                                        ; implicit-def: $vgpr36_vgpr37
                                        ; implicit-def: $sgpr18_sgpr19
	s_cbranch_execz .LBB133_13
; %bb.18:
	s_load_dwordx2 s[2:3], s[4:5], 0x0
                                        ; implicit-def: $vgpr36_vgpr37
	s_waitcnt lgkmcnt(0)
	v_cmp_gt_i64_e32 vcc, s[2:3], v[2:3]
	s_and_saveexec_b64 s[2:3], vcc
                                        ; implicit-def: $sgpr18_sgpr19
; %bb.19:
	s_mov_b32 s19, 0
	s_or_b64 s[0:1], s[0:1], exec
	v_pk_mov_b32 v[36:37], v[2:3], v[2:3] op_sel:[0,1]
; %bb.20:
	s_or_b64 exec, exec, s[2:3]
	s_and_b64 exec, exec, s[0:1]
	s_cbranch_execz .LBB133_14
.LBB133_21:
	s_load_dwordx8 s[8:15], s[4:5], 0x28
	v_lshlrev_b64 v[2:3], 3, v[36:37]
	v_and_b32_e32 v38, 31, v0
	v_mov_b32_e32 v0, s19
	v_mov_b32_e32 v29, 0
	s_waitcnt lgkmcnt(0)
	v_mov_b32_e32 v1, s9
	v_add_co_u32_e32 v4, vcc, s8, v2
	v_addc_co_u32_e32 v5, vcc, v1, v3, vcc
	v_add_co_u32_e32 v1, vcc, 8, v4
	global_load_dwordx2 v[46:47], v[4:5], off
	v_addc_co_u32_e32 v4, vcc, 0, v5, vcc
	v_mov_b32_e32 v5, s11
	v_add_co_u32_e32 v2, vcc, s10, v2
	s_cmp_eq_u64 s[10:11], 0
	v_addc_co_u32_e32 v3, vcc, v5, v3, vcc
	s_cselect_b64 vcc, -1, 0
	v_cndmask_b32_e32 v3, v3, v4, vcc
	v_cndmask_b32_e32 v2, v2, v1, vcc
	global_load_dwordx2 v[2:3], v[2:3], off
	s_load_dwordx2 s[6:7], s[4:5], 0x48
	s_load_dword s0, s[4:5], 0x8
	v_mov_b32_e32 v4, s15
	s_waitcnt lgkmcnt(0)
	s_cmp_eq_u32 s0, 1
	s_waitcnt vmcnt(1)
	v_subrev_co_u32_e32 v1, vcc, s16, v46
	v_subb_co_u32_e32 v5, vcc, v47, v0, vcc
	v_add_co_u32_e32 v40, vcc, v1, v38
	v_addc_co_u32_e32 v41, vcc, 0, v5, vcc
	s_waitcnt vmcnt(0)
	v_subrev_co_u32_e32 v42, vcc, s16, v2
	v_subb_co_u32_e32 v43, vcc, v3, v0, vcc
	v_lshlrev_b64 v[0:1], 6, v[40:41]
	v_add_co_u32_e32 v44, vcc, s14, v0
	v_addc_co_u32_e32 v45, vcc, v4, v1, vcc
	v_cmp_lt_i64_e64 s[0:1], v[40:41], v[42:43]
	s_cbranch_scc1 .LBB133_33
; %bb.22:
	v_mov_b32_e32 v28, 0
	v_mov_b32_e32 v31, 0
	;; [unrolled: 1-line block ×7, first 2 shown]
	s_and_saveexec_b64 s[8:9], s[0:1]
	s_cbranch_execz .LBB133_32
; %bb.23:
	v_or_b32_e32 v0, 32, v38
	v_mov_b32_e32 v1, s19
	v_subrev_co_u32_e32 v0, vcc, s16, v0
	v_subb_co_u32_e32 v1, vcc, 0, v1, vcc
	v_add_co_u32_e32 v0, vcc, v0, v46
	v_addc_co_u32_e32 v1, vcc, v1, v47, vcc
	v_cmp_gt_i64_e32 vcc, v[0:1], v[42:43]
	v_cndmask_b32_e32 v1, v43, v1, vcc
	v_cndmask_b32_e32 v0, v42, v0, vcc
	v_mov_b32_e32 v4, s19
	v_sub_co_u32_e32 v5, vcc, s16, v38
	v_not_b32_e32 v3, v46
	v_subbrev_co_u32_e32 v4, vcc, 0, v4, vcc
	v_not_b32_e32 v2, v47
	v_add_co_u32_e32 v3, vcc, v5, v3
	v_addc_co_u32_e32 v4, vcc, v4, v2, vcc
	v_add_co_u32_e32 v2, vcc, v3, v0
	v_lshrrev_b32_e32 v0, 5, v2
	v_add_u32_e32 v0, 1, v0
	v_addc_co_u32_e32 v3, vcc, v4, v1, vcc
	v_and_b32_e32 v4, 3, v0
	v_mov_b32_e32 v0, 0
	v_cmp_ne_u32_e32 vcc, 0, v4
	v_mov_b32_e32 v1, v0
	v_mov_b32_e32 v12, v0
	;; [unrolled: 1-line block ×7, first 2 shown]
	v_pk_mov_b32 v[48:49], v[44:45], v[44:45] op_sel:[0,1]
	v_pk_mov_b32 v[50:51], v[40:41], v[40:41] op_sel:[0,1]
	s_and_saveexec_b64 s[10:11], vcc
	s_cbranch_execz .LBB133_27
; %bb.24:
	v_lshlrev_b64 v[0:1], 3, v[40:41]
	v_mov_b32_e32 v5, 0
	v_mov_b32_e32 v7, s13
	v_add_co_u32_e32 v6, vcc, s12, v0
	v_lshlrev_b32_e32 v4, 3, v4
	v_addc_co_u32_e32 v7, vcc, v7, v1, vcc
	s_mov_b64 s[14:15], 0
	s_movk_i32 s17, 0x800
	v_mov_b32_e32 v14, s19
	v_mov_b32_e32 v15, s7
	v_bfrev_b32_e32 v8, 1
	v_pk_mov_b32 v[10:11], v[4:5], v[4:5] op_sel:[0,1]
	v_pk_mov_b32 v[50:51], v[40:41], v[40:41] op_sel:[0,1]
	;; [unrolled: 1-line block ×3, first 2 shown]
	v_mov_b32_e32 v0, v5
	v_mov_b32_e32 v1, v5
	;; [unrolled: 1-line block ×8, first 2 shown]
.LBB133_25:                             ; =>This Inner Loop Header: Depth=1
	global_load_dwordx2 v[24:25], v[6:7], off
	global_load_dwordx4 v[16:19], v[48:49], off offset:16
	global_load_dwordx4 v[20:23], v[48:49], off
	v_add_co_u32_e64 v50, s[2:3], 32, v50
	v_addc_co_u32_e64 v51, s[2:3], 0, v51, s[2:3]
	v_add_co_u32_e64 v10, s[2:3], -8, v10
	v_addc_co_u32_e64 v11, s[2:3], -1, v11, s[2:3]
	v_cmp_eq_u64_e64 s[2:3], 0, v[10:11]
	s_or_b64 s[14:15], s[2:3], s[14:15]
	s_waitcnt vmcnt(2)
	v_subrev_co_u32_e32 v24, vcc, s16, v24
	v_subb_co_u32_e32 v25, vcc, v25, v14, vcc
	v_lshlrev_b64 v[24:25], 5, v[24:25]
	v_add_co_u32_e32 v64, vcc, s6, v24
	v_addc_co_u32_e32 v65, vcc, v15, v25, vcc
	global_load_dwordx4 v[24:27], v[64:65], off
	global_load_dwordx4 v[52:55], v[64:65], off offset:16
	global_load_dwordx4 v[56:59], v[48:49], off offset:32
	;; [unrolled: 1-line block ×3, first 2 shown]
	s_waitcnt vmcnt(4)
	v_mov_b32_e32 v4, v20
	v_mov_b32_e32 v9, v20
	v_add_co_u32_e32 v48, vcc, s17, v48
	v_addc_co_u32_e32 v49, vcc, 0, v49, vcc
	v_add_co_u32_e32 v6, vcc, 0x100, v6
	v_addc_co_u32_e32 v7, vcc, 0, v7, vcc
	s_waitcnt vmcnt(3)
	v_pk_fma_f32 v[28:29], v[24:25], v[4:5], v[28:29] op_sel_hi:[0,1,1]
	v_mov_b32_e32 v4, v21
	v_pk_fma_f32 v[28:29], v[24:25], v[8:9], v[28:29] op_sel:[1,0,0]
	v_mov_b32_e32 v20, v27
	v_mov_b32_e32 v9, v21
	v_pk_fma_f32 v[28:29], v[26:27], v[4:5], v[28:29] op_sel_hi:[0,1,1]
	v_mov_b32_e32 v4, v22
	v_pk_fma_f32 v[28:29], v[20:21], v[8:9], v[28:29] op_sel_hi:[0,1,1]
	v_mov_b32_e32 v9, v22
	s_waitcnt vmcnt(2)
	v_pk_fma_f32 v[28:29], v[52:53], v[4:5], v[28:29] op_sel_hi:[0,1,1]
	v_mov_b32_e32 v4, v23
	v_pk_fma_f32 v[28:29], v[52:53], v[8:9], v[28:29] op_sel:[1,0,0]
	v_mov_b32_e32 v64, v55
	v_mov_b32_e32 v9, v23
	v_pk_fma_f32 v[22:23], v[54:55], v[4:5], v[28:29] op_sel_hi:[0,1,1]
	v_mov_b32_e32 v4, v16
	v_pk_fma_f32 v[28:29], v[64:65], v[8:9], v[22:23] op_sel_hi:[0,1,1]
	v_pk_fma_f32 v[22:23], v[24:25], v[4:5], v[30:31] op_sel_hi:[0,1,1]
	v_mov_b32_e32 v9, v16
	v_mov_b32_e32 v4, v17
	v_pk_fma_f32 v[22:23], v[24:25], v[8:9], v[22:23] op_sel:[1,0,0]
	v_mov_b32_e32 v9, v17
	v_pk_fma_f32 v[16:17], v[26:27], v[4:5], v[22:23] op_sel_hi:[0,1,1]
	v_mov_b32_e32 v4, v18
	v_pk_fma_f32 v[16:17], v[20:21], v[8:9], v[16:17] op_sel_hi:[0,1,1]
	;; [unrolled: 2-line block ×3, first 2 shown]
	v_mov_b32_e32 v4, v19
	v_pk_fma_f32 v[16:17], v[52:53], v[8:9], v[16:17] op_sel:[1,0,0]
	v_mov_b32_e32 v9, v19
	v_pk_fma_f32 v[16:17], v[54:55], v[4:5], v[16:17] op_sel_hi:[0,1,1]
	s_waitcnt vmcnt(1)
	v_mov_b32_e32 v4, v56
	v_pk_fma_f32 v[30:31], v[64:65], v[8:9], v[16:17] op_sel_hi:[0,1,1]
	v_pk_fma_f32 v[12:13], v[24:25], v[4:5], v[12:13] op_sel_hi:[0,1,1]
	v_mov_b32_e32 v9, v56
	v_mov_b32_e32 v4, v57
	v_pk_fma_f32 v[12:13], v[24:25], v[8:9], v[12:13] op_sel:[1,0,0]
	v_mov_b32_e32 v9, v57
	v_pk_fma_f32 v[12:13], v[26:27], v[4:5], v[12:13] op_sel_hi:[0,1,1]
	v_mov_b32_e32 v4, v58
	v_pk_fma_f32 v[12:13], v[20:21], v[8:9], v[12:13] op_sel_hi:[0,1,1]
	;; [unrolled: 2-line block ×3, first 2 shown]
	v_mov_b32_e32 v4, v59
	v_pk_fma_f32 v[12:13], v[52:53], v[8:9], v[12:13] op_sel:[1,0,0]
	v_mov_b32_e32 v9, v59
	v_pk_fma_f32 v[12:13], v[54:55], v[4:5], v[12:13] op_sel_hi:[0,1,1]
	s_waitcnt vmcnt(0)
	v_mov_b32_e32 v4, v60
	v_pk_fma_f32 v[12:13], v[64:65], v[8:9], v[12:13] op_sel_hi:[0,1,1]
	v_pk_fma_f32 v[0:1], v[24:25], v[4:5], v[0:1] op_sel_hi:[0,1,1]
	v_mov_b32_e32 v9, v60
	v_mov_b32_e32 v4, v61
	v_pk_fma_f32 v[0:1], v[24:25], v[8:9], v[0:1] op_sel:[1,0,0]
	v_mov_b32_e32 v9, v61
	v_pk_fma_f32 v[0:1], v[26:27], v[4:5], v[0:1] op_sel_hi:[0,1,1]
	v_mov_b32_e32 v4, v62
	v_pk_fma_f32 v[0:1], v[20:21], v[8:9], v[0:1] op_sel_hi:[0,1,1]
	;; [unrolled: 2-line block ×3, first 2 shown]
	v_mov_b32_e32 v4, v63
	v_pk_fma_f32 v[0:1], v[52:53], v[8:9], v[0:1] op_sel:[1,0,0]
	v_mov_b32_e32 v9, v63
	v_pk_fma_f32 v[0:1], v[54:55], v[4:5], v[0:1] op_sel_hi:[0,1,1]
	v_pk_fma_f32 v[0:1], v[64:65], v[8:9], v[0:1] op_sel_hi:[0,1,1]
	s_andn2_b64 exec, exec, s[14:15]
	s_cbranch_execnz .LBB133_25
; %bb.26:
	s_or_b64 exec, exec, s[14:15]
.LBB133_27:
	s_or_b64 exec, exec, s[10:11]
	s_mov_b64 s[2:3], 0x5f
	v_cmp_lt_u64_e32 vcc, s[2:3], v[2:3]
	s_and_saveexec_b64 s[10:11], vcc
	s_cbranch_execz .LBB133_31
; %bb.28:
	v_lshlrev_b64 v[2:3], 3, v[50:51]
	v_mov_b32_e32 v4, s13
	v_add_co_u32_e32 v2, vcc, s12, v2
	v_addc_co_u32_e32 v3, vcc, v3, v4, vcc
	v_add_co_u32_e32 v52, vcc, 0x200, v2
	v_addc_co_u32_e32 v53, vcc, 0, v3, vcc
	s_mov_b64 s[14:15], 0
	v_mov_b32_e32 v39, s19
	v_mov_b32_e32 v66, s7
	s_movk_i32 s17, 0x1000
	s_movk_i32 s18, 0x80
	v_mov_b32_e32 v55, 0
	v_bfrev_b32_e32 v56, 1
.LBB133_29:                             ; =>This Inner Loop Header: Depth=1
	global_load_dwordx2 v[2:3], v[52:53], off offset:-512
	s_waitcnt vmcnt(0)
	v_subrev_co_u32_e32 v6, vcc, s16, v2
	v_subb_co_u32_e32 v7, vcc, v3, v39, vcc
	v_lshlrev_b64 v[6:7], 5, v[6:7]
	v_add_co_u32_e32 v6, vcc, s6, v6
	v_addc_co_u32_e32 v7, vcc, v66, v7, vcc
	global_load_dwordx4 v[2:5], v[48:49], off offset:48
	global_load_dwordx4 v[62:65], v[48:49], off offset:32
	;; [unrolled: 1-line block ×3, first 2 shown]
	global_load_dwordx4 v[58:61], v[48:49], off
	global_load_dwordx4 v[72:75], v[6:7], off offset:16
	global_load_dwordx4 v[76:79], v[6:7], off
	global_load_dwordx2 v[8:9], v[52:53], off offset:-256
	s_waitcnt vmcnt(3)
	v_mov_b32_e32 v54, v58
	s_waitcnt vmcnt(0)
	v_subrev_co_u32_e32 v6, vcc, s16, v8
	v_subb_co_u32_e32 v7, vcc, v9, v39, vcc
	v_lshlrev_b64 v[6:7], 5, v[6:7]
	v_add_co_u32_e32 v6, vcc, s6, v6
	global_load_dwordx4 v[8:11], v[48:49], off offset:2096
	global_load_dwordx4 v[24:27], v[48:49], off offset:2080
	;; [unrolled: 1-line block ×4, first 2 shown]
	v_addc_co_u32_e32 v7, vcc, v66, v7, vcc
	global_load_dwordx4 v[16:19], v[6:7], off offset:16
	global_load_dwordx4 v[20:23], v[6:7], off
	v_pk_fma_f32 v[6:7], v[76:77], v[54:55], v[28:29] op_sel_hi:[0,1,1]
	v_mov_b32_e32 v57, v58
	v_pk_fma_f32 v[6:7], v[76:77], v[56:57], v[6:7] op_sel:[1,0,0]
	v_mov_b32_e32 v54, v59
	v_pk_fma_f32 v[6:7], v[78:79], v[54:55], v[6:7] op_sel_hi:[0,1,1]
	v_mov_b32_e32 v14, v79
	v_mov_b32_e32 v57, v59
	v_pk_fma_f32 v[6:7], v[14:15], v[56:57], v[6:7] op_sel_hi:[0,1,1]
	v_mov_b32_e32 v54, v60
	v_pk_fma_f32 v[6:7], v[72:73], v[54:55], v[6:7] op_sel_hi:[0,1,1]
	v_mov_b32_e32 v57, v60
	v_pk_fma_f32 v[6:7], v[72:73], v[56:57], v[6:7] op_sel:[1,0,0]
	v_mov_b32_e32 v54, v61
	v_pk_fma_f32 v[6:7], v[74:75], v[54:55], v[6:7] op_sel_hi:[0,1,1]
	v_mov_b32_e32 v28, v75
	v_mov_b32_e32 v57, v61
	v_pk_fma_f32 v[6:7], v[28:29], v[56:57], v[6:7] op_sel_hi:[0,1,1]
	s_waitcnt vmcnt(2)
	v_mov_b32_e32 v54, v84
	v_mov_b32_e32 v57, v84
	s_waitcnt vmcnt(0)
	v_pk_fma_f32 v[6:7], v[20:21], v[54:55], v[6:7] op_sel_hi:[0,1,1]
	v_mov_b32_e32 v54, v68
	v_pk_fma_f32 v[60:61], v[20:21], v[56:57], v[6:7] op_sel:[1,0,0]
	v_pk_fma_f32 v[6:7], v[76:77], v[54:55], v[30:31] op_sel_hi:[0,1,1]
	v_mov_b32_e32 v57, v68
	v_pk_fma_f32 v[6:7], v[76:77], v[56:57], v[6:7] op_sel:[1,0,0]
	v_mov_b32_e32 v54, v69
	v_pk_fma_f32 v[6:7], v[78:79], v[54:55], v[6:7] op_sel_hi:[0,1,1]
	v_mov_b32_e32 v57, v69
	v_pk_fma_f32 v[6:7], v[14:15], v[56:57], v[6:7] op_sel_hi:[0,1,1]
	v_mov_b32_e32 v54, v70
	v_pk_fma_f32 v[6:7], v[72:73], v[54:55], v[6:7] op_sel_hi:[0,1,1]
	v_mov_b32_e32 v57, v70
	v_pk_fma_f32 v[6:7], v[72:73], v[56:57], v[6:7] op_sel:[1,0,0]
	v_mov_b32_e32 v54, v71
	v_pk_fma_f32 v[6:7], v[74:75], v[54:55], v[6:7] op_sel_hi:[0,1,1]
	v_mov_b32_e32 v57, v71
	v_pk_fma_f32 v[6:7], v[28:29], v[56:57], v[6:7] op_sel_hi:[0,1,1]
	v_mov_b32_e32 v54, v80
	v_pk_fma_f32 v[6:7], v[20:21], v[54:55], v[6:7] op_sel_hi:[0,1,1]
	v_mov_b32_e32 v57, v80
	v_mov_b32_e32 v54, v62
	v_pk_fma_f32 v[58:59], v[20:21], v[56:57], v[6:7] op_sel:[1,0,0]
	v_pk_fma_f32 v[6:7], v[76:77], v[54:55], v[12:13] op_sel_hi:[0,1,1]
	v_mov_b32_e32 v57, v62
	v_pk_fma_f32 v[6:7], v[76:77], v[56:57], v[6:7] op_sel:[1,0,0]
	v_mov_b32_e32 v54, v63
	v_pk_fma_f32 v[6:7], v[78:79], v[54:55], v[6:7] op_sel_hi:[0,1,1]
	v_mov_b32_e32 v57, v63
	v_pk_fma_f32 v[6:7], v[14:15], v[56:57], v[6:7] op_sel_hi:[0,1,1]
	v_mov_b32_e32 v54, v64
	v_pk_fma_f32 v[6:7], v[72:73], v[54:55], v[6:7] op_sel_hi:[0,1,1]
	v_mov_b32_e32 v57, v64
	v_pk_fma_f32 v[6:7], v[72:73], v[56:57], v[6:7] op_sel:[1,0,0]
	v_mov_b32_e32 v54, v65
	v_pk_fma_f32 v[6:7], v[74:75], v[54:55], v[6:7] op_sel_hi:[0,1,1]
	v_mov_b32_e32 v57, v65
	v_pk_fma_f32 v[6:7], v[28:29], v[56:57], v[6:7] op_sel_hi:[0,1,1]
	v_mov_b32_e32 v54, v24
	v_pk_fma_f32 v[6:7], v[20:21], v[54:55], v[6:7] op_sel_hi:[0,1,1]
	v_mov_b32_e32 v57, v24
	v_mov_b32_e32 v54, v2
	v_pk_fma_f32 v[64:65], v[20:21], v[56:57], v[6:7] op_sel:[1,0,0]
	v_pk_fma_f32 v[0:1], v[76:77], v[54:55], v[0:1] op_sel_hi:[0,1,1]
	v_mov_b32_e32 v57, v2
	v_pk_fma_f32 v[0:1], v[76:77], v[56:57], v[0:1] op_sel:[1,0,0]
	v_mov_b32_e32 v54, v3
	v_pk_fma_f32 v[0:1], v[78:79], v[54:55], v[0:1] op_sel_hi:[0,1,1]
	v_mov_b32_e32 v57, v3
	v_pk_fma_f32 v[0:1], v[14:15], v[56:57], v[0:1] op_sel_hi:[0,1,1]
	v_mov_b32_e32 v54, v4
	v_pk_fma_f32 v[0:1], v[72:73], v[54:55], v[0:1] op_sel_hi:[0,1,1]
	v_mov_b32_e32 v57, v4
	v_pk_fma_f32 v[0:1], v[72:73], v[56:57], v[0:1] op_sel:[1,0,0]
	v_mov_b32_e32 v54, v5
	v_pk_fma_f32 v[0:1], v[74:75], v[54:55], v[0:1] op_sel_hi:[0,1,1]
	v_mov_b32_e32 v57, v5
	v_pk_fma_f32 v[0:1], v[28:29], v[56:57], v[0:1] op_sel_hi:[0,1,1]
	v_mov_b32_e32 v54, v8
	v_pk_fma_f32 v[0:1], v[20:21], v[54:55], v[0:1] op_sel_hi:[0,1,1]
	v_mov_b32_e32 v57, v8
	v_pk_fma_f32 v[62:63], v[20:21], v[56:57], v[0:1] op_sel:[1,0,0]
	global_load_dwordx2 v[0:1], v[52:53], off
	v_add_co_u32_e32 v20, vcc, s17, v48
	v_addc_co_u32_e32 v21, vcc, 0, v49, vcc
	v_mov_b32_e32 v54, v85
	v_pk_fma_f32 v[60:61], v[22:23], v[54:55], v[60:61] op_sel_hi:[0,1,1]
	v_mov_b32_e32 v8, v23
	v_mov_b32_e32 v57, v85
	v_pk_fma_f32 v[60:61], v[8:9], v[56:57], v[60:61] op_sel_hi:[0,1,1]
	v_mov_b32_e32 v54, v86
	v_pk_fma_f32 v[60:61], v[16:17], v[54:55], v[60:61] op_sel_hi:[0,1,1]
	v_mov_b32_e32 v57, v86
	v_pk_fma_f32 v[60:61], v[16:17], v[56:57], v[60:61] op_sel:[1,0,0]
	v_mov_b32_e32 v54, v87
	v_pk_fma_f32 v[60:61], v[18:19], v[54:55], v[60:61] op_sel_hi:[0,1,1]
	v_mov_b32_e32 v24, v19
	v_mov_b32_e32 v57, v87
	v_pk_fma_f32 v[60:61], v[24:25], v[56:57], v[60:61] op_sel_hi:[0,1,1]
	s_waitcnt vmcnt(0)
	v_subrev_co_u32_e32 v4, vcc, s16, v0
	v_subb_co_u32_e32 v5, vcc, v1, v39, vcc
	v_lshlrev_b64 v[4:5], 5, v[4:5]
	v_add_co_u32_e32 v76, vcc, s6, v4
	v_addc_co_u32_e32 v77, vcc, v66, v5, vcc
	global_load_dwordx4 v[68:71], v[20:21], off
	global_load_dwordx4 v[0:3], v[20:21], off offset:48
	global_load_dwordx4 v[12:15], v[20:21], off offset:32
	;; [unrolled: 1-line block ×4, first 2 shown]
	global_load_dwordx4 v[72:75], v[76:77], off
	s_waitcnt vmcnt(5)
	v_mov_b32_e32 v54, v68
	v_mov_b32_e32 v57, v68
	s_waitcnt vmcnt(0)
	v_pk_fma_f32 v[60:61], v[72:73], v[54:55], v[60:61] op_sel_hi:[0,1,1]
	v_pk_fma_f32 v[60:61], v[72:73], v[56:57], v[60:61] op_sel:[1,0,0]
	v_mov_b32_e32 v54, v69
	v_pk_fma_f32 v[60:61], v[74:75], v[54:55], v[60:61] op_sel_hi:[0,1,1]
	v_mov_b32_e32 v68, v75
	v_mov_b32_e32 v57, v69
	v_pk_fma_f32 v[60:61], v[68:69], v[56:57], v[60:61] op_sel_hi:[0,1,1]
	v_mov_b32_e32 v54, v70
	v_pk_fma_f32 v[60:61], v[4:5], v[54:55], v[60:61] op_sel_hi:[0,1,1]
	v_mov_b32_e32 v54, v81
	v_pk_fma_f32 v[58:59], v[22:23], v[54:55], v[58:59] op_sel_hi:[0,1,1]
	v_mov_b32_e32 v57, v81
	v_pk_fma_f32 v[58:59], v[8:9], v[56:57], v[58:59] op_sel_hi:[0,1,1]
	v_mov_b32_e32 v54, v82
	v_pk_fma_f32 v[58:59], v[16:17], v[54:55], v[58:59] op_sel_hi:[0,1,1]
	v_mov_b32_e32 v57, v82
	v_pk_fma_f32 v[58:59], v[16:17], v[56:57], v[58:59] op_sel:[1,0,0]
	v_mov_b32_e32 v54, v83
	v_pk_fma_f32 v[58:59], v[18:19], v[54:55], v[58:59] op_sel_hi:[0,1,1]
	v_mov_b32_e32 v57, v83
	v_pk_fma_f32 v[58:59], v[24:25], v[56:57], v[58:59] op_sel_hi:[0,1,1]
	v_mov_b32_e32 v54, v28
	v_pk_fma_f32 v[58:59], v[72:73], v[54:55], v[58:59] op_sel_hi:[0,1,1]
	v_mov_b32_e32 v57, v28
	v_pk_fma_f32 v[58:59], v[72:73], v[56:57], v[58:59] op_sel:[1,0,0]
	v_mov_b32_e32 v54, v29
	v_pk_fma_f32 v[58:59], v[74:75], v[54:55], v[58:59] op_sel_hi:[0,1,1]
	v_mov_b32_e32 v57, v29
	v_pk_fma_f32 v[28:29], v[68:69], v[56:57], v[58:59] op_sel_hi:[0,1,1]
	v_mov_b32_e32 v54, v30
	v_pk_fma_f32 v[58:59], v[4:5], v[54:55], v[28:29] op_sel_hi:[0,1,1]
	v_mov_b32_e32 v54, v25
	v_pk_fma_f32 v[28:29], v[22:23], v[54:55], v[64:65] op_sel_hi:[0,1,1]
	v_mov_b32_e32 v57, v25
	v_pk_fma_f32 v[28:29], v[8:9], v[56:57], v[28:29] op_sel_hi:[0,1,1]
	v_mov_b32_e32 v54, v26
	v_pk_fma_f32 v[28:29], v[16:17], v[54:55], v[28:29] op_sel_hi:[0,1,1]
	v_mov_b32_e32 v57, v26
	v_pk_fma_f32 v[28:29], v[16:17], v[56:57], v[28:29] op_sel:[1,0,0]
	v_mov_b32_e32 v54, v27
	v_pk_fma_f32 v[28:29], v[18:19], v[54:55], v[28:29] op_sel_hi:[0,1,1]
	v_mov_b32_e32 v57, v27
	v_pk_fma_f32 v[26:27], v[24:25], v[56:57], v[28:29] op_sel_hi:[0,1,1]
	v_mov_b32_e32 v54, v12
	v_pk_fma_f32 v[26:27], v[72:73], v[54:55], v[26:27] op_sel_hi:[0,1,1]
	v_mov_b32_e32 v57, v12
	v_pk_fma_f32 v[26:27], v[72:73], v[56:57], v[26:27] op_sel:[1,0,0]
	v_mov_b32_e32 v54, v13
	v_pk_fma_f32 v[26:27], v[74:75], v[54:55], v[26:27] op_sel_hi:[0,1,1]
	;; [unrolled: 22-line block ×3, first 2 shown]
	v_mov_b32_e32 v57, v1
	v_pk_fma_f32 v[0:1], v[68:69], v[56:57], v[8:9] op_sel_hi:[0,1,1]
	global_load_dwordx2 v[8:9], v[52:53], off offset:256
	v_mov_b32_e32 v54, v2
	v_mov_b32_e32 v57, v70
	v_pk_fma_f32 v[0:1], v[4:5], v[54:55], v[0:1] op_sel_hi:[0,1,1]
	v_mov_b32_e32 v54, v71
	s_waitcnt vmcnt(0)
	v_subrev_co_u32_e32 v62, vcc, s16, v8
	v_subb_co_u32_e32 v63, vcc, v9, v39, vcc
	global_load_dwordx4 v[8:11], v[20:21], off offset:2096
	global_load_dwordx4 v[16:19], v[20:21], off offset:2080
	;; [unrolled: 1-line block ×4, first 2 shown]
	v_lshlrev_b64 v[20:21], 5, v[62:63]
	v_add_co_u32_e32 v20, vcc, s6, v20
	v_addc_co_u32_e32 v21, vcc, v66, v21, vcc
	global_load_dwordx4 v[62:65], v[20:21], off offset:16
	global_load_dwordx4 v[72:75], v[20:21], off
	v_pk_fma_f32 v[20:21], v[4:5], v[56:57], v[60:61] op_sel:[1,0,0]
	v_pk_fma_f32 v[20:21], v[6:7], v[54:55], v[20:21] op_sel_hi:[0,1,1]
	v_mov_b32_e32 v60, v7
	v_mov_b32_e32 v57, v71
	v_pk_fma_f32 v[20:21], v[60:61], v[56:57], v[20:21] op_sel_hi:[0,1,1]
	v_add_co_u32_e32 v50, vcc, s18, v50
	v_addc_co_u32_e32 v51, vcc, 0, v51, vcc
	v_add_co_u32_e32 v52, vcc, 0x400, v52
	v_addc_co_u32_e32 v53, vcc, 0, v53, vcc
	v_cmp_ge_i64_e64 s[2:3], v[50:51], v[42:43]
	v_add_co_u32_e32 v48, vcc, 0x2000, v48
	v_addc_co_u32_e32 v49, vcc, 0, v49, vcc
	s_or_b64 s[14:15], s[2:3], s[14:15]
	s_waitcnt vmcnt(2)
	v_mov_b32_e32 v54, v26
	v_mov_b32_e32 v57, v26
	s_waitcnt vmcnt(1)
	v_mov_b32_e32 v68, v65
	s_waitcnt vmcnt(0)
	v_pk_fma_f32 v[20:21], v[72:73], v[54:55], v[20:21] op_sel_hi:[0,1,1]
	v_pk_fma_f32 v[20:21], v[72:73], v[56:57], v[20:21] op_sel:[1,0,0]
	v_mov_b32_e32 v54, v27
	v_pk_fma_f32 v[20:21], v[74:75], v[54:55], v[20:21] op_sel_hi:[0,1,1]
	v_mov_b32_e32 v26, v75
	v_mov_b32_e32 v57, v27
	v_pk_fma_f32 v[20:21], v[26:27], v[56:57], v[20:21] op_sel_hi:[0,1,1]
	v_mov_b32_e32 v54, v28
	v_pk_fma_f32 v[20:21], v[62:63], v[54:55], v[20:21] op_sel_hi:[0,1,1]
	v_mov_b32_e32 v57, v28
	v_pk_fma_f32 v[20:21], v[62:63], v[56:57], v[20:21] op_sel:[1,0,0]
	v_mov_b32_e32 v54, v29
	v_pk_fma_f32 v[20:21], v[64:65], v[54:55], v[20:21] op_sel_hi:[0,1,1]
	v_mov_b32_e32 v57, v29
	v_pk_fma_f32 v[28:29], v[68:69], v[56:57], v[20:21] op_sel_hi:[0,1,1]
	v_mov_b32_e32 v57, v30
	v_pk_fma_f32 v[20:21], v[4:5], v[56:57], v[58:59] op_sel:[1,0,0]
	v_mov_b32_e32 v54, v31
	v_pk_fma_f32 v[20:21], v[6:7], v[54:55], v[20:21] op_sel_hi:[0,1,1]
	v_mov_b32_e32 v57, v31
	v_pk_fma_f32 v[20:21], v[60:61], v[56:57], v[20:21] op_sel_hi:[0,1,1]
	v_mov_b32_e32 v54, v22
	v_pk_fma_f32 v[20:21], v[72:73], v[54:55], v[20:21] op_sel_hi:[0,1,1]
	v_mov_b32_e32 v57, v22
	v_pk_fma_f32 v[20:21], v[72:73], v[56:57], v[20:21] op_sel:[1,0,0]
	v_mov_b32_e32 v54, v23
	v_pk_fma_f32 v[20:21], v[74:75], v[54:55], v[20:21] op_sel_hi:[0,1,1]
	v_mov_b32_e32 v57, v23
	v_pk_fma_f32 v[20:21], v[26:27], v[56:57], v[20:21] op_sel_hi:[0,1,1]
	v_mov_b32_e32 v54, v24
	v_pk_fma_f32 v[20:21], v[62:63], v[54:55], v[20:21] op_sel_hi:[0,1,1]
	v_mov_b32_e32 v57, v24
	v_pk_fma_f32 v[20:21], v[62:63], v[56:57], v[20:21] op_sel:[1,0,0]
	v_mov_b32_e32 v54, v25
	v_pk_fma_f32 v[20:21], v[64:65], v[54:55], v[20:21] op_sel_hi:[0,1,1]
	v_mov_b32_e32 v57, v25
	v_pk_fma_f32 v[30:31], v[68:69], v[56:57], v[20:21] op_sel_hi:[0,1,1]
	v_mov_b32_e32 v57, v14
	v_pk_fma_f32 v[12:13], v[4:5], v[56:57], v[12:13] op_sel:[1,0,0]
	v_mov_b32_e32 v54, v15
	v_pk_fma_f32 v[12:13], v[6:7], v[54:55], v[12:13] op_sel_hi:[0,1,1]
	v_mov_b32_e32 v57, v15
	v_pk_fma_f32 v[12:13], v[60:61], v[56:57], v[12:13] op_sel_hi:[0,1,1]
	v_mov_b32_e32 v54, v16
	v_pk_fma_f32 v[12:13], v[72:73], v[54:55], v[12:13] op_sel_hi:[0,1,1]
	v_mov_b32_e32 v57, v16
	v_pk_fma_f32 v[12:13], v[72:73], v[56:57], v[12:13] op_sel:[1,0,0]
	v_mov_b32_e32 v54, v17
	v_pk_fma_f32 v[12:13], v[74:75], v[54:55], v[12:13] op_sel_hi:[0,1,1]
	;; [unrolled: 22-line block ×3, first 2 shown]
	v_mov_b32_e32 v57, v9
	v_pk_fma_f32 v[0:1], v[26:27], v[56:57], v[0:1] op_sel_hi:[0,1,1]
	v_mov_b32_e32 v54, v10
	v_pk_fma_f32 v[0:1], v[62:63], v[54:55], v[0:1] op_sel_hi:[0,1,1]
	v_mov_b32_e32 v57, v10
	v_pk_fma_f32 v[0:1], v[62:63], v[56:57], v[0:1] op_sel:[1,0,0]
	v_mov_b32_e32 v54, v11
	v_pk_fma_f32 v[0:1], v[64:65], v[54:55], v[0:1] op_sel_hi:[0,1,1]
	v_mov_b32_e32 v57, v11
	v_pk_fma_f32 v[0:1], v[68:69], v[56:57], v[0:1] op_sel_hi:[0,1,1]
	s_andn2_b64 exec, exec, s[14:15]
	s_cbranch_execnz .LBB133_29
; %bb.30:
	s_or_b64 exec, exec, s[14:15]
.LBB133_31:
	s_or_b64 exec, exec, s[10:11]
.LBB133_32:
	s_or_b64 exec, exec, s[8:9]
	s_cbranch_execz .LBB133_34
	s_branch .LBB133_45
.LBB133_33:
                                        ; implicit-def: $vgpr29
                                        ; implicit-def: $vgpr31
                                        ; implicit-def: $vgpr13
                                        ; implicit-def: $vgpr1
.LBB133_34:
	v_mov_b32_e32 v29, 0
	v_mov_b32_e32 v28, 0
	;; [unrolled: 1-line block ×8, first 2 shown]
	s_and_saveexec_b64 s[2:3], s[0:1]
	s_cbranch_execz .LBB133_44
; %bb.35:
	v_or_b32_e32 v0, 32, v38
	v_mov_b32_e32 v1, s19
	v_subrev_co_u32_e32 v0, vcc, s16, v0
	v_subb_co_u32_e32 v1, vcc, 0, v1, vcc
	v_add_co_u32_e32 v0, vcc, v0, v46
	v_addc_co_u32_e32 v1, vcc, v1, v47, vcc
	v_cmp_gt_i64_e32 vcc, v[0:1], v[42:43]
	v_cndmask_b32_e32 v1, v43, v1, vcc
	v_cndmask_b32_e32 v0, v42, v0, vcc
	v_mov_b32_e32 v4, s19
	v_sub_co_u32_e32 v5, vcc, s16, v38
	v_not_b32_e32 v3, v46
	v_subbrev_co_u32_e32 v4, vcc, 0, v4, vcc
	v_not_b32_e32 v2, v47
	v_add_co_u32_e32 v3, vcc, v5, v3
	v_addc_co_u32_e32 v4, vcc, v4, v2, vcc
	v_add_co_u32_e32 v2, vcc, v3, v0
	v_lshrrev_b32_e32 v0, 5, v2
	v_add_u32_e32 v0, 1, v0
	v_addc_co_u32_e32 v3, vcc, v4, v1, vcc
	v_and_b32_e32 v4, 3, v0
	v_mov_b32_e32 v0, 0
	v_cmp_ne_u32_e32 vcc, 0, v4
	v_mov_b32_e32 v1, v0
	v_mov_b32_e32 v12, v0
	;; [unrolled: 1-line block ×7, first 2 shown]
	s_and_saveexec_b64 s[8:9], vcc
	s_cbranch_execz .LBB133_39
; %bb.36:
	v_lshlrev_b64 v[0:1], 3, v[40:41]
	v_mov_b32_e32 v5, 0
	v_mov_b32_e32 v7, s13
	v_add_co_u32_e32 v6, vcc, s12, v0
	v_lshlrev_b32_e32 v4, 3, v4
	v_addc_co_u32_e32 v7, vcc, v7, v1, vcc
	s_mov_b64 s[10:11], 0
	s_movk_i32 s14, 0x800
	v_mov_b32_e32 v14, s19
	v_mov_b32_e32 v15, s7
	v_bfrev_b32_e32 v8, 1
	v_pk_mov_b32 v[10:11], v[4:5], v[4:5] op_sel:[0,1]
	v_mov_b32_e32 v0, v5
	v_mov_b32_e32 v1, v5
	;; [unrolled: 1-line block ×8, first 2 shown]
.LBB133_37:                             ; =>This Inner Loop Header: Depth=1
	global_load_dwordx2 v[46:47], v[6:7], off
	global_load_dwordx4 v[16:19], v[44:45], off offset:32
	global_load_dwordx4 v[20:23], v[44:45], off offset:16
	global_load_dwordx4 v[24:27], v[44:45], off
	v_add_co_u32_e64 v40, s[0:1], 32, v40
	v_addc_co_u32_e64 v41, s[0:1], 0, v41, s[0:1]
	v_add_co_u32_e64 v10, s[0:1], -8, v10
	v_addc_co_u32_e64 v11, s[0:1], -1, v11, s[0:1]
	v_cmp_eq_u64_e64 s[0:1], 0, v[10:11]
	s_or_b64 s[10:11], s[0:1], s[10:11]
	s_waitcnt vmcnt(3)
	v_subrev_co_u32_e32 v46, vcc, s16, v46
	v_subb_co_u32_e32 v47, vcc, v47, v14, vcc
	v_lshlrev_b64 v[46:47], 5, v[46:47]
	v_add_co_u32_e32 v58, vcc, s6, v46
	v_addc_co_u32_e32 v59, vcc, v15, v47, vcc
	global_load_dwordx4 v[46:49], v[58:59], off
	global_load_dwordx4 v[50:53], v[58:59], off offset:16
	global_load_dwordx4 v[54:57], v[44:45], off offset:48
	s_waitcnt vmcnt(3)
	v_mov_b32_e32 v4, v24
	v_mov_b32_e32 v9, v24
	v_add_co_u32_e32 v44, vcc, s14, v44
	v_addc_co_u32_e32 v45, vcc, 0, v45, vcc
	v_add_co_u32_e32 v6, vcc, 0x100, v6
	v_addc_co_u32_e32 v7, vcc, 0, v7, vcc
	s_waitcnt vmcnt(2)
	v_pk_fma_f32 v[28:29], v[46:47], v[4:5], v[28:29] op_sel_hi:[0,1,1]
	v_mov_b32_e32 v4, v20
	v_pk_fma_f32 v[28:29], v[46:47], v[8:9], v[28:29] op_sel:[1,0,0]
	v_mov_b32_e32 v24, v49
	v_mov_b32_e32 v9, v20
	v_pk_fma_f32 v[28:29], v[48:49], v[4:5], v[28:29] op_sel_hi:[0,1,1]
	v_mov_b32_e32 v4, v16
	v_pk_fma_f32 v[28:29], v[24:25], v[8:9], v[28:29] op_sel_hi:[0,1,1]
	v_mov_b32_e32 v9, v16
	s_waitcnt vmcnt(1)
	v_pk_fma_f32 v[28:29], v[50:51], v[4:5], v[28:29] op_sel_hi:[0,1,1]
	s_waitcnt vmcnt(0)
	v_mov_b32_e32 v4, v54
	v_pk_fma_f32 v[28:29], v[50:51], v[8:9], v[28:29] op_sel:[1,0,0]
	v_mov_b32_e32 v58, v53
	v_mov_b32_e32 v9, v54
	v_pk_fma_f32 v[28:29], v[52:53], v[4:5], v[28:29] op_sel_hi:[0,1,1]
	v_mov_b32_e32 v4, v25
	v_pk_fma_f32 v[28:29], v[58:59], v[8:9], v[28:29] op_sel_hi:[0,1,1]
	v_pk_fma_f32 v[30:31], v[46:47], v[4:5], v[30:31] op_sel_hi:[0,1,1]
	v_mov_b32_e32 v9, v25
	v_mov_b32_e32 v4, v21
	v_pk_fma_f32 v[30:31], v[46:47], v[8:9], v[30:31] op_sel:[1,0,0]
	v_mov_b32_e32 v9, v21
	v_pk_fma_f32 v[20:21], v[48:49], v[4:5], v[30:31] op_sel_hi:[0,1,1]
	v_mov_b32_e32 v4, v17
	v_pk_fma_f32 v[20:21], v[24:25], v[8:9], v[20:21] op_sel_hi:[0,1,1]
	v_mov_b32_e32 v9, v17
	v_pk_fma_f32 v[16:17], v[50:51], v[4:5], v[20:21] op_sel_hi:[0,1,1]
	v_mov_b32_e32 v4, v55
	v_pk_fma_f32 v[16:17], v[50:51], v[8:9], v[16:17] op_sel:[1,0,0]
	v_mov_b32_e32 v9, v55
	v_pk_fma_f32 v[16:17], v[52:53], v[4:5], v[16:17] op_sel_hi:[0,1,1]
	v_mov_b32_e32 v4, v26
	v_pk_fma_f32 v[30:31], v[58:59], v[8:9], v[16:17] op_sel_hi:[0,1,1]
	v_pk_fma_f32 v[12:13], v[46:47], v[4:5], v[12:13] op_sel_hi:[0,1,1]
	v_mov_b32_e32 v9, v26
	v_mov_b32_e32 v4, v22
	v_pk_fma_f32 v[12:13], v[46:47], v[8:9], v[12:13] op_sel:[1,0,0]
	v_mov_b32_e32 v9, v22
	v_pk_fma_f32 v[12:13], v[48:49], v[4:5], v[12:13] op_sel_hi:[0,1,1]
	v_mov_b32_e32 v4, v18
	v_pk_fma_f32 v[12:13], v[24:25], v[8:9], v[12:13] op_sel_hi:[0,1,1]
	v_mov_b32_e32 v9, v18
	v_pk_fma_f32 v[12:13], v[50:51], v[4:5], v[12:13] op_sel_hi:[0,1,1]
	v_mov_b32_e32 v4, v56
	v_pk_fma_f32 v[12:13], v[50:51], v[8:9], v[12:13] op_sel:[1,0,0]
	;; [unrolled: 16-line block ×3, first 2 shown]
	v_mov_b32_e32 v9, v57
	v_pk_fma_f32 v[0:1], v[52:53], v[4:5], v[0:1] op_sel_hi:[0,1,1]
	v_pk_fma_f32 v[0:1], v[58:59], v[8:9], v[0:1] op_sel_hi:[0,1,1]
	s_andn2_b64 exec, exec, s[10:11]
	s_cbranch_execnz .LBB133_37
; %bb.38:
	s_or_b64 exec, exec, s[10:11]
.LBB133_39:
	s_or_b64 exec, exec, s[8:9]
	s_mov_b64 s[0:1], 0x5f
	v_cmp_lt_u64_e32 vcc, s[0:1], v[2:3]
	s_and_saveexec_b64 s[8:9], vcc
	s_cbranch_execz .LBB133_43
; %bb.40:
	v_lshlrev_b64 v[2:3], 3, v[40:41]
	v_mov_b32_e32 v4, s13
	v_add_co_u32_e32 v2, vcc, s12, v2
	v_addc_co_u32_e32 v3, vcc, v3, v4, vcc
	v_add_co_u32_e32 v14, vcc, 0x200, v2
	v_addc_co_u32_e32 v15, vcc, 0, v3, vcc
	s_mov_b64 s[10:11], 0
	v_mov_b32_e32 v39, s19
	v_mov_b32_e32 v46, s7
	s_movk_i32 s7, 0x1000
	s_movk_i32 s12, 0x80
	v_mov_b32_e32 v17, 0
	v_bfrev_b32_e32 v18, 1
.LBB133_41:                             ; =>This Inner Loop Header: Depth=1
	global_load_dwordx2 v[2:3], v[14:15], off offset:-512
	global_load_dwordx4 v[48:51], v[44:45], off offset:48
	global_load_dwordx4 v[52:55], v[44:45], off offset:32
	;; [unrolled: 1-line block ×3, first 2 shown]
	global_load_dwordx4 v[60:63], v[44:45], off
	s_waitcnt vmcnt(4)
	v_subrev_co_u32_e32 v2, vcc, s16, v2
	v_subb_co_u32_e32 v3, vcc, v3, v39, vcc
	v_lshlrev_b64 v[2:3], 5, v[2:3]
	v_add_co_u32_e32 v2, vcc, s6, v2
	v_addc_co_u32_e32 v3, vcc, v46, v3, vcc
	global_load_dwordx4 v[64:67], v[2:3], off offset:16
	global_load_dwordx4 v[68:71], v[2:3], off
	global_load_dwordx2 v[4:5], v[14:15], off offset:-256
	global_load_dwordx4 v[72:75], v[44:45], off offset:2096
	global_load_dwordx4 v[76:79], v[44:45], off offset:2080
	;; [unrolled: 1-line block ×4, first 2 shown]
	s_waitcnt vmcnt(7)
	v_mov_b32_e32 v16, v60
	v_mov_b32_e32 v19, v60
	s_waitcnt vmcnt(5)
	v_mov_b32_e32 v24, v71
	s_waitcnt vmcnt(4)
	v_subrev_co_u32_e32 v2, vcc, s16, v4
	v_subb_co_u32_e32 v3, vcc, v5, v39, vcc
	v_lshlrev_b64 v[2:3], 5, v[2:3]
	v_add_co_u32_e32 v2, vcc, s6, v2
	v_addc_co_u32_e32 v3, vcc, v46, v3, vcc
	global_load_dwordx4 v[4:7], v[2:3], off offset:16
	global_load_dwordx4 v[8:11], v[2:3], off
	v_pk_fma_f32 v[2:3], v[68:69], v[16:17], v[28:29] op_sel_hi:[0,1,1]
	v_pk_fma_f32 v[2:3], v[68:69], v[18:19], v[2:3] op_sel:[1,0,0]
	v_mov_b32_e32 v16, v56
	v_pk_fma_f32 v[2:3], v[70:71], v[16:17], v[2:3] op_sel_hi:[0,1,1]
	v_mov_b32_e32 v19, v56
	v_pk_fma_f32 v[2:3], v[24:25], v[18:19], v[2:3] op_sel_hi:[0,1,1]
	;; [unrolled: 2-line block ×3, first 2 shown]
	v_mov_b32_e32 v19, v52
	v_pk_fma_f32 v[2:3], v[64:65], v[18:19], v[2:3] op_sel:[1,0,0]
	v_mov_b32_e32 v16, v48
	v_pk_fma_f32 v[2:3], v[66:67], v[16:17], v[2:3] op_sel_hi:[0,1,1]
	v_mov_b32_e32 v28, v67
	v_mov_b32_e32 v19, v48
	v_pk_fma_f32 v[2:3], v[28:29], v[18:19], v[2:3] op_sel_hi:[0,1,1]
	s_waitcnt vmcnt(2)
	v_mov_b32_e32 v16, v84
	v_mov_b32_e32 v19, v84
	s_waitcnt vmcnt(0)
	v_pk_fma_f32 v[2:3], v[8:9], v[16:17], v[2:3] op_sel_hi:[0,1,1]
	v_mov_b32_e32 v16, v61
	v_pk_fma_f32 v[22:23], v[8:9], v[18:19], v[2:3] op_sel:[1,0,0]
	v_pk_fma_f32 v[2:3], v[68:69], v[16:17], v[30:31] op_sel_hi:[0,1,1]
	v_mov_b32_e32 v19, v61
	v_pk_fma_f32 v[2:3], v[68:69], v[18:19], v[2:3] op_sel:[1,0,0]
	v_mov_b32_e32 v16, v57
	v_pk_fma_f32 v[2:3], v[70:71], v[16:17], v[2:3] op_sel_hi:[0,1,1]
	v_mov_b32_e32 v19, v57
	v_pk_fma_f32 v[2:3], v[24:25], v[18:19], v[2:3] op_sel_hi:[0,1,1]
	v_mov_b32_e32 v16, v53
	v_pk_fma_f32 v[2:3], v[64:65], v[16:17], v[2:3] op_sel_hi:[0,1,1]
	v_mov_b32_e32 v19, v53
	v_pk_fma_f32 v[2:3], v[64:65], v[18:19], v[2:3] op_sel:[1,0,0]
	v_mov_b32_e32 v16, v49
	v_pk_fma_f32 v[2:3], v[66:67], v[16:17], v[2:3] op_sel_hi:[0,1,1]
	v_mov_b32_e32 v19, v49
	v_pk_fma_f32 v[2:3], v[28:29], v[18:19], v[2:3] op_sel_hi:[0,1,1]
	v_mov_b32_e32 v16, v85
	v_pk_fma_f32 v[2:3], v[8:9], v[16:17], v[2:3] op_sel_hi:[0,1,1]
	v_mov_b32_e32 v19, v85
	v_mov_b32_e32 v16, v62
	v_pk_fma_f32 v[26:27], v[8:9], v[18:19], v[2:3] op_sel:[1,0,0]
	v_pk_fma_f32 v[2:3], v[68:69], v[16:17], v[12:13] op_sel_hi:[0,1,1]
	v_mov_b32_e32 v19, v62
	v_pk_fma_f32 v[2:3], v[68:69], v[18:19], v[2:3] op_sel:[1,0,0]
	v_mov_b32_e32 v16, v58
	v_pk_fma_f32 v[2:3], v[70:71], v[16:17], v[2:3] op_sel_hi:[0,1,1]
	v_mov_b32_e32 v19, v58
	v_pk_fma_f32 v[2:3], v[24:25], v[18:19], v[2:3] op_sel_hi:[0,1,1]
	v_mov_b32_e32 v16, v54
	v_pk_fma_f32 v[2:3], v[64:65], v[16:17], v[2:3] op_sel_hi:[0,1,1]
	v_mov_b32_e32 v19, v54
	v_pk_fma_f32 v[2:3], v[64:65], v[18:19], v[2:3] op_sel:[1,0,0]
	v_mov_b32_e32 v16, v50
	v_pk_fma_f32 v[2:3], v[66:67], v[16:17], v[2:3] op_sel_hi:[0,1,1]
	v_mov_b32_e32 v19, v50
	v_pk_fma_f32 v[2:3], v[28:29], v[18:19], v[2:3] op_sel_hi:[0,1,1]
	v_mov_b32_e32 v16, v86
	v_pk_fma_f32 v[2:3], v[8:9], v[16:17], v[2:3] op_sel_hi:[0,1,1]
	v_mov_b32_e32 v19, v86
	;; [unrolled: 20-line block ×3, first 2 shown]
	v_pk_fma_f32 v[24:25], v[8:9], v[18:19], v[0:1] op_sel:[1,0,0]
	global_load_dwordx2 v[0:1], v[14:15], off
	v_add_co_u32_e32 v8, vcc, s7, v44
	v_addc_co_u32_e32 v9, vcc, 0, v45, vcc
	global_load_dwordx4 v[28:31], v[8:9], off
	global_load_dwordx4 v[48:51], v[8:9], off offset:48
	global_load_dwordx4 v[52:55], v[8:9], off offset:32
	;; [unrolled: 1-line block ×3, first 2 shown]
	v_mov_b32_e32 v16, v80
	v_mov_b32_e32 v64, v11
	;; [unrolled: 1-line block ×4, first 2 shown]
	s_waitcnt vmcnt(4)
	v_subrev_co_u32_e32 v0, vcc, s16, v0
	v_subb_co_u32_e32 v1, vcc, v1, v39, vcc
	v_lshlrev_b64 v[0:1], 5, v[0:1]
	v_add_co_u32_e32 v12, vcc, s6, v0
	v_addc_co_u32_e32 v13, vcc, v46, v1, vcc
	global_load_dwordx4 v[0:3], v[12:13], off offset:16
	global_load_dwordx4 v[60:63], v[12:13], off
	v_pk_fma_f32 v[12:13], v[10:11], v[16:17], v[22:23] op_sel_hi:[0,1,1]
	v_pk_fma_f32 v[12:13], v[64:65], v[18:19], v[12:13] op_sel_hi:[0,1,1]
	v_mov_b32_e32 v16, v76
	v_pk_fma_f32 v[12:13], v[4:5], v[16:17], v[12:13] op_sel_hi:[0,1,1]
	v_mov_b32_e32 v19, v76
	v_pk_fma_f32 v[12:13], v[4:5], v[18:19], v[12:13] op_sel:[1,0,0]
	v_mov_b32_e32 v16, v72
	v_pk_fma_f32 v[12:13], v[6:7], v[16:17], v[12:13] op_sel_hi:[0,1,1]
	v_mov_b32_e32 v19, v72
	v_pk_fma_f32 v[12:13], v[66:67], v[18:19], v[12:13] op_sel_hi:[0,1,1]
	s_waitcnt vmcnt(5)
	v_mov_b32_e32 v16, v28
	v_mov_b32_e32 v19, v28
	s_waitcnt vmcnt(0)
	v_pk_fma_f32 v[12:13], v[60:61], v[16:17], v[12:13] op_sel_hi:[0,1,1]
	v_pk_fma_f32 v[12:13], v[60:61], v[18:19], v[12:13] op_sel:[1,0,0]
	v_mov_b32_e32 v16, v56
	v_pk_fma_f32 v[12:13], v[62:63], v[16:17], v[12:13] op_sel_hi:[0,1,1]
	v_mov_b32_e32 v28, v63
	v_mov_b32_e32 v19, v56
	v_pk_fma_f32 v[12:13], v[28:29], v[18:19], v[12:13] op_sel_hi:[0,1,1]
	v_mov_b32_e32 v16, v52
	v_pk_fma_f32 v[22:23], v[0:1], v[16:17], v[12:13] op_sel_hi:[0,1,1]
	;; [unrolled: 2-line block ×5, first 2 shown]
	v_mov_b32_e32 v19, v77
	v_pk_fma_f32 v[12:13], v[4:5], v[18:19], v[12:13] op_sel:[1,0,0]
	v_mov_b32_e32 v16, v73
	v_pk_fma_f32 v[12:13], v[6:7], v[16:17], v[12:13] op_sel_hi:[0,1,1]
	v_mov_b32_e32 v19, v73
	v_pk_fma_f32 v[12:13], v[66:67], v[18:19], v[12:13] op_sel_hi:[0,1,1]
	;; [unrolled: 2-line block ×3, first 2 shown]
	v_mov_b32_e32 v19, v29
	v_pk_fma_f32 v[12:13], v[60:61], v[18:19], v[12:13] op_sel:[1,0,0]
	v_mov_b32_e32 v16, v57
	v_pk_fma_f32 v[12:13], v[62:63], v[16:17], v[12:13] op_sel_hi:[0,1,1]
	v_mov_b32_e32 v19, v57
	v_pk_fma_f32 v[12:13], v[28:29], v[18:19], v[12:13] op_sel_hi:[0,1,1]
	v_mov_b32_e32 v16, v53
	v_pk_fma_f32 v[12:13], v[0:1], v[16:17], v[12:13] op_sel_hi:[0,1,1]
	v_mov_b32_e32 v16, v82
	v_pk_fma_f32 v[20:21], v[10:11], v[16:17], v[20:21] op_sel_hi:[0,1,1]
	v_mov_b32_e32 v19, v82
	v_pk_fma_f32 v[20:21], v[64:65], v[18:19], v[20:21] op_sel_hi:[0,1,1]
	v_mov_b32_e32 v16, v78
	v_pk_fma_f32 v[20:21], v[4:5], v[16:17], v[20:21] op_sel_hi:[0,1,1]
	v_mov_b32_e32 v19, v78
	v_pk_fma_f32 v[20:21], v[4:5], v[18:19], v[20:21] op_sel:[1,0,0]
	v_mov_b32_e32 v16, v74
	v_pk_fma_f32 v[20:21], v[6:7], v[16:17], v[20:21] op_sel_hi:[0,1,1]
	v_mov_b32_e32 v19, v74
	v_pk_fma_f32 v[20:21], v[66:67], v[18:19], v[20:21] op_sel_hi:[0,1,1]
	;; [unrolled: 2-line block ×3, first 2 shown]
	v_mov_b32_e32 v19, v30
	v_pk_fma_f32 v[20:21], v[60:61], v[18:19], v[20:21] op_sel:[1,0,0]
	v_mov_b32_e32 v16, v58
	v_pk_fma_f32 v[20:21], v[62:63], v[16:17], v[20:21] op_sel_hi:[0,1,1]
	v_mov_b32_e32 v19, v58
	v_pk_fma_f32 v[20:21], v[28:29], v[18:19], v[20:21] op_sel_hi:[0,1,1]
	;; [unrolled: 2-line block ×6, first 2 shown]
	v_mov_b32_e32 v19, v79
	v_pk_fma_f32 v[4:5], v[4:5], v[18:19], v[10:11] op_sel:[1,0,0]
	v_mov_b32_e32 v16, v75
	v_pk_fma_f32 v[4:5], v[6:7], v[16:17], v[4:5] op_sel_hi:[0,1,1]
	global_load_dwordx2 v[6:7], v[14:15], off offset:256
	v_mov_b32_e32 v19, v75
	v_pk_fma_f32 v[4:5], v[66:67], v[18:19], v[4:5] op_sel_hi:[0,1,1]
	v_mov_b32_e32 v16, v31
	v_pk_fma_f32 v[4:5], v[60:61], v[16:17], v[4:5] op_sel_hi:[0,1,1]
	v_mov_b32_e32 v19, v31
	v_pk_fma_f32 v[4:5], v[60:61], v[18:19], v[4:5] op_sel:[1,0,0]
	v_mov_b32_e32 v16, v59
	v_pk_fma_f32 v[4:5], v[62:63], v[16:17], v[4:5] op_sel_hi:[0,1,1]
	v_mov_b32_e32 v19, v59
	global_load_dwordx4 v[24:27], v[8:9], off offset:2096
	global_load_dwordx4 v[56:59], v[8:9], off offset:2080
	;; [unrolled: 1-line block ×4, first 2 shown]
	v_pk_fma_f32 v[4:5], v[28:29], v[18:19], v[4:5] op_sel_hi:[0,1,1]
	v_mov_b32_e32 v16, v55
	v_mov_b32_e32 v19, v52
	v_pk_fma_f32 v[4:5], v[0:1], v[16:17], v[4:5] op_sel_hi:[0,1,1]
	v_mov_b32_e32 v16, v48
	s_waitcnt vmcnt(4)
	v_subrev_co_u32_e32 v6, vcc, s16, v6
	v_subb_co_u32_e32 v7, vcc, v7, v39, vcc
	v_lshlrev_b64 v[6:7], 5, v[6:7]
	v_add_co_u32_e32 v10, vcc, s6, v6
	v_addc_co_u32_e32 v11, vcc, v46, v7, vcc
	global_load_dwordx4 v[6:9], v[10:11], off offset:16
	global_load_dwordx4 v[68:71], v[10:11], off
	v_pk_fma_f32 v[10:11], v[0:1], v[18:19], v[22:23] op_sel:[1,0,0]
	v_pk_fma_f32 v[10:11], v[2:3], v[16:17], v[10:11] op_sel_hi:[0,1,1]
	v_mov_b32_e32 v22, v3
	v_mov_b32_e32 v19, v48
	v_pk_fma_f32 v[10:11], v[22:23], v[18:19], v[10:11] op_sel_hi:[0,1,1]
	s_waitcnt vmcnt(2)
	v_mov_b32_e32 v16, v64
	v_mov_b32_e32 v19, v64
	v_add_co_u32_e32 v40, vcc, s12, v40
	v_addc_co_u32_e32 v41, vcc, 0, v41, vcc
	v_add_co_u32_e32 v14, vcc, 0x400, v14
	v_addc_co_u32_e32 v15, vcc, 0, v15, vcc
	v_cmp_ge_i64_e64 s[0:1], v[40:41], v[42:43]
	v_add_co_u32_e32 v44, vcc, 0x2000, v44
	v_addc_co_u32_e32 v45, vcc, 0, v45, vcc
	s_or_b64 s[10:11], s[0:1], s[10:11]
	s_waitcnt vmcnt(1)
	v_mov_b32_e32 v52, v9
	s_waitcnt vmcnt(0)
	v_pk_fma_f32 v[10:11], v[68:69], v[16:17], v[10:11] op_sel_hi:[0,1,1]
	v_pk_fma_f32 v[10:11], v[68:69], v[18:19], v[10:11] op_sel:[1,0,0]
	v_mov_b32_e32 v16, v60
	v_pk_fma_f32 v[10:11], v[70:71], v[16:17], v[10:11] op_sel_hi:[0,1,1]
	v_mov_b32_e32 v48, v71
	v_mov_b32_e32 v19, v60
	v_pk_fma_f32 v[10:11], v[48:49], v[18:19], v[10:11] op_sel_hi:[0,1,1]
	v_mov_b32_e32 v16, v56
	v_pk_fma_f32 v[10:11], v[6:7], v[16:17], v[10:11] op_sel_hi:[0,1,1]
	v_mov_b32_e32 v19, v56
	v_pk_fma_f32 v[10:11], v[6:7], v[18:19], v[10:11] op_sel:[1,0,0]
	v_mov_b32_e32 v16, v24
	v_pk_fma_f32 v[10:11], v[8:9], v[16:17], v[10:11] op_sel_hi:[0,1,1]
	v_mov_b32_e32 v19, v24
	v_pk_fma_f32 v[28:29], v[52:53], v[18:19], v[10:11] op_sel_hi:[0,1,1]
	v_mov_b32_e32 v19, v53
	v_pk_fma_f32 v[10:11], v[0:1], v[18:19], v[12:13] op_sel:[1,0,0]
	v_mov_b32_e32 v16, v49
	v_pk_fma_f32 v[10:11], v[2:3], v[16:17], v[10:11] op_sel_hi:[0,1,1]
	v_mov_b32_e32 v19, v49
	v_pk_fma_f32 v[10:11], v[22:23], v[18:19], v[10:11] op_sel_hi:[0,1,1]
	v_mov_b32_e32 v16, v65
	v_pk_fma_f32 v[10:11], v[68:69], v[16:17], v[10:11] op_sel_hi:[0,1,1]
	v_mov_b32_e32 v19, v65
	v_pk_fma_f32 v[10:11], v[68:69], v[18:19], v[10:11] op_sel:[1,0,0]
	v_mov_b32_e32 v16, v61
	v_pk_fma_f32 v[10:11], v[70:71], v[16:17], v[10:11] op_sel_hi:[0,1,1]
	v_mov_b32_e32 v19, v61
	v_pk_fma_f32 v[10:11], v[48:49], v[18:19], v[10:11] op_sel_hi:[0,1,1]
	v_mov_b32_e32 v16, v57
	v_pk_fma_f32 v[10:11], v[6:7], v[16:17], v[10:11] op_sel_hi:[0,1,1]
	v_mov_b32_e32 v19, v57
	v_pk_fma_f32 v[10:11], v[6:7], v[18:19], v[10:11] op_sel:[1,0,0]
	v_mov_b32_e32 v16, v25
	v_pk_fma_f32 v[10:11], v[8:9], v[16:17], v[10:11] op_sel_hi:[0,1,1]
	v_mov_b32_e32 v19, v25
	v_pk_fma_f32 v[30:31], v[52:53], v[18:19], v[10:11] op_sel_hi:[0,1,1]
	v_mov_b32_e32 v19, v54
	v_pk_fma_f32 v[10:11], v[0:1], v[18:19], v[20:21] op_sel:[1,0,0]
	v_mov_b32_e32 v16, v50
	v_pk_fma_f32 v[10:11], v[2:3], v[16:17], v[10:11] op_sel_hi:[0,1,1]
	v_mov_b32_e32 v19, v50
	v_pk_fma_f32 v[10:11], v[22:23], v[18:19], v[10:11] op_sel_hi:[0,1,1]
	v_mov_b32_e32 v16, v66
	v_pk_fma_f32 v[10:11], v[68:69], v[16:17], v[10:11] op_sel_hi:[0,1,1]
	v_mov_b32_e32 v19, v66
	v_pk_fma_f32 v[10:11], v[68:69], v[18:19], v[10:11] op_sel:[1,0,0]
	v_mov_b32_e32 v16, v62
	v_pk_fma_f32 v[10:11], v[70:71], v[16:17], v[10:11] op_sel_hi:[0,1,1]
	;; [unrolled: 22-line block ×3, first 2 shown]
	v_mov_b32_e32 v19, v63
	v_pk_fma_f32 v[0:1], v[48:49], v[18:19], v[0:1] op_sel_hi:[0,1,1]
	v_mov_b32_e32 v16, v59
	v_pk_fma_f32 v[0:1], v[6:7], v[16:17], v[0:1] op_sel_hi:[0,1,1]
	v_mov_b32_e32 v19, v59
	v_pk_fma_f32 v[0:1], v[6:7], v[18:19], v[0:1] op_sel:[1,0,0]
	v_mov_b32_e32 v16, v27
	v_pk_fma_f32 v[0:1], v[8:9], v[16:17], v[0:1] op_sel_hi:[0,1,1]
	v_mov_b32_e32 v19, v27
	v_pk_fma_f32 v[0:1], v[52:53], v[18:19], v[0:1] op_sel_hi:[0,1,1]
	s_andn2_b64 exec, exec, s[10:11]
	s_cbranch_execnz .LBB133_41
; %bb.42:
	s_or_b64 exec, exec, s[10:11]
.LBB133_43:
	s_or_b64 exec, exec, s[8:9]
.LBB133_44:
	s_or_b64 exec, exec, s[2:3]
.LBB133_45:
	v_mov_b32_dpp v8, v31 row_shr:1 row_mask:0xf bank_mask:0xf
	v_add_f32_e32 v8, v31, v8
	v_mov_b32_dpp v2, v28 row_shr:1 row_mask:0xf bank_mask:0xf
	v_mov_b32_dpp v4, v29 row_shr:1 row_mask:0xf bank_mask:0xf
	v_mov_b32_dpp v9, v8 row_shr:2 row_mask:0xf bank_mask:0xf
	v_add_f32_e32 v8, v8, v9
	v_mov_b32_dpp v6, v30 row_shr:1 row_mask:0xf bank_mask:0xf
	v_add_f32_e32 v2, v28, v2
	v_mov_b32_dpp v9, v8 row_shr:4 row_mask:0xf bank_mask:0xe
	v_add_f32_e32 v8, v8, v9
	v_add_f32_e32 v4, v29, v4
	v_add_f32_e32 v6, v30, v6
	v_mov_b32_dpp v9, v8 row_shr:8 row_mask:0xf bank_mask:0xc
	v_add_f32_e32 v9, v8, v9
	v_mov_b32_dpp v8, v12 row_shr:1 row_mask:0xf bank_mask:0xf
	v_add_f32_e32 v8, v12, v8
	v_mov_b32_dpp v3, v2 row_shr:2 row_mask:0xf bank_mask:0xf
	v_mov_b32_dpp v5, v4 row_shr:2 row_mask:0xf bank_mask:0xf
	v_mov_b32_dpp v11, v8 row_shr:2 row_mask:0xf bank_mask:0xf
	v_add_f32_e32 v8, v8, v11
	v_mov_b32_dpp v7, v6 row_shr:2 row_mask:0xf bank_mask:0xf
	v_add_f32_e32 v2, v2, v3
	v_mov_b32_dpp v11, v8 row_shr:4 row_mask:0xf bank_mask:0xe
	v_add_f32_e32 v8, v8, v11
	v_add_f32_e32 v4, v4, v5
	v_add_f32_e32 v6, v6, v7
	v_mov_b32_dpp v11, v8 row_shr:8 row_mask:0xf bank_mask:0xc
	v_add_f32_e32 v11, v8, v11
	;; [unrolled: 14-line block ×4, first 2 shown]
	v_mov_b32_dpp v3, v2 row_bcast:15 row_mask:0xa bank_mask:0xf
	v_mov_b32_dpp v8, v1 row_shr:1 row_mask:0xf bank_mask:0xf
	v_add_f32_e32 v1, v1, v8
	v_mov_b32_dpp v5, v4 row_bcast:15 row_mask:0xa bank_mask:0xf
	v_mov_b32_dpp v7, v6 row_bcast:15 row_mask:0xa bank_mask:0xf
	v_mov_b32_dpp v8, v1 row_shr:2 row_mask:0xf bank_mask:0xf
	v_add_f32_e32 v1, v1, v8
	v_mov_b32_dpp v10, v9 row_bcast:15 row_mask:0xa bank_mask:0xf
	;; [unrolled: 4-line block ×3, first 2 shown]
	v_mov_b32_dpp v17, v0 row_bcast:15 row_mask:0xa bank_mask:0xf
	v_mov_b32_dpp v8, v1 row_shr:8 row_mask:0xf bank_mask:0xc
	v_add_f32_e32 v1, v1, v8
	v_cmp_eq_u32_e32 vcc, 31, v38
	s_nop 0
	v_mov_b32_dpp v18, v1 row_bcast:15 row_mask:0xa bank_mask:0xf
	s_and_b64 exec, exec, vcc
	s_cbranch_execz .LBB133_14
; %bb.46:
	s_load_dwordx2 s[2:3], s[4:5], 0x58
	v_add_f32_e32 v14, v4, v5
	v_add_f32_e32 v4, v1, v18
	v_and_b32_e32 v1, 0x7fffffff, v34
	v_cmp_eq_u32_e32 vcc, 0, v1
	v_cmp_eq_f32_e64 s[0:1], 0, v35
	v_add_f32_e32 v8, v2, v3
	v_add_f32_e32 v6, v6, v7
	;; [unrolled: 1-line block ×6, first 2 shown]
	s_and_b64 s[0:1], vcc, s[0:1]
	v_lshlrev_b64 v[16:17], 5, v[36:37]
	s_and_saveexec_b64 s[4:5], s[0:1]
	s_xor_b64 s[0:1], exec, s[4:5]
	s_cbranch_execz .LBB133_48
; %bb.47:
	v_xor_b32_e32 v18, 0x80000000, v33
	v_mov_b32_e32 v19, v32
	v_pk_mul_f32 v[14:15], v[14:15], v[18:19] op_sel_hi:[0,1]
	s_waitcnt lgkmcnt(0)
	v_mov_b32_e32 v1, s3
	v_add_co_u32_e32 v20, vcc, s2, v16
	v_pk_fma_f32 v[14:15], v[32:33], v[8:9], v[14:15] op_sel_hi:[1,0,1]
	v_pk_mul_f32 v[8:9], v[12:13], v[18:19] op_sel_hi:[0,1]
	v_addc_co_u32_e32 v21, vcc, v1, v17, vcc
	v_pk_fma_f32 v[16:17], v[32:33], v[6:7], v[8:9] op_sel_hi:[1,0,1]
	v_pk_mul_f32 v[6:7], v[10:11], v[18:19] op_sel_hi:[0,1]
	v_pk_mul_f32 v[4:5], v[4:5], v[18:19] op_sel_hi:[0,1]
	v_pk_fma_f32 v[2:3], v[32:33], v[2:3], v[6:7] op_sel_hi:[1,0,1]
	v_pk_fma_f32 v[4:5], v[32:33], v[0:1], v[4:5] op_sel_hi:[1,0,1]
	global_store_dwordx4 v[20:21], v[14:17], off
	global_store_dwordx4 v[20:21], v[2:5], off offset:16
                                        ; implicit-def: $vgpr33
                                        ; implicit-def: $vgpr34
                                        ; implicit-def: $vgpr8
                                        ; implicit-def: $vgpr14
                                        ; implicit-def: $vgpr6
                                        ; implicit-def: $vgpr12
                                        ; implicit-def: $vgpr2
                                        ; implicit-def: $vgpr10
                                        ; implicit-def: $vgpr0
                                        ; implicit-def: $vgpr4
                                        ; implicit-def: $vgpr16_vgpr17
.LBB133_48:
	s_andn2_saveexec_b64 s[0:1], s[0:1]
	s_cbranch_execz .LBB133_14
; %bb.49:
	s_waitcnt lgkmcnt(0)
	v_mov_b32_e32 v1, s3
	v_add_co_u32_e32 v24, vcc, s2, v16
	v_addc_co_u32_e32 v25, vcc, v1, v17, vcc
	global_load_dwordx4 v[16:19], v[24:25], off
	global_load_dwordx4 v[20:23], v[24:25], off offset:16
	v_xor_b32_e32 v26, 0x80000000, v33
	v_mov_b32_e32 v27, v32
	v_pk_mul_f32 v[14:15], v[14:15], v[26:27] op_sel_hi:[0,1]
	v_pk_mul_f32 v[12:13], v[12:13], v[26:27] op_sel_hi:[0,1]
	;; [unrolled: 1-line block ×4, first 2 shown]
	v_pk_fma_f32 v[8:9], v[32:33], v[8:9], v[14:15] op_sel_hi:[1,0,1]
	v_pk_fma_f32 v[6:7], v[32:33], v[6:7], v[12:13] op_sel_hi:[1,0,1]
	v_xor_b32_e32 v28, 0x80000000, v35
	v_mov_b32_e32 v29, v34
	v_pk_fma_f32 v[2:3], v[32:33], v[2:3], v[10:11] op_sel_hi:[1,0,1]
	v_pk_fma_f32 v[0:1], v[32:33], v[0:1], v[4:5] op_sel_hi:[1,0,1]
	s_waitcnt vmcnt(1)
	v_pk_fma_f32 v[4:5], v[34:35], v[16:17], v[8:9] op_sel_hi:[1,0,1]
	v_pk_fma_f32 v[6:7], v[34:35], v[18:19], v[6:7] op_sel_hi:[1,0,1]
	v_mov_b32_e32 v8, v19
	s_waitcnt vmcnt(0)
	v_pk_fma_f32 v[10:11], v[34:35], v[20:21], v[2:3] op_sel_hi:[1,0,1]
	v_pk_fma_f32 v[12:13], v[34:35], v[22:23], v[0:1] op_sel_hi:[1,0,1]
	v_mov_b32_e32 v14, v23
	v_pk_fma_f32 v[0:1], v[28:29], v[16:17], v[4:5] op_sel:[0,1,0]
	v_pk_fma_f32 v[2:3], v[28:29], v[8:9], v[6:7] op_sel_hi:[1,0,1]
	v_pk_fma_f32 v[4:5], v[28:29], v[20:21], v[10:11] op_sel:[0,1,0]
	v_pk_fma_f32 v[6:7], v[28:29], v[14:15], v[12:13] op_sel_hi:[1,0,1]
	global_store_dwordx4 v[24:25], v[0:3], off
	global_store_dwordx4 v[24:25], v[4:7], off offset:16
	s_endpgm
	.section	.rodata,"a",@progbits
	.p2align	6, 0x0
	.amdhsa_kernel _ZN9rocsparseL18bsrxmvn_4x4_kernelILj128ELj32E21rocsparse_complex_numIfEllfS2_S2_EEvT3_20rocsparse_direction_NS_24const_host_device_scalarIT1_EES3_PKS3_PKT2_SC_S9_PKT4_PKT5_S7_PT6_21rocsparse_index_base_b
		.amdhsa_group_segment_fixed_size 0
		.amdhsa_private_segment_fixed_size 0
		.amdhsa_kernarg_size 104
		.amdhsa_user_sgpr_count 6
		.amdhsa_user_sgpr_private_segment_buffer 1
		.amdhsa_user_sgpr_dispatch_ptr 0
		.amdhsa_user_sgpr_queue_ptr 0
		.amdhsa_user_sgpr_kernarg_segment_ptr 1
		.amdhsa_user_sgpr_dispatch_id 0
		.amdhsa_user_sgpr_flat_scratch_init 0
		.amdhsa_user_sgpr_kernarg_preload_length 0
		.amdhsa_user_sgpr_kernarg_preload_offset 0
		.amdhsa_user_sgpr_private_segment_size 0
		.amdhsa_uses_dynamic_stack 0
		.amdhsa_system_sgpr_private_segment_wavefront_offset 0
		.amdhsa_system_sgpr_workgroup_id_x 1
		.amdhsa_system_sgpr_workgroup_id_y 0
		.amdhsa_system_sgpr_workgroup_id_z 0
		.amdhsa_system_sgpr_workgroup_info 0
		.amdhsa_system_vgpr_workitem_id 0
		.amdhsa_next_free_vgpr 88
		.amdhsa_next_free_sgpr 20
		.amdhsa_accum_offset 88
		.amdhsa_reserve_vcc 1
		.amdhsa_reserve_flat_scratch 0
		.amdhsa_float_round_mode_32 0
		.amdhsa_float_round_mode_16_64 0
		.amdhsa_float_denorm_mode_32 3
		.amdhsa_float_denorm_mode_16_64 3
		.amdhsa_dx10_clamp 1
		.amdhsa_ieee_mode 1
		.amdhsa_fp16_overflow 0
		.amdhsa_tg_split 0
		.amdhsa_exception_fp_ieee_invalid_op 0
		.amdhsa_exception_fp_denorm_src 0
		.amdhsa_exception_fp_ieee_div_zero 0
		.amdhsa_exception_fp_ieee_overflow 0
		.amdhsa_exception_fp_ieee_underflow 0
		.amdhsa_exception_fp_ieee_inexact 0
		.amdhsa_exception_int_div_zero 0
	.end_amdhsa_kernel
	.section	.text._ZN9rocsparseL18bsrxmvn_4x4_kernelILj128ELj32E21rocsparse_complex_numIfEllfS2_S2_EEvT3_20rocsparse_direction_NS_24const_host_device_scalarIT1_EES3_PKS3_PKT2_SC_S9_PKT4_PKT5_S7_PT6_21rocsparse_index_base_b,"axG",@progbits,_ZN9rocsparseL18bsrxmvn_4x4_kernelILj128ELj32E21rocsparse_complex_numIfEllfS2_S2_EEvT3_20rocsparse_direction_NS_24const_host_device_scalarIT1_EES3_PKS3_PKT2_SC_S9_PKT4_PKT5_S7_PT6_21rocsparse_index_base_b,comdat
.Lfunc_end133:
	.size	_ZN9rocsparseL18bsrxmvn_4x4_kernelILj128ELj32E21rocsparse_complex_numIfEllfS2_S2_EEvT3_20rocsparse_direction_NS_24const_host_device_scalarIT1_EES3_PKS3_PKT2_SC_S9_PKT4_PKT5_S7_PT6_21rocsparse_index_base_b, .Lfunc_end133-_ZN9rocsparseL18bsrxmvn_4x4_kernelILj128ELj32E21rocsparse_complex_numIfEllfS2_S2_EEvT3_20rocsparse_direction_NS_24const_host_device_scalarIT1_EES3_PKS3_PKT2_SC_S9_PKT4_PKT5_S7_PT6_21rocsparse_index_base_b
                                        ; -- End function
	.section	.AMDGPU.csdata,"",@progbits
; Kernel info:
; codeLenInByte = 7388
; NumSgprs: 24
; NumVgprs: 88
; NumAgprs: 0
; TotalNumVgprs: 88
; ScratchSize: 0
; MemoryBound: 0
; FloatMode: 240
; IeeeMode: 1
; LDSByteSize: 0 bytes/workgroup (compile time only)
; SGPRBlocks: 2
; VGPRBlocks: 10
; NumSGPRsForWavesPerEU: 24
; NumVGPRsForWavesPerEU: 88
; AccumOffset: 88
; Occupancy: 5
; WaveLimiterHint : 1
; COMPUTE_PGM_RSRC2:SCRATCH_EN: 0
; COMPUTE_PGM_RSRC2:USER_SGPR: 6
; COMPUTE_PGM_RSRC2:TRAP_HANDLER: 0
; COMPUTE_PGM_RSRC2:TGID_X_EN: 1
; COMPUTE_PGM_RSRC2:TGID_Y_EN: 0
; COMPUTE_PGM_RSRC2:TGID_Z_EN: 0
; COMPUTE_PGM_RSRC2:TIDIG_COMP_CNT: 0
; COMPUTE_PGM_RSRC3_GFX90A:ACCUM_OFFSET: 21
; COMPUTE_PGM_RSRC3_GFX90A:TG_SPLIT: 0
	.section	.text._ZN9rocsparseL18bsrxmvn_4x4_kernelILj128ELj64E21rocsparse_complex_numIfEllfS2_S2_EEvT3_20rocsparse_direction_NS_24const_host_device_scalarIT1_EES3_PKS3_PKT2_SC_S9_PKT4_PKT5_S7_PT6_21rocsparse_index_base_b,"axG",@progbits,_ZN9rocsparseL18bsrxmvn_4x4_kernelILj128ELj64E21rocsparse_complex_numIfEllfS2_S2_EEvT3_20rocsparse_direction_NS_24const_host_device_scalarIT1_EES3_PKS3_PKT2_SC_S9_PKT4_PKT5_S7_PT6_21rocsparse_index_base_b,comdat
	.globl	_ZN9rocsparseL18bsrxmvn_4x4_kernelILj128ELj64E21rocsparse_complex_numIfEllfS2_S2_EEvT3_20rocsparse_direction_NS_24const_host_device_scalarIT1_EES3_PKS3_PKT2_SC_S9_PKT4_PKT5_S7_PT6_21rocsparse_index_base_b ; -- Begin function _ZN9rocsparseL18bsrxmvn_4x4_kernelILj128ELj64E21rocsparse_complex_numIfEllfS2_S2_EEvT3_20rocsparse_direction_NS_24const_host_device_scalarIT1_EES3_PKS3_PKT2_SC_S9_PKT4_PKT5_S7_PT6_21rocsparse_index_base_b
	.p2align	8
	.type	_ZN9rocsparseL18bsrxmvn_4x4_kernelILj128ELj64E21rocsparse_complex_numIfEllfS2_S2_EEvT3_20rocsparse_direction_NS_24const_host_device_scalarIT1_EES3_PKS3_PKT2_SC_S9_PKT4_PKT5_S7_PT6_21rocsparse_index_base_b,@function
_ZN9rocsparseL18bsrxmvn_4x4_kernelILj128ELj64E21rocsparse_complex_numIfEllfS2_S2_EEvT3_20rocsparse_direction_NS_24const_host_device_scalarIT1_EES3_PKS3_PKT2_SC_S9_PKT4_PKT5_S7_PT6_21rocsparse_index_base_b: ; @_ZN9rocsparseL18bsrxmvn_4x4_kernelILj128ELj64E21rocsparse_complex_numIfEllfS2_S2_EEvT3_20rocsparse_direction_NS_24const_host_device_scalarIT1_EES3_PKS3_PKT2_SC_S9_PKT4_PKT5_S7_PT6_21rocsparse_index_base_b
; %bb.0:
	s_load_dwordx2 s[16:17], s[4:5], 0x60
	s_load_dwordx4 s[8:11], s[4:5], 0x10
	s_load_dwordx2 s[2:3], s[4:5], 0x50
	s_waitcnt lgkmcnt(0)
	s_bitcmp1_b32 s17, 0
	s_cselect_b64 s[0:1], -1, 0
	s_xor_b64 s[12:13], s[0:1], -1
	s_and_b64 vcc, exec, s[0:1]
	v_mov_b32_e32 v34, s8
	s_cbranch_vccnz .LBB134_2
; %bb.1:
	v_pk_mov_b32 v[2:3], s[8:9], s[8:9] op_sel:[0,1]
	flat_load_dword v34, v[2:3]
.LBB134_2:
	v_cndmask_b32_e64 v1, 0, 1, s[12:13]
	v_cmp_ne_u32_e64 s[0:1], 1, v1
	s_andn2_b64 vcc, exec, s[12:13]
	v_mov_b32_e32 v35, s9
	s_cbranch_vccz .LBB134_15
; %bb.3:
	s_and_b64 vcc, exec, s[0:1]
	v_mov_b32_e32 v36, s2
	s_cbranch_vccz .LBB134_16
.LBB134_4:
	s_and_b64 vcc, exec, s[0:1]
	v_mov_b32_e32 v37, s3
	s_cbranch_vccnz .LBB134_6
.LBB134_5:
	v_pk_mov_b32 v[2:3], s[2:3], s[2:3] op_sel:[0,1]
	flat_load_dword v37, v[2:3] offset:4
.LBB134_6:
	s_waitcnt vmcnt(0) lgkmcnt(0)
	v_and_b32_e32 v1, 0x7fffffff, v34
	v_cmp_eq_u32_e32 vcc, 0, v1
	v_cmp_eq_f32_e64 s[0:1], 0, v35
	s_and_b64 s[8:9], vcc, s[0:1]
	s_mov_b64 s[0:1], -1
	s_and_saveexec_b64 s[2:3], s[8:9]
; %bb.7:
	v_and_b32_e32 v1, 0x7fffffff, v37
	v_cmp_neq_f32_e32 vcc, 1.0, v36
	v_cmp_ne_u32_e64 s[0:1], 0, v1
	s_or_b64 s[0:1], vcc, s[0:1]
	s_orn2_b64 s[0:1], s[0:1], exec
; %bb.8:
	s_or_b64 exec, exec, s[2:3]
	s_and_saveexec_b64 s[2:3], s[0:1]
	s_cbranch_execz .LBB134_14
; %bb.9:
	s_load_dwordx2 s[2:3], s[4:5], 0x20
	v_lshrrev_b32_e32 v1, 6, v0
	v_lshl_or_b32 v2, s6, 1, v1
	v_mov_b32_e32 v3, 0
	s_mov_b64 s[0:1], 0
	s_waitcnt lgkmcnt(0)
	s_cmp_lg_u64 s[2:3], 0
	s_cbranch_scc0 .LBB134_17
; %bb.10:
	v_cmp_gt_i64_e32 vcc, s[10:11], v[2:3]
                                        ; implicit-def: $vgpr38_vgpr39
	s_and_saveexec_b64 s[6:7], vcc
	s_xor_b64 s[6:7], exec, s[6:7]
                                        ; implicit-def: $sgpr18_sgpr19
	s_cbranch_execz .LBB134_12
; %bb.11:
	v_lshlrev_b64 v[4:5], 3, v[2:3]
	v_mov_b32_e32 v1, s3
	v_add_co_u32_e32 v4, vcc, s2, v4
	v_addc_co_u32_e32 v5, vcc, v1, v5, vcc
	global_load_dwordx2 v[4:5], v[4:5], off
	s_mov_b64 s[0:1], exec
	s_mov_b32 s19, 0
	s_waitcnt vmcnt(0)
	v_subrev_co_u32_e32 v38, vcc, s16, v4
	v_subbrev_co_u32_e32 v39, vcc, 0, v5, vcc
.LBB134_12:
	s_or_b64 exec, exec, s[6:7]
.LBB134_13:
	s_and_b64 exec, exec, s[0:1]
	s_cbranch_execnz .LBB134_21
.LBB134_14:
	s_endpgm
.LBB134_15:
	v_pk_mov_b32 v[2:3], s[8:9], s[8:9] op_sel:[0,1]
	flat_load_dword v35, v[2:3] offset:4
	s_and_b64 vcc, exec, s[0:1]
	v_mov_b32_e32 v36, s2
	s_cbranch_vccnz .LBB134_4
.LBB134_16:
	v_pk_mov_b32 v[2:3], s[2:3], s[2:3] op_sel:[0,1]
	flat_load_dword v36, v[2:3]
	s_and_b64 vcc, exec, s[0:1]
	v_mov_b32_e32 v37, s3
	s_cbranch_vccz .LBB134_5
	s_branch .LBB134_6
.LBB134_17:
                                        ; implicit-def: $vgpr38_vgpr39
                                        ; implicit-def: $sgpr18_sgpr19
	s_cbranch_execz .LBB134_13
; %bb.18:
	s_load_dwordx2 s[2:3], s[4:5], 0x0
                                        ; implicit-def: $vgpr38_vgpr39
	s_waitcnt lgkmcnt(0)
	v_cmp_gt_i64_e32 vcc, s[2:3], v[2:3]
	s_and_saveexec_b64 s[2:3], vcc
                                        ; implicit-def: $sgpr18_sgpr19
; %bb.19:
	s_mov_b32 s19, 0
	s_or_b64 s[0:1], s[0:1], exec
	v_pk_mov_b32 v[38:39], v[2:3], v[2:3] op_sel:[0,1]
; %bb.20:
	s_or_b64 exec, exec, s[2:3]
	s_and_b64 exec, exec, s[0:1]
	s_cbranch_execz .LBB134_14
.LBB134_21:
	s_load_dwordx8 s[8:15], s[4:5], 0x28
	v_lshlrev_b64 v[2:3], 3, v[38:39]
	v_and_b32_e32 v40, 63, v0
	v_mov_b32_e32 v0, s19
	v_mov_b32_e32 v25, 0
	s_waitcnt lgkmcnt(0)
	v_mov_b32_e32 v1, s9
	v_add_co_u32_e32 v4, vcc, s8, v2
	v_addc_co_u32_e32 v5, vcc, v1, v3, vcc
	v_add_co_u32_e32 v1, vcc, 8, v4
	global_load_dwordx2 v[48:49], v[4:5], off
	v_addc_co_u32_e32 v4, vcc, 0, v5, vcc
	v_mov_b32_e32 v5, s11
	v_add_co_u32_e32 v2, vcc, s10, v2
	s_cmp_eq_u64 s[10:11], 0
	v_addc_co_u32_e32 v3, vcc, v5, v3, vcc
	s_cselect_b64 vcc, -1, 0
	v_cndmask_b32_e32 v3, v3, v4, vcc
	v_cndmask_b32_e32 v2, v2, v1, vcc
	global_load_dwordx2 v[2:3], v[2:3], off
	s_load_dwordx2 s[6:7], s[4:5], 0x48
	s_load_dword s0, s[4:5], 0x8
	v_mov_b32_e32 v4, s15
	s_waitcnt lgkmcnt(0)
	s_cmp_eq_u32 s0, 1
	s_waitcnt vmcnt(1)
	v_subrev_co_u32_e32 v1, vcc, s16, v48
	v_subb_co_u32_e32 v5, vcc, v49, v0, vcc
	v_add_co_u32_e32 v42, vcc, v1, v40
	v_addc_co_u32_e32 v43, vcc, 0, v5, vcc
	s_waitcnt vmcnt(0)
	v_subrev_co_u32_e32 v44, vcc, s16, v2
	v_subb_co_u32_e32 v45, vcc, v3, v0, vcc
	v_lshlrev_b64 v[0:1], 6, v[42:43]
	v_add_co_u32_e32 v46, vcc, s14, v0
	v_addc_co_u32_e32 v47, vcc, v4, v1, vcc
	v_cmp_lt_i64_e64 s[0:1], v[42:43], v[44:45]
	s_cbranch_scc1 .LBB134_33
; %bb.22:
	v_mov_b32_e32 v24, 0
	v_mov_b32_e32 v15, 0
	;; [unrolled: 1-line block ×7, first 2 shown]
	s_and_saveexec_b64 s[8:9], s[0:1]
	s_cbranch_execz .LBB134_32
; %bb.23:
	v_or_b32_e32 v0, 64, v40
	v_mov_b32_e32 v1, s19
	v_subrev_co_u32_e32 v0, vcc, s16, v0
	v_subb_co_u32_e32 v1, vcc, 0, v1, vcc
	v_add_co_u32_e32 v0, vcc, v0, v48
	v_addc_co_u32_e32 v1, vcc, v1, v49, vcc
	v_cmp_gt_i64_e32 vcc, v[0:1], v[44:45]
	v_cndmask_b32_e32 v1, v45, v1, vcc
	v_cndmask_b32_e32 v0, v44, v0, vcc
	v_mov_b32_e32 v4, s19
	v_sub_co_u32_e32 v5, vcc, s16, v40
	v_not_b32_e32 v3, v48
	v_subbrev_co_u32_e32 v4, vcc, 0, v4, vcc
	v_not_b32_e32 v2, v49
	v_add_co_u32_e32 v3, vcc, v5, v3
	v_addc_co_u32_e32 v4, vcc, v4, v2, vcc
	v_add_co_u32_e32 v2, vcc, v3, v0
	v_lshrrev_b32_e32 v0, 6, v2
	v_add_u32_e32 v0, 1, v0
	v_addc_co_u32_e32 v3, vcc, v4, v1, vcc
	v_and_b32_e32 v4, 3, v0
	v_mov_b32_e32 v0, 0
	v_cmp_ne_u32_e32 vcc, 0, v4
	v_mov_b32_e32 v1, v0
	v_mov_b32_e32 v12, v0
	;; [unrolled: 1-line block ×7, first 2 shown]
	v_pk_mov_b32 v[50:51], v[46:47], v[46:47] op_sel:[0,1]
	v_pk_mov_b32 v[52:53], v[42:43], v[42:43] op_sel:[0,1]
	s_and_saveexec_b64 s[10:11], vcc
	s_cbranch_execz .LBB134_27
; %bb.24:
	v_lshlrev_b64 v[0:1], 3, v[42:43]
	v_mov_b32_e32 v5, 0
	v_mov_b32_e32 v7, s13
	v_add_co_u32_e32 v6, vcc, s12, v0
	v_lshlrev_b32_e32 v4, 3, v4
	v_addc_co_u32_e32 v7, vcc, v7, v1, vcc
	s_mov_b64 s[14:15], 0
	s_movk_i32 s17, 0x1000
	v_mov_b32_e32 v16, s19
	v_mov_b32_e32 v17, s7
	v_bfrev_b32_e32 v8, 1
	v_pk_mov_b32 v[10:11], v[4:5], v[4:5] op_sel:[0,1]
	v_pk_mov_b32 v[52:53], v[42:43], v[42:43] op_sel:[0,1]
	;; [unrolled: 1-line block ×3, first 2 shown]
	v_mov_b32_e32 v0, v5
	v_mov_b32_e32 v1, v5
	;; [unrolled: 1-line block ×8, first 2 shown]
.LBB134_25:                             ; =>This Inner Loop Header: Depth=1
	global_load_dwordx2 v[22:23], v[6:7], off
	global_load_dwordx4 v[18:21], v[50:51], off offset:16
	global_load_dwordx4 v[26:29], v[50:51], off
	v_add_co_u32_e64 v52, s[2:3], 64, v52
	v_addc_co_u32_e64 v53, s[2:3], 0, v53, s[2:3]
	v_add_co_u32_e64 v10, s[2:3], -8, v10
	v_addc_co_u32_e64 v11, s[2:3], -1, v11, s[2:3]
	v_cmp_eq_u64_e64 s[2:3], 0, v[10:11]
	s_or_b64 s[14:15], s[2:3], s[14:15]
	s_waitcnt vmcnt(2)
	v_subrev_co_u32_e32 v22, vcc, s16, v22
	v_subb_co_u32_e32 v23, vcc, v23, v16, vcc
	v_lshlrev_b64 v[22:23], 5, v[22:23]
	v_add_co_u32_e32 v22, vcc, s6, v22
	v_addc_co_u32_e32 v23, vcc, v17, v23, vcc
	global_load_dwordx4 v[30:33], v[22:23], off
	global_load_dwordx4 v[54:57], v[22:23], off offset:16
	global_load_dwordx4 v[58:61], v[50:51], off offset:32
	;; [unrolled: 1-line block ×3, first 2 shown]
	s_waitcnt vmcnt(4)
	v_mov_b32_e32 v4, v26
	v_mov_b32_e32 v9, v26
	v_add_co_u32_e32 v50, vcc, s17, v50
	v_addc_co_u32_e32 v51, vcc, 0, v51, vcc
	v_add_co_u32_e32 v6, vcc, 0x200, v6
	v_addc_co_u32_e32 v7, vcc, 0, v7, vcc
	s_waitcnt vmcnt(3)
	v_pk_fma_f32 v[22:23], v[30:31], v[4:5], v[24:25] op_sel_hi:[0,1,1]
	v_mov_b32_e32 v4, v27
	v_pk_fma_f32 v[22:23], v[30:31], v[8:9], v[22:23] op_sel:[1,0,0]
	v_mov_b32_e32 v26, v33
	v_mov_b32_e32 v9, v27
	v_pk_fma_f32 v[22:23], v[32:33], v[4:5], v[22:23] op_sel_hi:[0,1,1]
	v_mov_b32_e32 v4, v28
	v_pk_fma_f32 v[22:23], v[26:27], v[8:9], v[22:23] op_sel_hi:[0,1,1]
	v_mov_b32_e32 v9, v28
	s_waitcnt vmcnt(2)
	v_pk_fma_f32 v[22:23], v[54:55], v[4:5], v[22:23] op_sel_hi:[0,1,1]
	v_mov_b32_e32 v4, v29
	v_pk_fma_f32 v[22:23], v[54:55], v[8:9], v[22:23] op_sel:[1,0,0]
	v_mov_b32_e32 v66, v57
	v_mov_b32_e32 v9, v29
	v_pk_fma_f32 v[22:23], v[56:57], v[4:5], v[22:23] op_sel_hi:[0,1,1]
	v_mov_b32_e32 v4, v18
	v_pk_fma_f32 v[24:25], v[66:67], v[8:9], v[22:23] op_sel_hi:[0,1,1]
	v_pk_fma_f32 v[14:15], v[30:31], v[4:5], v[14:15] op_sel_hi:[0,1,1]
	v_mov_b32_e32 v9, v18
	v_mov_b32_e32 v4, v19
	v_pk_fma_f32 v[14:15], v[30:31], v[8:9], v[14:15] op_sel:[1,0,0]
	v_mov_b32_e32 v9, v19
	v_pk_fma_f32 v[14:15], v[32:33], v[4:5], v[14:15] op_sel_hi:[0,1,1]
	v_mov_b32_e32 v4, v20
	v_pk_fma_f32 v[14:15], v[26:27], v[8:9], v[14:15] op_sel_hi:[0,1,1]
	;; [unrolled: 2-line block ×3, first 2 shown]
	v_mov_b32_e32 v4, v21
	v_pk_fma_f32 v[14:15], v[54:55], v[8:9], v[14:15] op_sel:[1,0,0]
	v_mov_b32_e32 v9, v21
	v_pk_fma_f32 v[14:15], v[56:57], v[4:5], v[14:15] op_sel_hi:[0,1,1]
	s_waitcnt vmcnt(1)
	v_mov_b32_e32 v4, v58
	v_pk_fma_f32 v[14:15], v[66:67], v[8:9], v[14:15] op_sel_hi:[0,1,1]
	v_pk_fma_f32 v[12:13], v[30:31], v[4:5], v[12:13] op_sel_hi:[0,1,1]
	v_mov_b32_e32 v9, v58
	v_mov_b32_e32 v4, v59
	v_pk_fma_f32 v[12:13], v[30:31], v[8:9], v[12:13] op_sel:[1,0,0]
	v_mov_b32_e32 v9, v59
	v_pk_fma_f32 v[12:13], v[32:33], v[4:5], v[12:13] op_sel_hi:[0,1,1]
	v_mov_b32_e32 v4, v60
	v_pk_fma_f32 v[12:13], v[26:27], v[8:9], v[12:13] op_sel_hi:[0,1,1]
	;; [unrolled: 2-line block ×3, first 2 shown]
	v_mov_b32_e32 v4, v61
	v_pk_fma_f32 v[12:13], v[54:55], v[8:9], v[12:13] op_sel:[1,0,0]
	v_mov_b32_e32 v9, v61
	v_pk_fma_f32 v[12:13], v[56:57], v[4:5], v[12:13] op_sel_hi:[0,1,1]
	s_waitcnt vmcnt(0)
	v_mov_b32_e32 v4, v62
	v_pk_fma_f32 v[12:13], v[66:67], v[8:9], v[12:13] op_sel_hi:[0,1,1]
	v_pk_fma_f32 v[0:1], v[30:31], v[4:5], v[0:1] op_sel_hi:[0,1,1]
	v_mov_b32_e32 v9, v62
	v_mov_b32_e32 v4, v63
	v_pk_fma_f32 v[0:1], v[30:31], v[8:9], v[0:1] op_sel:[1,0,0]
	v_mov_b32_e32 v9, v63
	v_pk_fma_f32 v[0:1], v[32:33], v[4:5], v[0:1] op_sel_hi:[0,1,1]
	v_mov_b32_e32 v4, v64
	v_pk_fma_f32 v[0:1], v[26:27], v[8:9], v[0:1] op_sel_hi:[0,1,1]
	;; [unrolled: 2-line block ×3, first 2 shown]
	v_mov_b32_e32 v4, v65
	v_pk_fma_f32 v[0:1], v[54:55], v[8:9], v[0:1] op_sel:[1,0,0]
	v_mov_b32_e32 v9, v65
	v_pk_fma_f32 v[0:1], v[56:57], v[4:5], v[0:1] op_sel_hi:[0,1,1]
	v_pk_fma_f32 v[0:1], v[66:67], v[8:9], v[0:1] op_sel_hi:[0,1,1]
	s_andn2_b64 exec, exec, s[14:15]
	s_cbranch_execnz .LBB134_25
; %bb.26:
	s_or_b64 exec, exec, s[14:15]
.LBB134_27:
	s_or_b64 exec, exec, s[10:11]
	s_mov_b64 s[2:3], 0xbf
	v_cmp_lt_u64_e32 vcc, s[2:3], v[2:3]
	s_and_saveexec_b64 s[10:11], vcc
	s_cbranch_execz .LBB134_31
; %bb.28:
	v_lshlrev_b64 v[2:3], 3, v[52:53]
	v_mov_b32_e32 v4, s13
	v_add_co_u32_e32 v2, vcc, s12, v2
	v_addc_co_u32_e32 v3, vcc, v3, v4, vcc
	v_add_co_u32_e32 v54, vcc, 0x400, v2
	v_addc_co_u32_e32 v55, vcc, 0, v3, vcc
	s_mov_b64 s[14:15], 0
	v_mov_b32_e32 v41, s19
	v_mov_b32_e32 v68, s7
	s_movk_i32 s17, 0x1000
	s_movk_i32 s18, 0x2000
	;; [unrolled: 1-line block ×4, first 2 shown]
	v_mov_b32_e32 v57, 0
	v_bfrev_b32_e32 v58, 1
.LBB134_29:                             ; =>This Inner Loop Header: Depth=1
	global_load_dwordx2 v[2:3], v[54:55], off offset:-1024
	global_load_dwordx4 v[6:9], v[50:51], off offset:48
	global_load_dwordx4 v[60:63], v[50:51], off offset:32
	;; [unrolled: 1-line block ×3, first 2 shown]
	global_load_dwordx4 v[64:67], v[50:51], off
	s_waitcnt vmcnt(4)
	v_subrev_co_u32_e32 v2, vcc, s16, v2
	v_subb_co_u32_e32 v3, vcc, v3, v41, vcc
	v_lshlrev_b64 v[2:3], 5, v[2:3]
	v_add_co_u32_e32 v2, vcc, s6, v2
	v_addc_co_u32_e32 v3, vcc, v68, v3, vcc
	global_load_dwordx4 v[74:77], v[2:3], off offset:16
	global_load_dwordx4 v[78:81], v[2:3], off
	global_load_dwordx2 v[4:5], v[54:55], off offset:-512
	v_add_co_u32_e32 v2, vcc, s17, v50
	v_addc_co_u32_e32 v3, vcc, 0, v51, vcc
	s_waitcnt vmcnt(3)
	v_mov_b32_e32 v56, v64
	v_mov_b32_e32 v59, v64
	s_waitcnt vmcnt(0)
	v_subrev_co_u32_e32 v10, vcc, s16, v4
	v_subb_co_u32_e32 v11, vcc, v5, v41, vcc
	v_add_co_u32_e32 v4, vcc, s18, v50
	v_addc_co_u32_e32 v5, vcc, 0, v51, vcc
	global_load_dwordx4 v[82:85], v[4:5], off offset:-4096
	global_load_dwordx4 v[16:19], v[2:3], off offset:48
	global_load_dwordx4 v[30:33], v[2:3], off offset:32
	;; [unrolled: 1-line block ×3, first 2 shown]
	v_lshlrev_b64 v[2:3], 5, v[10:11]
	v_add_co_u32_e32 v2, vcc, s6, v2
	v_addc_co_u32_e32 v3, vcc, v68, v3, vcc
	global_load_dwordx4 v[20:23], v[2:3], off offset:16
	global_load_dwordx4 v[26:29], v[2:3], off
	v_pk_fma_f32 v[2:3], v[78:79], v[56:57], v[24:25] op_sel_hi:[0,1,1]
	v_pk_fma_f32 v[2:3], v[78:79], v[58:59], v[2:3] op_sel:[1,0,0]
	v_mov_b32_e32 v56, v65
	v_pk_fma_f32 v[2:3], v[80:81], v[56:57], v[2:3] op_sel_hi:[0,1,1]
	v_mov_b32_e32 v10, v81
	v_mov_b32_e32 v59, v65
	v_pk_fma_f32 v[2:3], v[10:11], v[58:59], v[2:3] op_sel_hi:[0,1,1]
	v_mov_b32_e32 v56, v66
	v_pk_fma_f32 v[2:3], v[74:75], v[56:57], v[2:3] op_sel_hi:[0,1,1]
	v_mov_b32_e32 v59, v66
	v_pk_fma_f32 v[2:3], v[74:75], v[58:59], v[2:3] op_sel:[1,0,0]
	v_mov_b32_e32 v56, v67
	v_pk_fma_f32 v[2:3], v[76:77], v[56:57], v[2:3] op_sel_hi:[0,1,1]
	v_mov_b32_e32 v24, v77
	v_mov_b32_e32 v59, v67
	v_pk_fma_f32 v[2:3], v[24:25], v[58:59], v[2:3] op_sel_hi:[0,1,1]
	s_waitcnt vmcnt(5)
	v_mov_b32_e32 v56, v82
	v_mov_b32_e32 v59, v82
	s_waitcnt vmcnt(0)
	v_pk_fma_f32 v[2:3], v[26:27], v[56:57], v[2:3] op_sel_hi:[0,1,1]
	v_mov_b32_e32 v56, v70
	v_pk_fma_f32 v[66:67], v[26:27], v[58:59], v[2:3] op_sel:[1,0,0]
	v_pk_fma_f32 v[2:3], v[78:79], v[56:57], v[14:15] op_sel_hi:[0,1,1]
	v_mov_b32_e32 v59, v70
	v_pk_fma_f32 v[2:3], v[78:79], v[58:59], v[2:3] op_sel:[1,0,0]
	v_mov_b32_e32 v56, v71
	v_pk_fma_f32 v[2:3], v[80:81], v[56:57], v[2:3] op_sel_hi:[0,1,1]
	v_mov_b32_e32 v59, v71
	v_pk_fma_f32 v[2:3], v[10:11], v[58:59], v[2:3] op_sel_hi:[0,1,1]
	v_mov_b32_e32 v56, v72
	v_pk_fma_f32 v[2:3], v[74:75], v[56:57], v[2:3] op_sel_hi:[0,1,1]
	v_mov_b32_e32 v59, v72
	v_pk_fma_f32 v[2:3], v[74:75], v[58:59], v[2:3] op_sel:[1,0,0]
	v_mov_b32_e32 v56, v73
	v_pk_fma_f32 v[2:3], v[76:77], v[56:57], v[2:3] op_sel_hi:[0,1,1]
	v_mov_b32_e32 v59, v73
	v_pk_fma_f32 v[2:3], v[24:25], v[58:59], v[2:3] op_sel_hi:[0,1,1]
	v_mov_b32_e32 v56, v86
	v_pk_fma_f32 v[2:3], v[26:27], v[56:57], v[2:3] op_sel_hi:[0,1,1]
	v_mov_b32_e32 v59, v86
	v_mov_b32_e32 v56, v60
	v_pk_fma_f32 v[64:65], v[26:27], v[58:59], v[2:3] op_sel:[1,0,0]
	v_pk_fma_f32 v[2:3], v[78:79], v[56:57], v[12:13] op_sel_hi:[0,1,1]
	v_mov_b32_e32 v59, v60
	v_pk_fma_f32 v[2:3], v[78:79], v[58:59], v[2:3] op_sel:[1,0,0]
	v_mov_b32_e32 v56, v61
	v_pk_fma_f32 v[2:3], v[80:81], v[56:57], v[2:3] op_sel_hi:[0,1,1]
	v_mov_b32_e32 v59, v61
	v_pk_fma_f32 v[2:3], v[10:11], v[58:59], v[2:3] op_sel_hi:[0,1,1]
	v_mov_b32_e32 v56, v62
	v_pk_fma_f32 v[2:3], v[74:75], v[56:57], v[2:3] op_sel_hi:[0,1,1]
	v_mov_b32_e32 v59, v62
	v_pk_fma_f32 v[2:3], v[74:75], v[58:59], v[2:3] op_sel:[1,0,0]
	v_mov_b32_e32 v56, v63
	v_pk_fma_f32 v[2:3], v[76:77], v[56:57], v[2:3] op_sel_hi:[0,1,1]
	v_mov_b32_e32 v59, v63
	v_pk_fma_f32 v[2:3], v[24:25], v[58:59], v[2:3] op_sel_hi:[0,1,1]
	v_mov_b32_e32 v56, v30
	v_pk_fma_f32 v[2:3], v[26:27], v[56:57], v[2:3] op_sel_hi:[0,1,1]
	v_mov_b32_e32 v59, v30
	;; [unrolled: 20-line block ×3, first 2 shown]
	v_pk_fma_f32 v[60:61], v[26:27], v[58:59], v[0:1] op_sel:[1,0,0]
	global_load_dwordx2 v[0:1], v[54:55], off
	v_mov_b32_e32 v56, v83
	v_pk_fma_f32 v[66:67], v[28:29], v[56:57], v[66:67] op_sel_hi:[0,1,1]
	v_mov_b32_e32 v16, v29
	v_mov_b32_e32 v59, v83
	v_pk_fma_f32 v[66:67], v[16:17], v[58:59], v[66:67] op_sel_hi:[0,1,1]
	v_mov_b32_e32 v56, v84
	v_pk_fma_f32 v[66:67], v[20:21], v[56:57], v[66:67] op_sel_hi:[0,1,1]
	v_mov_b32_e32 v59, v84
	v_pk_fma_f32 v[66:67], v[20:21], v[58:59], v[66:67] op_sel:[1,0,0]
	v_mov_b32_e32 v56, v85
	v_pk_fma_f32 v[66:67], v[22:23], v[56:57], v[66:67] op_sel_hi:[0,1,1]
	v_mov_b32_e32 v30, v23
	v_mov_b32_e32 v59, v85
	v_pk_fma_f32 v[66:67], v[30:31], v[58:59], v[66:67] op_sel_hi:[0,1,1]
	s_waitcnt vmcnt(0)
	v_subrev_co_u32_e32 v6, vcc, s16, v0
	v_subb_co_u32_e32 v7, vcc, v1, v41, vcc
	global_load_dwordx4 v[24:27], v[4:5], off
	global_load_dwordx4 v[0:3], v[4:5], off offset:48
	global_load_dwordx4 v[8:11], v[4:5], off offset:32
	;; [unrolled: 1-line block ×3, first 2 shown]
	v_lshlrev_b64 v[4:5], 5, v[6:7]
	v_add_co_u32_e32 v74, vcc, s6, v4
	v_addc_co_u32_e32 v75, vcc, v68, v5, vcc
	global_load_dwordx4 v[4:7], v[74:75], off offset:16
	global_load_dwordx4 v[70:73], v[74:75], off
	s_waitcnt vmcnt(5)
	v_mov_b32_e32 v56, v24
	v_mov_b32_e32 v59, v24
	s_waitcnt vmcnt(0)
	v_pk_fma_f32 v[66:67], v[70:71], v[56:57], v[66:67] op_sel_hi:[0,1,1]
	v_pk_fma_f32 v[66:67], v[70:71], v[58:59], v[66:67] op_sel:[1,0,0]
	v_mov_b32_e32 v56, v25
	v_pk_fma_f32 v[66:67], v[72:73], v[56:57], v[66:67] op_sel_hi:[0,1,1]
	v_mov_b32_e32 v74, v73
	v_mov_b32_e32 v59, v25
	v_pk_fma_f32 v[24:25], v[74:75], v[58:59], v[66:67] op_sel_hi:[0,1,1]
	v_mov_b32_e32 v56, v26
	v_pk_fma_f32 v[24:25], v[4:5], v[56:57], v[24:25] op_sel_hi:[0,1,1]
	v_mov_b32_e32 v56, v87
	v_pk_fma_f32 v[64:65], v[28:29], v[56:57], v[64:65] op_sel_hi:[0,1,1]
	v_mov_b32_e32 v59, v87
	v_pk_fma_f32 v[64:65], v[16:17], v[58:59], v[64:65] op_sel_hi:[0,1,1]
	v_mov_b32_e32 v56, v88
	v_pk_fma_f32 v[64:65], v[20:21], v[56:57], v[64:65] op_sel_hi:[0,1,1]
	v_mov_b32_e32 v59, v88
	v_pk_fma_f32 v[64:65], v[20:21], v[58:59], v[64:65] op_sel:[1,0,0]
	v_mov_b32_e32 v56, v89
	v_pk_fma_f32 v[64:65], v[22:23], v[56:57], v[64:65] op_sel_hi:[0,1,1]
	v_mov_b32_e32 v59, v89
	v_pk_fma_f32 v[64:65], v[30:31], v[58:59], v[64:65] op_sel_hi:[0,1,1]
	v_mov_b32_e32 v56, v12
	v_pk_fma_f32 v[64:65], v[70:71], v[56:57], v[64:65] op_sel_hi:[0,1,1]
	v_mov_b32_e32 v59, v12
	v_pk_fma_f32 v[64:65], v[70:71], v[58:59], v[64:65] op_sel:[1,0,0]
	v_mov_b32_e32 v56, v13
	v_pk_fma_f32 v[64:65], v[72:73], v[56:57], v[64:65] op_sel_hi:[0,1,1]
	v_mov_b32_e32 v59, v13
	v_pk_fma_f32 v[12:13], v[74:75], v[58:59], v[64:65] op_sel_hi:[0,1,1]
	v_mov_b32_e32 v56, v14
	v_pk_fma_f32 v[12:13], v[4:5], v[56:57], v[12:13] op_sel_hi:[0,1,1]
	v_mov_b32_e32 v56, v31
	v_pk_fma_f32 v[62:63], v[28:29], v[56:57], v[62:63] op_sel_hi:[0,1,1]
	v_mov_b32_e32 v59, v31
	v_pk_fma_f32 v[62:63], v[16:17], v[58:59], v[62:63] op_sel_hi:[0,1,1]
	v_mov_b32_e32 v56, v32
	v_pk_fma_f32 v[62:63], v[20:21], v[56:57], v[62:63] op_sel_hi:[0,1,1]
	v_mov_b32_e32 v59, v32
	v_pk_fma_f32 v[62:63], v[20:21], v[58:59], v[62:63] op_sel:[1,0,0]
	v_mov_b32_e32 v56, v33
	v_pk_fma_f32 v[62:63], v[22:23], v[56:57], v[62:63] op_sel_hi:[0,1,1]
	v_mov_b32_e32 v59, v33
	v_pk_fma_f32 v[32:33], v[30:31], v[58:59], v[62:63] op_sel_hi:[0,1,1]
	v_mov_b32_e32 v56, v8
	v_pk_fma_f32 v[32:33], v[70:71], v[56:57], v[32:33] op_sel_hi:[0,1,1]
	v_mov_b32_e32 v59, v8
	v_pk_fma_f32 v[32:33], v[70:71], v[58:59], v[32:33] op_sel:[1,0,0]
	v_mov_b32_e32 v56, v9
	v_pk_fma_f32 v[32:33], v[72:73], v[56:57], v[32:33] op_sel_hi:[0,1,1]
	v_mov_b32_e32 v59, v9
	v_pk_fma_f32 v[8:9], v[74:75], v[58:59], v[32:33] op_sel_hi:[0,1,1]
	v_mov_b32_e32 v56, v10
	v_pk_fma_f32 v[8:9], v[4:5], v[56:57], v[8:9] op_sel_hi:[0,1,1]
	v_mov_b32_e32 v56, v17
	v_pk_fma_f32 v[28:29], v[28:29], v[56:57], v[60:61] op_sel_hi:[0,1,1]
	v_mov_b32_e32 v59, v17
	v_pk_fma_f32 v[16:17], v[16:17], v[58:59], v[28:29] op_sel_hi:[0,1,1]
	v_mov_b32_e32 v56, v18
	v_pk_fma_f32 v[16:17], v[20:21], v[56:57], v[16:17] op_sel_hi:[0,1,1]
	v_mov_b32_e32 v59, v18
	v_pk_fma_f32 v[16:17], v[20:21], v[58:59], v[16:17] op_sel:[1,0,0]
	v_mov_b32_e32 v56, v19
	v_pk_fma_f32 v[16:17], v[22:23], v[56:57], v[16:17] op_sel_hi:[0,1,1]
	v_mov_b32_e32 v59, v19
	v_pk_fma_f32 v[16:17], v[30:31], v[58:59], v[16:17] op_sel_hi:[0,1,1]
	v_mov_b32_e32 v56, v0
	v_pk_fma_f32 v[16:17], v[70:71], v[56:57], v[16:17] op_sel_hi:[0,1,1]
	v_mov_b32_e32 v59, v0
	v_pk_fma_f32 v[16:17], v[70:71], v[58:59], v[16:17] op_sel:[1,0,0]
	v_mov_b32_e32 v56, v1
	v_pk_fma_f32 v[16:17], v[72:73], v[56:57], v[16:17] op_sel_hi:[0,1,1]
	v_mov_b32_e32 v59, v1
	v_pk_fma_f32 v[0:1], v[74:75], v[58:59], v[16:17] op_sel_hi:[0,1,1]
	global_load_dwordx2 v[16:17], v[54:55], off offset:512
	v_mov_b32_e32 v56, v2
	v_mov_b32_e32 v59, v26
	v_pk_fma_f32 v[0:1], v[4:5], v[56:57], v[0:1] op_sel_hi:[0,1,1]
	v_pk_fma_f32 v[24:25], v[4:5], v[58:59], v[24:25] op_sel:[1,0,0]
	v_mov_b32_e32 v56, v27
	v_pk_fma_f32 v[24:25], v[6:7], v[56:57], v[24:25] op_sel_hi:[0,1,1]
	v_mov_b32_e32 v26, v7
	v_mov_b32_e32 v59, v27
	v_pk_fma_f32 v[24:25], v[26:27], v[58:59], v[24:25] op_sel_hi:[0,1,1]
	s_waitcnt vmcnt(0)
	v_subrev_co_u32_e32 v32, vcc, s16, v16
	v_subb_co_u32_e32 v33, vcc, v17, v41, vcc
	v_add_co_u32_e32 v64, vcc, s20, v50
	v_addc_co_u32_e32 v65, vcc, 0, v51, vcc
	v_lshlrev_b64 v[32:33], 5, v[32:33]
	v_add_co_u32_e32 v32, vcc, s6, v32
	v_addc_co_u32_e32 v33, vcc, v68, v33, vcc
	global_load_dwordx4 v[16:19], v[64:65], off
	global_load_dwordx4 v[20:23], v[64:65], off offset:48
	global_load_dwordx4 v[28:31], v[64:65], off offset:32
	;; [unrolled: 1-line block ×3, first 2 shown]
	s_nop 0
	global_load_dwordx4 v[64:67], v[32:33], off offset:16
	global_load_dwordx4 v[70:73], v[32:33], off
	v_add_co_u32_e32 v52, vcc, s21, v52
	v_addc_co_u32_e32 v53, vcc, 0, v53, vcc
	v_add_co_u32_e32 v54, vcc, 0x800, v54
	v_addc_co_u32_e32 v55, vcc, 0, v55, vcc
	v_cmp_ge_i64_e64 s[2:3], v[52:53], v[44:45]
	v_add_co_u32_e32 v50, vcc, 0x4000, v50
	v_addc_co_u32_e32 v51, vcc, 0, v51, vcc
	s_or_b64 s[14:15], s[2:3], s[14:15]
	s_waitcnt vmcnt(5)
	v_mov_b32_e32 v56, v16
	v_mov_b32_e32 v59, v16
	s_waitcnt vmcnt(0)
	v_pk_fma_f32 v[24:25], v[70:71], v[56:57], v[24:25] op_sel_hi:[0,1,1]
	v_pk_fma_f32 v[24:25], v[70:71], v[58:59], v[24:25] op_sel:[1,0,0]
	v_mov_b32_e32 v56, v17
	v_pk_fma_f32 v[24:25], v[72:73], v[56:57], v[24:25] op_sel_hi:[0,1,1]
	v_mov_b32_e32 v16, v73
	v_mov_b32_e32 v59, v17
	v_pk_fma_f32 v[24:25], v[16:17], v[58:59], v[24:25] op_sel_hi:[0,1,1]
	v_mov_b32_e32 v56, v18
	v_pk_fma_f32 v[24:25], v[64:65], v[56:57], v[24:25] op_sel_hi:[0,1,1]
	v_mov_b32_e32 v59, v18
	v_pk_fma_f32 v[24:25], v[64:65], v[58:59], v[24:25] op_sel:[1,0,0]
	v_mov_b32_e32 v56, v19
	v_pk_fma_f32 v[24:25], v[66:67], v[56:57], v[24:25] op_sel_hi:[0,1,1]
	v_mov_b32_e32 v18, v67
	v_mov_b32_e32 v59, v19
	v_pk_fma_f32 v[24:25], v[18:19], v[58:59], v[24:25] op_sel_hi:[0,1,1]
	v_mov_b32_e32 v59, v14
	v_pk_fma_f32 v[12:13], v[4:5], v[58:59], v[12:13] op_sel:[1,0,0]
	v_mov_b32_e32 v56, v15
	v_pk_fma_f32 v[12:13], v[6:7], v[56:57], v[12:13] op_sel_hi:[0,1,1]
	v_mov_b32_e32 v59, v15
	v_pk_fma_f32 v[12:13], v[26:27], v[58:59], v[12:13] op_sel_hi:[0,1,1]
	v_mov_b32_e32 v56, v60
	v_pk_fma_f32 v[12:13], v[70:71], v[56:57], v[12:13] op_sel_hi:[0,1,1]
	v_mov_b32_e32 v59, v60
	v_pk_fma_f32 v[12:13], v[70:71], v[58:59], v[12:13] op_sel:[1,0,0]
	v_mov_b32_e32 v56, v61
	v_pk_fma_f32 v[12:13], v[72:73], v[56:57], v[12:13] op_sel_hi:[0,1,1]
	v_mov_b32_e32 v59, v61
	v_pk_fma_f32 v[12:13], v[16:17], v[58:59], v[12:13] op_sel_hi:[0,1,1]
	v_mov_b32_e32 v56, v62
	v_pk_fma_f32 v[12:13], v[64:65], v[56:57], v[12:13] op_sel_hi:[0,1,1]
	v_mov_b32_e32 v59, v62
	v_pk_fma_f32 v[12:13], v[64:65], v[58:59], v[12:13] op_sel:[1,0,0]
	v_mov_b32_e32 v56, v63
	v_pk_fma_f32 v[12:13], v[66:67], v[56:57], v[12:13] op_sel_hi:[0,1,1]
	v_mov_b32_e32 v59, v63
	v_pk_fma_f32 v[14:15], v[18:19], v[58:59], v[12:13] op_sel_hi:[0,1,1]
	v_mov_b32_e32 v59, v10
	v_pk_fma_f32 v[8:9], v[4:5], v[58:59], v[8:9] op_sel:[1,0,0]
	v_mov_b32_e32 v56, v11
	v_pk_fma_f32 v[8:9], v[6:7], v[56:57], v[8:9] op_sel_hi:[0,1,1]
	v_mov_b32_e32 v59, v11
	v_pk_fma_f32 v[8:9], v[26:27], v[58:59], v[8:9] op_sel_hi:[0,1,1]
	v_mov_b32_e32 v56, v28
	v_pk_fma_f32 v[8:9], v[70:71], v[56:57], v[8:9] op_sel_hi:[0,1,1]
	v_mov_b32_e32 v59, v28
	v_pk_fma_f32 v[8:9], v[70:71], v[58:59], v[8:9] op_sel:[1,0,0]
	v_mov_b32_e32 v56, v29
	v_pk_fma_f32 v[8:9], v[72:73], v[56:57], v[8:9] op_sel_hi:[0,1,1]
	v_mov_b32_e32 v59, v29
	v_pk_fma_f32 v[8:9], v[16:17], v[58:59], v[8:9] op_sel_hi:[0,1,1]
	v_mov_b32_e32 v56, v30
	v_pk_fma_f32 v[8:9], v[64:65], v[56:57], v[8:9] op_sel_hi:[0,1,1]
	v_mov_b32_e32 v59, v30
	v_pk_fma_f32 v[8:9], v[64:65], v[58:59], v[8:9] op_sel:[1,0,0]
	v_mov_b32_e32 v56, v31
	v_pk_fma_f32 v[8:9], v[66:67], v[56:57], v[8:9] op_sel_hi:[0,1,1]
	;; [unrolled: 22-line block ×3, first 2 shown]
	v_mov_b32_e32 v59, v23
	v_pk_fma_f32 v[0:1], v[18:19], v[58:59], v[0:1] op_sel_hi:[0,1,1]
	s_andn2_b64 exec, exec, s[14:15]
	s_cbranch_execnz .LBB134_29
; %bb.30:
	s_or_b64 exec, exec, s[14:15]
.LBB134_31:
	s_or_b64 exec, exec, s[10:11]
.LBB134_32:
	s_or_b64 exec, exec, s[8:9]
	s_cbranch_execz .LBB134_34
	s_branch .LBB134_45
.LBB134_33:
                                        ; implicit-def: $vgpr25
                                        ; implicit-def: $vgpr15
                                        ; implicit-def: $vgpr13
                                        ; implicit-def: $vgpr1
.LBB134_34:
	v_mov_b32_e32 v25, 0
	v_mov_b32_e32 v24, 0
	;; [unrolled: 1-line block ×8, first 2 shown]
	s_and_saveexec_b64 s[2:3], s[0:1]
	s_cbranch_execz .LBB134_44
; %bb.35:
	v_or_b32_e32 v0, 64, v40
	v_mov_b32_e32 v1, s19
	v_subrev_co_u32_e32 v0, vcc, s16, v0
	v_subb_co_u32_e32 v1, vcc, 0, v1, vcc
	v_add_co_u32_e32 v0, vcc, v0, v48
	v_addc_co_u32_e32 v1, vcc, v1, v49, vcc
	v_cmp_gt_i64_e32 vcc, v[0:1], v[44:45]
	v_cndmask_b32_e32 v1, v45, v1, vcc
	v_cndmask_b32_e32 v0, v44, v0, vcc
	v_mov_b32_e32 v4, s19
	v_sub_co_u32_e32 v5, vcc, s16, v40
	v_not_b32_e32 v3, v48
	v_subbrev_co_u32_e32 v4, vcc, 0, v4, vcc
	v_not_b32_e32 v2, v49
	v_add_co_u32_e32 v3, vcc, v5, v3
	v_addc_co_u32_e32 v4, vcc, v4, v2, vcc
	v_add_co_u32_e32 v2, vcc, v3, v0
	v_lshrrev_b32_e32 v0, 6, v2
	v_add_u32_e32 v0, 1, v0
	v_addc_co_u32_e32 v3, vcc, v4, v1, vcc
	v_and_b32_e32 v4, 3, v0
	v_mov_b32_e32 v0, 0
	v_cmp_ne_u32_e32 vcc, 0, v4
	v_mov_b32_e32 v1, v0
	v_mov_b32_e32 v12, v0
	;; [unrolled: 1-line block ×7, first 2 shown]
	s_and_saveexec_b64 s[8:9], vcc
	s_cbranch_execz .LBB134_39
; %bb.36:
	v_lshlrev_b64 v[0:1], 3, v[42:43]
	v_mov_b32_e32 v5, 0
	v_mov_b32_e32 v7, s13
	v_add_co_u32_e32 v6, vcc, s12, v0
	v_lshlrev_b32_e32 v4, 3, v4
	v_addc_co_u32_e32 v7, vcc, v7, v1, vcc
	s_mov_b64 s[10:11], 0
	s_movk_i32 s14, 0x1000
	v_mov_b32_e32 v16, s19
	v_mov_b32_e32 v17, s7
	v_bfrev_b32_e32 v8, 1
	v_pk_mov_b32 v[10:11], v[4:5], v[4:5] op_sel:[0,1]
	v_mov_b32_e32 v0, v5
	v_mov_b32_e32 v1, v5
	;; [unrolled: 1-line block ×8, first 2 shown]
.LBB134_37:                             ; =>This Inner Loop Header: Depth=1
	global_load_dwordx2 v[22:23], v[6:7], off
	global_load_dwordx4 v[18:21], v[46:47], off offset:32
	global_load_dwordx4 v[26:29], v[46:47], off offset:16
	global_load_dwordx4 v[30:33], v[46:47], off
	v_add_co_u32_e64 v42, s[0:1], 64, v42
	v_addc_co_u32_e64 v43, s[0:1], 0, v43, s[0:1]
	v_add_co_u32_e64 v10, s[0:1], -8, v10
	v_addc_co_u32_e64 v11, s[0:1], -1, v11, s[0:1]
	v_cmp_eq_u64_e64 s[0:1], 0, v[10:11]
	s_or_b64 s[10:11], s[0:1], s[10:11]
	s_waitcnt vmcnt(3)
	v_subrev_co_u32_e32 v22, vcc, s16, v22
	v_subb_co_u32_e32 v23, vcc, v23, v16, vcc
	v_lshlrev_b64 v[22:23], 5, v[22:23]
	v_add_co_u32_e32 v22, vcc, s6, v22
	v_addc_co_u32_e32 v23, vcc, v17, v23, vcc
	global_load_dwordx4 v[48:51], v[22:23], off
	global_load_dwordx4 v[52:55], v[22:23], off offset:16
	global_load_dwordx4 v[56:59], v[46:47], off offset:48
	s_waitcnt vmcnt(3)
	v_mov_b32_e32 v4, v30
	v_mov_b32_e32 v9, v30
	v_add_co_u32_e32 v46, vcc, s14, v46
	v_addc_co_u32_e32 v47, vcc, 0, v47, vcc
	v_add_co_u32_e32 v6, vcc, 0x200, v6
	v_addc_co_u32_e32 v7, vcc, 0, v7, vcc
	s_waitcnt vmcnt(2)
	v_pk_fma_f32 v[22:23], v[48:49], v[4:5], v[24:25] op_sel_hi:[0,1,1]
	v_mov_b32_e32 v4, v26
	v_pk_fma_f32 v[22:23], v[48:49], v[8:9], v[22:23] op_sel:[1,0,0]
	v_mov_b32_e32 v30, v51
	v_mov_b32_e32 v9, v26
	v_pk_fma_f32 v[22:23], v[50:51], v[4:5], v[22:23] op_sel_hi:[0,1,1]
	v_mov_b32_e32 v4, v18
	v_pk_fma_f32 v[22:23], v[30:31], v[8:9], v[22:23] op_sel_hi:[0,1,1]
	v_mov_b32_e32 v9, v18
	s_waitcnt vmcnt(1)
	v_pk_fma_f32 v[22:23], v[52:53], v[4:5], v[22:23] op_sel_hi:[0,1,1]
	s_waitcnt vmcnt(0)
	v_mov_b32_e32 v4, v56
	v_pk_fma_f32 v[22:23], v[52:53], v[8:9], v[22:23] op_sel:[1,0,0]
	v_mov_b32_e32 v60, v55
	v_mov_b32_e32 v9, v56
	v_pk_fma_f32 v[22:23], v[54:55], v[4:5], v[22:23] op_sel_hi:[0,1,1]
	v_mov_b32_e32 v4, v31
	v_pk_fma_f32 v[24:25], v[60:61], v[8:9], v[22:23] op_sel_hi:[0,1,1]
	v_pk_fma_f32 v[14:15], v[48:49], v[4:5], v[14:15] op_sel_hi:[0,1,1]
	v_mov_b32_e32 v9, v31
	v_mov_b32_e32 v4, v27
	v_pk_fma_f32 v[14:15], v[48:49], v[8:9], v[14:15] op_sel:[1,0,0]
	v_mov_b32_e32 v9, v27
	v_pk_fma_f32 v[14:15], v[50:51], v[4:5], v[14:15] op_sel_hi:[0,1,1]
	v_mov_b32_e32 v4, v19
	v_pk_fma_f32 v[14:15], v[30:31], v[8:9], v[14:15] op_sel_hi:[0,1,1]
	v_mov_b32_e32 v9, v19
	v_pk_fma_f32 v[14:15], v[52:53], v[4:5], v[14:15] op_sel_hi:[0,1,1]
	v_mov_b32_e32 v4, v57
	v_pk_fma_f32 v[14:15], v[52:53], v[8:9], v[14:15] op_sel:[1,0,0]
	v_mov_b32_e32 v9, v57
	v_pk_fma_f32 v[14:15], v[54:55], v[4:5], v[14:15] op_sel_hi:[0,1,1]
	v_mov_b32_e32 v4, v32
	v_pk_fma_f32 v[14:15], v[60:61], v[8:9], v[14:15] op_sel_hi:[0,1,1]
	v_pk_fma_f32 v[12:13], v[48:49], v[4:5], v[12:13] op_sel_hi:[0,1,1]
	v_mov_b32_e32 v9, v32
	v_mov_b32_e32 v4, v28
	v_pk_fma_f32 v[12:13], v[48:49], v[8:9], v[12:13] op_sel:[1,0,0]
	v_mov_b32_e32 v9, v28
	v_pk_fma_f32 v[12:13], v[50:51], v[4:5], v[12:13] op_sel_hi:[0,1,1]
	v_mov_b32_e32 v4, v20
	v_pk_fma_f32 v[12:13], v[30:31], v[8:9], v[12:13] op_sel_hi:[0,1,1]
	v_mov_b32_e32 v9, v20
	v_pk_fma_f32 v[12:13], v[52:53], v[4:5], v[12:13] op_sel_hi:[0,1,1]
	v_mov_b32_e32 v4, v58
	v_pk_fma_f32 v[12:13], v[52:53], v[8:9], v[12:13] op_sel:[1,0,0]
	;; [unrolled: 16-line block ×3, first 2 shown]
	v_mov_b32_e32 v9, v59
	v_pk_fma_f32 v[0:1], v[54:55], v[4:5], v[0:1] op_sel_hi:[0,1,1]
	v_pk_fma_f32 v[0:1], v[60:61], v[8:9], v[0:1] op_sel_hi:[0,1,1]
	s_andn2_b64 exec, exec, s[10:11]
	s_cbranch_execnz .LBB134_37
; %bb.38:
	s_or_b64 exec, exec, s[10:11]
.LBB134_39:
	s_or_b64 exec, exec, s[8:9]
	s_mov_b64 s[0:1], 0xbf
	v_cmp_lt_u64_e32 vcc, s[0:1], v[2:3]
	s_and_saveexec_b64 s[8:9], vcc
	s_cbranch_execz .LBB134_43
; %bb.40:
	v_lshlrev_b64 v[2:3], 3, v[42:43]
	v_mov_b32_e32 v4, s13
	v_add_co_u32_e32 v2, vcc, s12, v2
	v_addc_co_u32_e32 v3, vcc, v3, v4, vcc
	v_add_co_u32_e32 v16, vcc, 0x400, v2
	v_addc_co_u32_e32 v17, vcc, 0, v3, vcc
	s_mov_b64 s[10:11], 0
	v_mov_b32_e32 v28, s19
	v_mov_b32_e32 v29, s7
	s_movk_i32 s7, 0x1000
	s_movk_i32 s12, 0x2000
	;; [unrolled: 1-line block ×4, first 2 shown]
	v_mov_b32_e32 v19, 0
	v_bfrev_b32_e32 v20, 1
.LBB134_41:                             ; =>This Inner Loop Header: Depth=1
	global_load_dwordx2 v[2:3], v[16:17], off offset:-1024
	global_load_dwordx4 v[30:33], v[46:47], off offset:48
	global_load_dwordx4 v[48:51], v[46:47], off offset:32
	;; [unrolled: 1-line block ×3, first 2 shown]
	global_load_dwordx4 v[56:59], v[46:47], off
	s_waitcnt vmcnt(4)
	v_subrev_co_u32_e32 v2, vcc, s16, v2
	v_subb_co_u32_e32 v3, vcc, v3, v28, vcc
	v_lshlrev_b64 v[2:3], 5, v[2:3]
	v_add_co_u32_e32 v2, vcc, s6, v2
	v_addc_co_u32_e32 v3, vcc, v29, v3, vcc
	global_load_dwordx4 v[60:63], v[2:3], off offset:16
	global_load_dwordx4 v[64:67], v[2:3], off
	v_add_co_u32_e32 v4, vcc, s7, v46
	global_load_dwordx2 v[2:3], v[16:17], off offset:-512
	v_addc_co_u32_e32 v5, vcc, 0, v47, vcc
	s_waitcnt vmcnt(3)
	v_mov_b32_e32 v18, v56
	v_mov_b32_e32 v21, v56
	s_waitcnt vmcnt(1)
	v_mov_b32_e32 v56, v67
	s_waitcnt vmcnt(0)
	v_subrev_co_u32_e32 v6, vcc, s16, v2
	v_subb_co_u32_e32 v7, vcc, v3, v28, vcc
	v_add_co_u32_e32 v2, vcc, s12, v46
	v_addc_co_u32_e32 v3, vcc, 0, v47, vcc
	global_load_dwordx4 v[68:71], v[2:3], off offset:-4096
	global_load_dwordx4 v[72:75], v[4:5], off offset:48
	global_load_dwordx4 v[76:79], v[4:5], off offset:32
	;; [unrolled: 1-line block ×3, first 2 shown]
	v_lshlrev_b64 v[4:5], 5, v[6:7]
	v_add_co_u32_e32 v22, vcc, s6, v4
	v_addc_co_u32_e32 v23, vcc, v29, v5, vcc
	global_load_dwordx4 v[4:7], v[22:23], off offset:16
	global_load_dwordx4 v[8:11], v[22:23], off
	v_pk_fma_f32 v[22:23], v[64:65], v[18:19], v[24:25] op_sel_hi:[0,1,1]
	v_pk_fma_f32 v[22:23], v[64:65], v[20:21], v[22:23] op_sel:[1,0,0]
	v_mov_b32_e32 v18, v52
	v_pk_fma_f32 v[22:23], v[66:67], v[18:19], v[22:23] op_sel_hi:[0,1,1]
	v_mov_b32_e32 v21, v52
	v_pk_fma_f32 v[22:23], v[56:57], v[20:21], v[22:23] op_sel_hi:[0,1,1]
	;; [unrolled: 2-line block ×3, first 2 shown]
	v_mov_b32_e32 v21, v48
	v_pk_fma_f32 v[22:23], v[60:61], v[20:21], v[22:23] op_sel:[1,0,0]
	v_mov_b32_e32 v18, v30
	v_pk_fma_f32 v[22:23], v[62:63], v[18:19], v[22:23] op_sel_hi:[0,1,1]
	v_mov_b32_e32 v48, v63
	v_mov_b32_e32 v21, v30
	v_pk_fma_f32 v[22:23], v[48:49], v[20:21], v[22:23] op_sel_hi:[0,1,1]
	s_waitcnt vmcnt(5)
	v_mov_b32_e32 v18, v68
	v_mov_b32_e32 v21, v68
	s_waitcnt vmcnt(0)
	v_pk_fma_f32 v[22:23], v[8:9], v[18:19], v[22:23] op_sel_hi:[0,1,1]
	v_mov_b32_e32 v18, v57
	v_pk_fma_f32 v[26:27], v[8:9], v[20:21], v[22:23] op_sel:[1,0,0]
	v_pk_fma_f32 v[14:15], v[64:65], v[18:19], v[14:15] op_sel_hi:[0,1,1]
	v_mov_b32_e32 v21, v57
	v_pk_fma_f32 v[14:15], v[64:65], v[20:21], v[14:15] op_sel:[1,0,0]
	v_mov_b32_e32 v18, v53
	v_pk_fma_f32 v[14:15], v[66:67], v[18:19], v[14:15] op_sel_hi:[0,1,1]
	v_mov_b32_e32 v21, v53
	v_pk_fma_f32 v[14:15], v[56:57], v[20:21], v[14:15] op_sel_hi:[0,1,1]
	v_mov_b32_e32 v18, v49
	v_pk_fma_f32 v[14:15], v[60:61], v[18:19], v[14:15] op_sel_hi:[0,1,1]
	v_mov_b32_e32 v21, v49
	v_pk_fma_f32 v[14:15], v[60:61], v[20:21], v[14:15] op_sel:[1,0,0]
	v_mov_b32_e32 v18, v31
	v_pk_fma_f32 v[14:15], v[62:63], v[18:19], v[14:15] op_sel_hi:[0,1,1]
	v_mov_b32_e32 v21, v31
	v_pk_fma_f32 v[14:15], v[48:49], v[20:21], v[14:15] op_sel_hi:[0,1,1]
	v_mov_b32_e32 v18, v69
	v_pk_fma_f32 v[14:15], v[8:9], v[18:19], v[14:15] op_sel_hi:[0,1,1]
	v_mov_b32_e32 v21, v69
	v_mov_b32_e32 v18, v58
	v_pk_fma_f32 v[24:25], v[8:9], v[20:21], v[14:15] op_sel:[1,0,0]
	v_pk_fma_f32 v[12:13], v[64:65], v[18:19], v[12:13] op_sel_hi:[0,1,1]
	v_mov_b32_e32 v21, v58
	v_pk_fma_f32 v[12:13], v[64:65], v[20:21], v[12:13] op_sel:[1,0,0]
	v_mov_b32_e32 v18, v54
	v_pk_fma_f32 v[12:13], v[66:67], v[18:19], v[12:13] op_sel_hi:[0,1,1]
	v_mov_b32_e32 v21, v54
	v_pk_fma_f32 v[12:13], v[56:57], v[20:21], v[12:13] op_sel_hi:[0,1,1]
	v_mov_b32_e32 v18, v50
	v_pk_fma_f32 v[12:13], v[60:61], v[18:19], v[12:13] op_sel_hi:[0,1,1]
	v_mov_b32_e32 v21, v50
	v_pk_fma_f32 v[12:13], v[60:61], v[20:21], v[12:13] op_sel:[1,0,0]
	v_mov_b32_e32 v18, v32
	v_pk_fma_f32 v[12:13], v[62:63], v[18:19], v[12:13] op_sel_hi:[0,1,1]
	v_mov_b32_e32 v21, v32
	v_pk_fma_f32 v[12:13], v[48:49], v[20:21], v[12:13] op_sel_hi:[0,1,1]
	v_mov_b32_e32 v18, v70
	v_pk_fma_f32 v[12:13], v[8:9], v[18:19], v[12:13] op_sel_hi:[0,1,1]
	v_mov_b32_e32 v21, v70
	;; [unrolled: 20-line block ×3, first 2 shown]
	v_pk_fma_f32 v[22:23], v[8:9], v[20:21], v[0:1] op_sel:[1,0,0]
	global_load_dwordx2 v[0:1], v[16:17], off
	global_load_dwordx4 v[30:33], v[2:3], off
	global_load_dwordx4 v[48:51], v[2:3], off offset:48
	global_load_dwordx4 v[52:55], v[2:3], off offset:32
	;; [unrolled: 1-line block ×3, first 2 shown]
	v_mov_b32_e32 v18, v80
	v_mov_b32_e32 v21, v80
	;; [unrolled: 1-line block ×3, first 2 shown]
	s_waitcnt vmcnt(4)
	v_subrev_co_u32_e32 v0, vcc, s16, v0
	v_subb_co_u32_e32 v1, vcc, v1, v28, vcc
	v_lshlrev_b64 v[0:1], 5, v[0:1]
	v_add_co_u32_e32 v8, vcc, s6, v0
	v_addc_co_u32_e32 v9, vcc, v29, v1, vcc
	global_load_dwordx4 v[0:3], v[8:9], off offset:16
	global_load_dwordx4 v[60:63], v[8:9], off
	v_pk_fma_f32 v[8:9], v[10:11], v[18:19], v[26:27] op_sel_hi:[0,1,1]
	v_mov_b32_e32 v26, v11
	v_pk_fma_f32 v[8:9], v[26:27], v[20:21], v[8:9] op_sel_hi:[0,1,1]
	v_mov_b32_e32 v18, v76
	v_pk_fma_f32 v[8:9], v[4:5], v[18:19], v[8:9] op_sel_hi:[0,1,1]
	v_mov_b32_e32 v21, v76
	v_pk_fma_f32 v[8:9], v[4:5], v[20:21], v[8:9] op_sel:[1,0,0]
	v_mov_b32_e32 v18, v72
	v_pk_fma_f32 v[8:9], v[6:7], v[18:19], v[8:9] op_sel_hi:[0,1,1]
	v_mov_b32_e32 v21, v72
	v_pk_fma_f32 v[8:9], v[64:65], v[20:21], v[8:9] op_sel_hi:[0,1,1]
	s_waitcnt vmcnt(5)
	v_mov_b32_e32 v18, v30
	v_mov_b32_e32 v21, v30
	s_waitcnt vmcnt(0)
	v_pk_fma_f32 v[8:9], v[60:61], v[18:19], v[8:9] op_sel_hi:[0,1,1]
	v_pk_fma_f32 v[8:9], v[60:61], v[20:21], v[8:9] op_sel:[1,0,0]
	v_mov_b32_e32 v18, v56
	v_pk_fma_f32 v[8:9], v[62:63], v[18:19], v[8:9] op_sel_hi:[0,1,1]
	v_mov_b32_e32 v30, v63
	v_mov_b32_e32 v21, v56
	v_pk_fma_f32 v[8:9], v[30:31], v[20:21], v[8:9] op_sel_hi:[0,1,1]
	v_mov_b32_e32 v18, v52
	v_pk_fma_f32 v[14:15], v[0:1], v[18:19], v[8:9] op_sel_hi:[0,1,1]
	;; [unrolled: 2-line block ×5, first 2 shown]
	v_mov_b32_e32 v21, v77
	v_pk_fma_f32 v[8:9], v[4:5], v[20:21], v[8:9] op_sel:[1,0,0]
	v_mov_b32_e32 v18, v73
	v_pk_fma_f32 v[8:9], v[6:7], v[18:19], v[8:9] op_sel_hi:[0,1,1]
	v_mov_b32_e32 v21, v73
	v_pk_fma_f32 v[8:9], v[64:65], v[20:21], v[8:9] op_sel_hi:[0,1,1]
	;; [unrolled: 2-line block ×3, first 2 shown]
	v_mov_b32_e32 v21, v31
	v_pk_fma_f32 v[8:9], v[60:61], v[20:21], v[8:9] op_sel:[1,0,0]
	v_mov_b32_e32 v18, v57
	v_pk_fma_f32 v[8:9], v[62:63], v[18:19], v[8:9] op_sel_hi:[0,1,1]
	v_mov_b32_e32 v21, v57
	v_pk_fma_f32 v[8:9], v[30:31], v[20:21], v[8:9] op_sel_hi:[0,1,1]
	v_mov_b32_e32 v18, v53
	v_pk_fma_f32 v[8:9], v[0:1], v[18:19], v[8:9] op_sel_hi:[0,1,1]
	v_mov_b32_e32 v18, v82
	v_pk_fma_f32 v[12:13], v[10:11], v[18:19], v[12:13] op_sel_hi:[0,1,1]
	v_mov_b32_e32 v21, v82
	v_pk_fma_f32 v[12:13], v[26:27], v[20:21], v[12:13] op_sel_hi:[0,1,1]
	v_mov_b32_e32 v18, v78
	v_pk_fma_f32 v[12:13], v[4:5], v[18:19], v[12:13] op_sel_hi:[0,1,1]
	v_mov_b32_e32 v21, v78
	v_pk_fma_f32 v[12:13], v[4:5], v[20:21], v[12:13] op_sel:[1,0,0]
	v_mov_b32_e32 v18, v74
	v_pk_fma_f32 v[12:13], v[6:7], v[18:19], v[12:13] op_sel_hi:[0,1,1]
	v_mov_b32_e32 v21, v74
	v_pk_fma_f32 v[12:13], v[64:65], v[20:21], v[12:13] op_sel_hi:[0,1,1]
	;; [unrolled: 2-line block ×3, first 2 shown]
	v_mov_b32_e32 v21, v32
	v_pk_fma_f32 v[12:13], v[60:61], v[20:21], v[12:13] op_sel:[1,0,0]
	v_mov_b32_e32 v18, v58
	v_pk_fma_f32 v[12:13], v[62:63], v[18:19], v[12:13] op_sel_hi:[0,1,1]
	v_mov_b32_e32 v21, v58
	v_pk_fma_f32 v[12:13], v[30:31], v[20:21], v[12:13] op_sel_hi:[0,1,1]
	;; [unrolled: 2-line block ×6, first 2 shown]
	v_mov_b32_e32 v21, v79
	v_pk_fma_f32 v[4:5], v[4:5], v[20:21], v[10:11] op_sel:[1,0,0]
	v_mov_b32_e32 v18, v75
	v_pk_fma_f32 v[4:5], v[6:7], v[18:19], v[4:5] op_sel_hi:[0,1,1]
	global_load_dwordx2 v[6:7], v[16:17], off offset:512
	v_mov_b32_e32 v21, v75
	v_pk_fma_f32 v[4:5], v[64:65], v[20:21], v[4:5] op_sel_hi:[0,1,1]
	v_mov_b32_e32 v18, v33
	v_pk_fma_f32 v[4:5], v[60:61], v[18:19], v[4:5] op_sel_hi:[0,1,1]
	v_mov_b32_e32 v21, v33
	v_pk_fma_f32 v[4:5], v[60:61], v[20:21], v[4:5] op_sel:[1,0,0]
	v_mov_b32_e32 v18, v59
	v_pk_fma_f32 v[4:5], v[62:63], v[18:19], v[4:5] op_sel_hi:[0,1,1]
	v_mov_b32_e32 v21, v59
	v_pk_fma_f32 v[4:5], v[30:31], v[20:21], v[4:5] op_sel_hi:[0,1,1]
	v_mov_b32_e32 v18, v55
	v_mov_b32_e32 v21, v52
	v_pk_fma_f32 v[4:5], v[0:1], v[18:19], v[4:5] op_sel_hi:[0,1,1]
	v_mov_b32_e32 v18, v48
	s_waitcnt vmcnt(0)
	v_subrev_co_u32_e32 v6, vcc, s16, v6
	v_subb_co_u32_e32 v7, vcc, v7, v28, vcc
	v_add_co_u32_e32 v10, vcc, s13, v46
	v_addc_co_u32_e32 v11, vcc, 0, v47, vcc
	v_lshlrev_b64 v[6:7], 5, v[6:7]
	v_add_co_u32_e32 v6, vcc, s6, v6
	v_addc_co_u32_e32 v7, vcc, v29, v7, vcc
	global_load_dwordx4 v[30:33], v[10:11], off
	global_load_dwordx4 v[56:59], v[10:11], off offset:48
	global_load_dwordx4 v[60:63], v[10:11], off offset:32
	;; [unrolled: 1-line block ×4, first 2 shown]
	global_load_dwordx4 v[72:75], v[6:7], off
	v_pk_fma_f32 v[6:7], v[0:1], v[20:21], v[14:15] op_sel:[1,0,0]
	v_pk_fma_f32 v[6:7], v[2:3], v[18:19], v[6:7] op_sel_hi:[0,1,1]
	v_mov_b32_e32 v10, v3
	v_mov_b32_e32 v21, v48
	v_pk_fma_f32 v[6:7], v[10:11], v[20:21], v[6:7] op_sel_hi:[0,1,1]
	v_add_co_u32_e32 v42, vcc, s14, v42
	v_addc_co_u32_e32 v43, vcc, 0, v43, vcc
	v_add_co_u32_e32 v16, vcc, 0x800, v16
	v_addc_co_u32_e32 v17, vcc, 0, v17, vcc
	v_cmp_ge_i64_e64 s[0:1], v[42:43], v[44:45]
	v_add_co_u32_e32 v46, vcc, 0x4000, v46
	v_addc_co_u32_e32 v47, vcc, 0, v47, vcc
	s_or_b64 s[10:11], s[0:1], s[10:11]
	s_waitcnt vmcnt(5)
	v_mov_b32_e32 v18, v30
	v_mov_b32_e32 v21, v30
	s_waitcnt vmcnt(1)
	v_mov_b32_e32 v26, v71
	s_waitcnt vmcnt(0)
	v_pk_fma_f32 v[6:7], v[72:73], v[18:19], v[6:7] op_sel_hi:[0,1,1]
	v_pk_fma_f32 v[6:7], v[72:73], v[20:21], v[6:7] op_sel:[1,0,0]
	v_mov_b32_e32 v18, v64
	v_pk_fma_f32 v[6:7], v[74:75], v[18:19], v[6:7] op_sel_hi:[0,1,1]
	v_mov_b32_e32 v22, v75
	v_mov_b32_e32 v21, v64
	v_pk_fma_f32 v[6:7], v[22:23], v[20:21], v[6:7] op_sel_hi:[0,1,1]
	v_mov_b32_e32 v18, v60
	v_pk_fma_f32 v[6:7], v[68:69], v[18:19], v[6:7] op_sel_hi:[0,1,1]
	v_mov_b32_e32 v21, v60
	v_pk_fma_f32 v[6:7], v[68:69], v[20:21], v[6:7] op_sel:[1,0,0]
	v_mov_b32_e32 v18, v56
	v_pk_fma_f32 v[6:7], v[70:71], v[18:19], v[6:7] op_sel_hi:[0,1,1]
	v_mov_b32_e32 v21, v56
	v_pk_fma_f32 v[24:25], v[26:27], v[20:21], v[6:7] op_sel_hi:[0,1,1]
	v_mov_b32_e32 v21, v53
	v_pk_fma_f32 v[6:7], v[0:1], v[20:21], v[8:9] op_sel:[1,0,0]
	v_mov_b32_e32 v18, v49
	v_pk_fma_f32 v[6:7], v[2:3], v[18:19], v[6:7] op_sel_hi:[0,1,1]
	v_mov_b32_e32 v21, v49
	v_pk_fma_f32 v[6:7], v[10:11], v[20:21], v[6:7] op_sel_hi:[0,1,1]
	v_mov_b32_e32 v18, v31
	v_pk_fma_f32 v[6:7], v[72:73], v[18:19], v[6:7] op_sel_hi:[0,1,1]
	v_mov_b32_e32 v21, v31
	v_pk_fma_f32 v[6:7], v[72:73], v[20:21], v[6:7] op_sel:[1,0,0]
	v_mov_b32_e32 v18, v65
	v_pk_fma_f32 v[6:7], v[74:75], v[18:19], v[6:7] op_sel_hi:[0,1,1]
	v_mov_b32_e32 v21, v65
	v_pk_fma_f32 v[6:7], v[22:23], v[20:21], v[6:7] op_sel_hi:[0,1,1]
	v_mov_b32_e32 v18, v61
	v_pk_fma_f32 v[6:7], v[68:69], v[18:19], v[6:7] op_sel_hi:[0,1,1]
	v_mov_b32_e32 v21, v61
	v_pk_fma_f32 v[6:7], v[68:69], v[20:21], v[6:7] op_sel:[1,0,0]
	v_mov_b32_e32 v18, v57
	v_pk_fma_f32 v[6:7], v[70:71], v[18:19], v[6:7] op_sel_hi:[0,1,1]
	v_mov_b32_e32 v21, v57
	v_pk_fma_f32 v[14:15], v[26:27], v[20:21], v[6:7] op_sel_hi:[0,1,1]
	v_mov_b32_e32 v21, v54
	v_pk_fma_f32 v[6:7], v[0:1], v[20:21], v[12:13] op_sel:[1,0,0]
	v_mov_b32_e32 v18, v50
	v_pk_fma_f32 v[6:7], v[2:3], v[18:19], v[6:7] op_sel_hi:[0,1,1]
	v_mov_b32_e32 v21, v50
	v_pk_fma_f32 v[6:7], v[10:11], v[20:21], v[6:7] op_sel_hi:[0,1,1]
	v_mov_b32_e32 v18, v32
	v_pk_fma_f32 v[6:7], v[72:73], v[18:19], v[6:7] op_sel_hi:[0,1,1]
	v_mov_b32_e32 v21, v32
	v_pk_fma_f32 v[6:7], v[72:73], v[20:21], v[6:7] op_sel:[1,0,0]
	v_mov_b32_e32 v18, v66
	v_pk_fma_f32 v[6:7], v[74:75], v[18:19], v[6:7] op_sel_hi:[0,1,1]
	;; [unrolled: 22-line block ×3, first 2 shown]
	v_mov_b32_e32 v21, v67
	v_pk_fma_f32 v[0:1], v[22:23], v[20:21], v[0:1] op_sel_hi:[0,1,1]
	v_mov_b32_e32 v18, v63
	v_pk_fma_f32 v[0:1], v[68:69], v[18:19], v[0:1] op_sel_hi:[0,1,1]
	v_mov_b32_e32 v21, v63
	v_pk_fma_f32 v[0:1], v[68:69], v[20:21], v[0:1] op_sel:[1,0,0]
	v_mov_b32_e32 v18, v59
	v_pk_fma_f32 v[0:1], v[70:71], v[18:19], v[0:1] op_sel_hi:[0,1,1]
	v_mov_b32_e32 v21, v59
	v_pk_fma_f32 v[0:1], v[26:27], v[20:21], v[0:1] op_sel_hi:[0,1,1]
	s_andn2_b64 exec, exec, s[10:11]
	s_cbranch_execnz .LBB134_41
; %bb.42:
	s_or_b64 exec, exec, s[10:11]
.LBB134_43:
	s_or_b64 exec, exec, s[8:9]
.LBB134_44:
	s_or_b64 exec, exec, s[2:3]
.LBB134_45:
	v_mov_b32_dpp v8, v15 row_shr:1 row_mask:0xf bank_mask:0xf
	v_add_f32_e32 v8, v15, v8
	v_mov_b32_dpp v2, v24 row_shr:1 row_mask:0xf bank_mask:0xf
	v_mov_b32_dpp v4, v25 row_shr:1 row_mask:0xf bank_mask:0xf
	;; [unrolled: 1-line block ×3, first 2 shown]
	v_add_f32_e32 v8, v8, v9
	v_mov_b32_dpp v6, v14 row_shr:1 row_mask:0xf bank_mask:0xf
	v_add_f32_e32 v2, v24, v2
	v_mov_b32_dpp v9, v8 row_shr:4 row_mask:0xf bank_mask:0xe
	v_add_f32_e32 v8, v8, v9
	v_add_f32_e32 v4, v25, v4
	;; [unrolled: 1-line block ×3, first 2 shown]
	v_mov_b32_dpp v9, v8 row_shr:8 row_mask:0xf bank_mask:0xc
	v_add_f32_e32 v8, v8, v9
	v_mov_b32_dpp v3, v2 row_shr:2 row_mask:0xf bank_mask:0xf
	v_mov_b32_dpp v5, v4 row_shr:2 row_mask:0xf bank_mask:0xf
	v_mov_b32_dpp v9, v8 row_bcast:15 row_mask:0xa bank_mask:0xf
	v_add_f32_e32 v9, v8, v9
	v_mov_b32_dpp v8, v12 row_shr:1 row_mask:0xf bank_mask:0xf
	v_add_f32_e32 v8, v12, v8
	v_mov_b32_dpp v7, v6 row_shr:2 row_mask:0xf bank_mask:0xf
	;; [unrolled: 2-line block ×3, first 2 shown]
	v_add_f32_e32 v8, v8, v11
	v_add_f32_e32 v4, v4, v5
	;; [unrolled: 1-line block ×3, first 2 shown]
	v_mov_b32_dpp v11, v8 row_shr:4 row_mask:0xf bank_mask:0xe
	v_add_f32_e32 v8, v8, v11
	v_mov_b32_dpp v3, v2 row_shr:4 row_mask:0xf bank_mask:0xe
	v_mov_b32_dpp v5, v4 row_shr:4 row_mask:0xf bank_mask:0xe
	;; [unrolled: 1-line block ×3, first 2 shown]
	v_add_f32_e32 v8, v8, v11
	v_mov_b32_dpp v7, v6 row_shr:4 row_mask:0xf bank_mask:0xe
	v_add_f32_e32 v2, v2, v3
	v_mov_b32_dpp v11, v8 row_bcast:15 row_mask:0xa bank_mask:0xf
	v_add_f32_e32 v11, v8, v11
	v_mov_b32_dpp v8, v13 row_shr:1 row_mask:0xf bank_mask:0xf
	v_add_f32_e32 v8, v13, v8
	v_add_f32_e32 v4, v4, v5
	v_add_f32_e32 v6, v6, v7
	v_mov_b32_dpp v12, v8 row_shr:2 row_mask:0xf bank_mask:0xf
	v_add_f32_e32 v8, v8, v12
	v_mov_b32_dpp v3, v2 row_shr:8 row_mask:0xf bank_mask:0xc
	v_mov_b32_dpp v5, v4 row_shr:8 row_mask:0xf bank_mask:0xc
	;; [unrolled: 1-line block ×3, first 2 shown]
	v_add_f32_e32 v8, v8, v12
	v_mov_b32_dpp v7, v6 row_shr:8 row_mask:0xf bank_mask:0xc
	v_add_f32_e32 v2, v2, v3
	v_mov_b32_dpp v12, v8 row_shr:8 row_mask:0xf bank_mask:0xc
	v_add_f32_e32 v8, v8, v12
	v_add_f32_e32 v4, v4, v5
	;; [unrolled: 1-line block ×3, first 2 shown]
	v_mov_b32_dpp v12, v8 row_bcast:15 row_mask:0xa bank_mask:0xf
	v_add_f32_e32 v13, v8, v12
	v_mov_b32_dpp v8, v0 row_shr:1 row_mask:0xf bank_mask:0xf
	v_add_f32_e32 v0, v0, v8
	v_mov_b32_dpp v3, v2 row_bcast:15 row_mask:0xa bank_mask:0xf
	v_mov_b32_dpp v5, v4 row_bcast:15 row_mask:0xa bank_mask:0xf
	v_mov_b32_dpp v8, v0 row_shr:2 row_mask:0xf bank_mask:0xf
	v_add_f32_e32 v0, v0, v8
	v_mov_b32_dpp v7, v6 row_bcast:15 row_mask:0xa bank_mask:0xf
	v_add_f32_e32 v2, v2, v3
	v_mov_b32_dpp v8, v0 row_shr:4 row_mask:0xf bank_mask:0xe
	v_add_f32_e32 v0, v0, v8
	v_add_f32_e32 v4, v4, v5
	;; [unrolled: 1-line block ×3, first 2 shown]
	v_mov_b32_dpp v8, v0 row_shr:8 row_mask:0xf bank_mask:0xc
	v_add_f32_e32 v0, v0, v8
	v_mov_b32_dpp v3, v2 row_bcast:31 row_mask:0xc bank_mask:0xf
	v_mov_b32_dpp v5, v4 row_bcast:31 row_mask:0xc bank_mask:0xf
	;; [unrolled: 1-line block ×3, first 2 shown]
	v_add_f32_e32 v0, v0, v8
	v_mov_b32_dpp v7, v6 row_bcast:31 row_mask:0xc bank_mask:0xf
	v_mov_b32_dpp v8, v1 row_shr:1 row_mask:0xf bank_mask:0xf
	v_add_f32_e32 v1, v1, v8
	v_mov_b32_dpp v10, v9 row_bcast:31 row_mask:0xc bank_mask:0xf
	v_mov_b32_dpp v15, v11 row_bcast:31 row_mask:0xc bank_mask:0xf
	v_mov_b32_dpp v8, v1 row_shr:2 row_mask:0xf bank_mask:0xf
	v_add_f32_e32 v1, v1, v8
	v_mov_b32_dpp v16, v13 row_bcast:31 row_mask:0xc bank_mask:0xf
	v_mov_b32_dpp v17, v0 row_bcast:31 row_mask:0xc bank_mask:0xf
	v_mov_b32_dpp v8, v1 row_shr:4 row_mask:0xf bank_mask:0xe
	v_add_f32_e32 v1, v1, v8
	v_cmp_eq_u32_e32 vcc, 63, v40
	s_nop 0
	v_mov_b32_dpp v8, v1 row_shr:8 row_mask:0xf bank_mask:0xc
	v_add_f32_e32 v1, v1, v8
	s_nop 1
	v_mov_b32_dpp v8, v1 row_bcast:15 row_mask:0xa bank_mask:0xf
	v_add_f32_e32 v1, v1, v8
	s_nop 1
	v_mov_b32_dpp v18, v1 row_bcast:31 row_mask:0xc bank_mask:0xf
	s_and_b64 exec, exec, vcc
	s_cbranch_execz .LBB134_14
; %bb.46:
	s_load_dwordx2 s[2:3], s[4:5], 0x58
	v_add_f32_e32 v14, v4, v5
	v_add_f32_e32 v4, v1, v18
	v_and_b32_e32 v1, 0x7fffffff, v36
	v_cmp_eq_u32_e32 vcc, 0, v1
	v_cmp_eq_f32_e64 s[0:1], 0, v37
	v_add_f32_e32 v8, v2, v3
	v_add_f32_e32 v6, v6, v7
	;; [unrolled: 1-line block ×6, first 2 shown]
	s_and_b64 s[0:1], vcc, s[0:1]
	v_lshlrev_b64 v[16:17], 5, v[38:39]
	s_and_saveexec_b64 s[4:5], s[0:1]
	s_xor_b64 s[0:1], exec, s[4:5]
	s_cbranch_execz .LBB134_48
; %bb.47:
	v_xor_b32_e32 v18, 0x80000000, v35
	v_mov_b32_e32 v19, v34
	v_pk_mul_f32 v[14:15], v[14:15], v[18:19] op_sel_hi:[0,1]
	s_waitcnt lgkmcnt(0)
	v_mov_b32_e32 v1, s3
	v_add_co_u32_e32 v20, vcc, s2, v16
	v_pk_fma_f32 v[14:15], v[34:35], v[8:9], v[14:15] op_sel_hi:[1,0,1]
	v_pk_mul_f32 v[8:9], v[12:13], v[18:19] op_sel_hi:[0,1]
	v_addc_co_u32_e32 v21, vcc, v1, v17, vcc
	v_pk_fma_f32 v[16:17], v[34:35], v[6:7], v[8:9] op_sel_hi:[1,0,1]
	v_pk_mul_f32 v[6:7], v[10:11], v[18:19] op_sel_hi:[0,1]
	v_pk_mul_f32 v[4:5], v[4:5], v[18:19] op_sel_hi:[0,1]
	v_pk_fma_f32 v[2:3], v[34:35], v[2:3], v[6:7] op_sel_hi:[1,0,1]
	v_pk_fma_f32 v[4:5], v[34:35], v[0:1], v[4:5] op_sel_hi:[1,0,1]
	global_store_dwordx4 v[20:21], v[14:17], off
	global_store_dwordx4 v[20:21], v[2:5], off offset:16
                                        ; implicit-def: $vgpr35
                                        ; implicit-def: $vgpr36
                                        ; implicit-def: $vgpr8
                                        ; implicit-def: $vgpr14
                                        ; implicit-def: $vgpr6
                                        ; implicit-def: $vgpr12
                                        ; implicit-def: $vgpr2
                                        ; implicit-def: $vgpr10
                                        ; implicit-def: $vgpr0
                                        ; implicit-def: $vgpr4
                                        ; implicit-def: $vgpr16_vgpr17
.LBB134_48:
	s_andn2_saveexec_b64 s[0:1], s[0:1]
	s_cbranch_execz .LBB134_14
; %bb.49:
	s_waitcnt lgkmcnt(0)
	v_mov_b32_e32 v1, s3
	v_add_co_u32_e32 v24, vcc, s2, v16
	v_addc_co_u32_e32 v25, vcc, v1, v17, vcc
	global_load_dwordx4 v[16:19], v[24:25], off
	global_load_dwordx4 v[20:23], v[24:25], off offset:16
	v_xor_b32_e32 v26, 0x80000000, v35
	v_mov_b32_e32 v27, v34
	v_pk_mul_f32 v[14:15], v[14:15], v[26:27] op_sel_hi:[0,1]
	v_pk_mul_f32 v[12:13], v[12:13], v[26:27] op_sel_hi:[0,1]
	;; [unrolled: 1-line block ×4, first 2 shown]
	v_pk_fma_f32 v[8:9], v[34:35], v[8:9], v[14:15] op_sel_hi:[1,0,1]
	v_pk_fma_f32 v[6:7], v[34:35], v[6:7], v[12:13] op_sel_hi:[1,0,1]
	v_xor_b32_e32 v28, 0x80000000, v37
	v_mov_b32_e32 v29, v36
	v_pk_fma_f32 v[2:3], v[34:35], v[2:3], v[10:11] op_sel_hi:[1,0,1]
	v_pk_fma_f32 v[0:1], v[34:35], v[0:1], v[4:5] op_sel_hi:[1,0,1]
	s_waitcnt vmcnt(1)
	v_pk_fma_f32 v[4:5], v[36:37], v[16:17], v[8:9] op_sel_hi:[1,0,1]
	v_pk_fma_f32 v[6:7], v[36:37], v[18:19], v[6:7] op_sel_hi:[1,0,1]
	v_mov_b32_e32 v8, v19
	s_waitcnt vmcnt(0)
	v_pk_fma_f32 v[10:11], v[36:37], v[20:21], v[2:3] op_sel_hi:[1,0,1]
	v_pk_fma_f32 v[12:13], v[36:37], v[22:23], v[0:1] op_sel_hi:[1,0,1]
	v_mov_b32_e32 v14, v23
	v_pk_fma_f32 v[0:1], v[28:29], v[16:17], v[4:5] op_sel:[0,1,0]
	v_pk_fma_f32 v[2:3], v[28:29], v[8:9], v[6:7] op_sel_hi:[1,0,1]
	v_pk_fma_f32 v[4:5], v[28:29], v[20:21], v[10:11] op_sel:[0,1,0]
	v_pk_fma_f32 v[6:7], v[28:29], v[14:15], v[12:13] op_sel_hi:[1,0,1]
	global_store_dwordx4 v[24:25], v[0:3], off
	global_store_dwordx4 v[24:25], v[4:7], off offset:16
	s_endpgm
	.section	.rodata,"a",@progbits
	.p2align	6, 0x0
	.amdhsa_kernel _ZN9rocsparseL18bsrxmvn_4x4_kernelILj128ELj64E21rocsparse_complex_numIfEllfS2_S2_EEvT3_20rocsparse_direction_NS_24const_host_device_scalarIT1_EES3_PKS3_PKT2_SC_S9_PKT4_PKT5_S7_PT6_21rocsparse_index_base_b
		.amdhsa_group_segment_fixed_size 0
		.amdhsa_private_segment_fixed_size 0
		.amdhsa_kernarg_size 104
		.amdhsa_user_sgpr_count 6
		.amdhsa_user_sgpr_private_segment_buffer 1
		.amdhsa_user_sgpr_dispatch_ptr 0
		.amdhsa_user_sgpr_queue_ptr 0
		.amdhsa_user_sgpr_kernarg_segment_ptr 1
		.amdhsa_user_sgpr_dispatch_id 0
		.amdhsa_user_sgpr_flat_scratch_init 0
		.amdhsa_user_sgpr_kernarg_preload_length 0
		.amdhsa_user_sgpr_kernarg_preload_offset 0
		.amdhsa_user_sgpr_private_segment_size 0
		.amdhsa_uses_dynamic_stack 0
		.amdhsa_system_sgpr_private_segment_wavefront_offset 0
		.amdhsa_system_sgpr_workgroup_id_x 1
		.amdhsa_system_sgpr_workgroup_id_y 0
		.amdhsa_system_sgpr_workgroup_id_z 0
		.amdhsa_system_sgpr_workgroup_info 0
		.amdhsa_system_vgpr_workitem_id 0
		.amdhsa_next_free_vgpr 90
		.amdhsa_next_free_sgpr 22
		.amdhsa_accum_offset 92
		.amdhsa_reserve_vcc 1
		.amdhsa_reserve_flat_scratch 0
		.amdhsa_float_round_mode_32 0
		.amdhsa_float_round_mode_16_64 0
		.amdhsa_float_denorm_mode_32 3
		.amdhsa_float_denorm_mode_16_64 3
		.amdhsa_dx10_clamp 1
		.amdhsa_ieee_mode 1
		.amdhsa_fp16_overflow 0
		.amdhsa_tg_split 0
		.amdhsa_exception_fp_ieee_invalid_op 0
		.amdhsa_exception_fp_denorm_src 0
		.amdhsa_exception_fp_ieee_div_zero 0
		.amdhsa_exception_fp_ieee_overflow 0
		.amdhsa_exception_fp_ieee_underflow 0
		.amdhsa_exception_fp_ieee_inexact 0
		.amdhsa_exception_int_div_zero 0
	.end_amdhsa_kernel
	.section	.text._ZN9rocsparseL18bsrxmvn_4x4_kernelILj128ELj64E21rocsparse_complex_numIfEllfS2_S2_EEvT3_20rocsparse_direction_NS_24const_host_device_scalarIT1_EES3_PKS3_PKT2_SC_S9_PKT4_PKT5_S7_PT6_21rocsparse_index_base_b,"axG",@progbits,_ZN9rocsparseL18bsrxmvn_4x4_kernelILj128ELj64E21rocsparse_complex_numIfEllfS2_S2_EEvT3_20rocsparse_direction_NS_24const_host_device_scalarIT1_EES3_PKS3_PKT2_SC_S9_PKT4_PKT5_S7_PT6_21rocsparse_index_base_b,comdat
.Lfunc_end134:
	.size	_ZN9rocsparseL18bsrxmvn_4x4_kernelILj128ELj64E21rocsparse_complex_numIfEllfS2_S2_EEvT3_20rocsparse_direction_NS_24const_host_device_scalarIT1_EES3_PKS3_PKT2_SC_S9_PKT4_PKT5_S7_PT6_21rocsparse_index_base_b, .Lfunc_end134-_ZN9rocsparseL18bsrxmvn_4x4_kernelILj128ELj64E21rocsparse_complex_numIfEllfS2_S2_EEvT3_20rocsparse_direction_NS_24const_host_device_scalarIT1_EES3_PKS3_PKT2_SC_S9_PKT4_PKT5_S7_PT6_21rocsparse_index_base_b
                                        ; -- End function
	.section	.AMDGPU.csdata,"",@progbits
; Kernel info:
; codeLenInByte = 7540
; NumSgprs: 26
; NumVgprs: 90
; NumAgprs: 0
; TotalNumVgprs: 90
; ScratchSize: 0
; MemoryBound: 0
; FloatMode: 240
; IeeeMode: 1
; LDSByteSize: 0 bytes/workgroup (compile time only)
; SGPRBlocks: 3
; VGPRBlocks: 11
; NumSGPRsForWavesPerEU: 26
; NumVGPRsForWavesPerEU: 90
; AccumOffset: 92
; Occupancy: 5
; WaveLimiterHint : 1
; COMPUTE_PGM_RSRC2:SCRATCH_EN: 0
; COMPUTE_PGM_RSRC2:USER_SGPR: 6
; COMPUTE_PGM_RSRC2:TRAP_HANDLER: 0
; COMPUTE_PGM_RSRC2:TGID_X_EN: 1
; COMPUTE_PGM_RSRC2:TGID_Y_EN: 0
; COMPUTE_PGM_RSRC2:TGID_Z_EN: 0
; COMPUTE_PGM_RSRC2:TIDIG_COMP_CNT: 0
; COMPUTE_PGM_RSRC3_GFX90A:ACCUM_OFFSET: 22
; COMPUTE_PGM_RSRC3_GFX90A:TG_SPLIT: 0
	.section	.text._ZN9rocsparseL18bsrxmvn_4x4_kernelILj128ELj4E21rocsparse_complex_numIdEiidS2_S2_EEvT3_20rocsparse_direction_NS_24const_host_device_scalarIT1_EES3_PKS3_PKT2_SC_S9_PKT4_PKT5_S7_PT6_21rocsparse_index_base_b,"axG",@progbits,_ZN9rocsparseL18bsrxmvn_4x4_kernelILj128ELj4E21rocsparse_complex_numIdEiidS2_S2_EEvT3_20rocsparse_direction_NS_24const_host_device_scalarIT1_EES3_PKS3_PKT2_SC_S9_PKT4_PKT5_S7_PT6_21rocsparse_index_base_b,comdat
	.globl	_ZN9rocsparseL18bsrxmvn_4x4_kernelILj128ELj4E21rocsparse_complex_numIdEiidS2_S2_EEvT3_20rocsparse_direction_NS_24const_host_device_scalarIT1_EES3_PKS3_PKT2_SC_S9_PKT4_PKT5_S7_PT6_21rocsparse_index_base_b ; -- Begin function _ZN9rocsparseL18bsrxmvn_4x4_kernelILj128ELj4E21rocsparse_complex_numIdEiidS2_S2_EEvT3_20rocsparse_direction_NS_24const_host_device_scalarIT1_EES3_PKS3_PKT2_SC_S9_PKT4_PKT5_S7_PT6_21rocsparse_index_base_b
	.p2align	8
	.type	_ZN9rocsparseL18bsrxmvn_4x4_kernelILj128ELj4E21rocsparse_complex_numIdEiidS2_S2_EEvT3_20rocsparse_direction_NS_24const_host_device_scalarIT1_EES3_PKS3_PKT2_SC_S9_PKT4_PKT5_S7_PT6_21rocsparse_index_base_b,@function
_ZN9rocsparseL18bsrxmvn_4x4_kernelILj128ELj4E21rocsparse_complex_numIdEiidS2_S2_EEvT3_20rocsparse_direction_NS_24const_host_device_scalarIT1_EES3_PKS3_PKT2_SC_S9_PKT4_PKT5_S7_PT6_21rocsparse_index_base_b: ; @_ZN9rocsparseL18bsrxmvn_4x4_kernelILj128ELj4E21rocsparse_complex_numIdEiidS2_S2_EEvT3_20rocsparse_direction_NS_24const_host_device_scalarIT1_EES3_PKS3_PKT2_SC_S9_PKT4_PKT5_S7_PT6_21rocsparse_index_base_b
; %bb.0:
	s_load_dwordx2 s[2:3], s[6:7], 0x68
	s_load_dwordx4 s[12:15], s[6:7], 0x8
	s_load_dwordx2 s[20:21], s[4:5], 0x4
	s_load_dwordx4 s[16:19], s[6:7], 0x50
	s_mov_b64 s[10:11], src_shared_base
	v_bfe_u32 v2, v0, 10, 10
	s_waitcnt lgkmcnt(0)
	s_bitcmp1_b32 s3, 0
	s_cselect_b64 s[0:1], -1, 0
	s_and_b64 vcc, s[0:1], exec
	s_cselect_b32 s3, s11, s13
	s_lshr_b32 s4, s20, 16
	v_and_b32_e32 v1, 0x3ff, v0
	s_mul_i32 s4, s4, s21
	v_mul_u32_u24_e32 v2, s21, v2
	v_mad_u32_u24 v2, s4, v1, v2
	v_bfe_u32 v0, v0, 20, 10
	v_add_lshl_u32 v0, v2, v0, 3
	v_mov_b32_e32 v6, s12
	v_add_u32_e32 v7, 0x400, v0
	v_pk_mov_b32 v[2:3], s[12:13], s[12:13] op_sel:[0,1]
	v_pk_mov_b32 v[4:5], s[16:17], s[16:17] op_sel:[0,1]
	ds_write2st64_b64 v0, v[4:5], v[2:3] offset1:2
	v_cndmask_b32_e64 v2, v6, v7, s[0:1]
	v_mov_b32_e32 v3, s3
	flat_load_dwordx2 v[66:67], v[2:3]
	s_xor_b64 s[4:5], s[0:1], -1
	v_pk_mov_b32 v[68:69], s[14:15], s[14:15] op_sel:[0,1]
	s_cbranch_vccnz .LBB135_2
; %bb.1:
	v_pk_mov_b32 v[2:3], s[12:13], s[12:13] op_sel:[0,1]
	flat_load_dwordx2 v[68:69], v[2:3] offset:8
.LBB135_2:
	s_and_b64 s[12:13], s[0:1], exec
	s_cselect_b32 s3, s11, s17
	v_mov_b32_e32 v2, s16
	v_cndmask_b32_e64 v2, v2, v0, s[0:1]
	v_mov_b32_e32 v3, s3
	flat_load_dwordx2 v[62:63], v[2:3]
	s_andn2_b64 vcc, exec, s[4:5]
	v_pk_mov_b32 v[64:65], s[18:19], s[18:19] op_sel:[0,1]
	s_cbranch_vccnz .LBB135_4
; %bb.3:
	v_pk_mov_b32 v[2:3], s[16:17], s[16:17] op_sel:[0,1]
	flat_load_dwordx2 v[64:65], v[2:3] offset:8
.LBB135_4:
	s_waitcnt vmcnt(0) lgkmcnt(0)
	v_cmp_eq_f64_e32 vcc, 0, v[66:67]
	v_cmp_eq_f64_e64 s[0:1], 0, v[68:69]
	s_and_b64 s[10:11], vcc, s[0:1]
	s_mov_b64 s[0:1], -1
	s_and_saveexec_b64 s[4:5], s[10:11]
; %bb.5:
	v_cmp_neq_f64_e32 vcc, 1.0, v[62:63]
	v_cmp_neq_f64_e64 s[0:1], 0, v[64:65]
	s_or_b64 s[0:1], vcc, s[0:1]
	s_orn2_b64 s[0:1], s[0:1], exec
; %bb.6:
	s_or_b64 exec, exec, s[4:5]
	s_and_saveexec_b64 s[4:5], s[0:1]
	s_cbranch_execz .LBB135_12
; %bb.7:
	s_load_dwordx2 s[10:11], s[6:7], 0x20
	s_load_dwordx2 s[0:1], s[6:7], 0x0
	v_lshrrev_b32_e32 v0, 2, v1
	v_lshl_or_b32 v70, s8, 5, v0
	s_mov_b64 s[4:5], 0
	s_waitcnt lgkmcnt(0)
	s_cmp_lg_u64 s[10:11], 0
	s_cbranch_scc0 .LBB135_13
; %bb.8:
	s_load_dword s3, s[6:7], 0x18
                                        ; implicit-def: $vgpr0
	s_waitcnt lgkmcnt(0)
	v_cmp_gt_i32_e32 vcc, s3, v70
	s_and_saveexec_b64 s[8:9], vcc
	s_xor_b64 s[8:9], exec, s[8:9]
	s_cbranch_execz .LBB135_10
; %bb.9:
	v_ashrrev_i32_e32 v71, 31, v70
	v_lshlrev_b64 v[2:3], 2, v[70:71]
	v_mov_b32_e32 v0, s11
	v_add_co_u32_e32 v2, vcc, s10, v2
	v_addc_co_u32_e32 v3, vcc, v0, v3, vcc
	global_load_dword v0, v[2:3], off
	s_mov_b64 s[4:5], exec
	s_waitcnt vmcnt(0)
	v_subrev_u32_e32 v0, s2, v0
.LBB135_10:
	s_or_b64 exec, exec, s[8:9]
	s_branch .LBB135_14
.LBB135_11:
	v_cmp_gt_i32_e32 vcc, s0, v70
	s_andn2_b64 s[4:5], s[4:5], exec
	s_and_b64 s[8:9], vcc, exec
	s_or_b64 s[4:5], s[4:5], s[8:9]
	s_and_b64 exec, exec, s[4:5]
	s_cbranch_execnz .LBB135_15
.LBB135_12:
	s_endpgm
.LBB135_13:
                                        ; implicit-def: $vgpr0
	s_cbranch_execnz .LBB135_11
.LBB135_14:
	v_mov_b32_e32 v70, v0
	s_and_b64 exec, exec, s[4:5]
	s_cbranch_execz .LBB135_12
.LBB135_15:
	s_load_dwordx8 s[8:15], s[6:7], 0x28
	v_ashrrev_i32_e32 v71, 31, v70
	v_lshlrev_b64 v[2:3], 2, v[70:71]
	v_and_b32_e32 v71, 3, v1
	s_load_dwordx2 s[4:5], s[6:7], 0x48
	s_waitcnt lgkmcnt(0)
	v_mov_b32_e32 v0, s9
	v_add_co_u32_e32 v4, vcc, s8, v2
	v_addc_co_u32_e32 v5, vcc, v0, v3, vcc
	v_add_co_u32_e32 v0, vcc, 4, v4
	global_load_dword v99, v[4:5], off
	v_addc_co_u32_e32 v4, vcc, 0, v5, vcc
	v_mov_b32_e32 v5, s11
	v_add_co_u32_e32 v2, vcc, s10, v2
	s_cmp_eq_u64 s[10:11], 0
	v_addc_co_u32_e32 v3, vcc, v5, v3, vcc
	s_cselect_b64 vcc, -1, 0
	v_cndmask_b32_e32 v3, v3, v4, vcc
	v_cndmask_b32_e32 v2, v2, v0, vcc
	global_load_dword v0, v[2:3], off
	v_mov_b32_e32 v2, s15
	s_cmp_eq_u32 s1, 1
	s_waitcnt vmcnt(1)
	v_subrev_u32_e32 v1, s2, v99
	v_add_u32_e32 v76, v1, v71
	v_ashrrev_i32_e32 v77, 31, v76
	s_waitcnt vmcnt(0)
	v_subrev_u32_e32 v98, s2, v0
	v_lshlrev_b64 v[0:1], 7, v[76:77]
	v_add_co_u32_e32 v78, vcc, s14, v0
	v_addc_co_u32_e32 v79, vcc, v2, v1, vcc
	v_cmp_lt_i32_e64 s[0:1], v76, v98
	s_cbranch_scc1 .LBB135_27
; %bb.16:
	v_pk_mov_b32 v[80:81], 0, 0
	s_mov_b64 s[8:9], 0
	v_pk_mov_b32 v[90:91], v[80:81], v[80:81] op_sel:[0,1]
	v_pk_mov_b32 v[84:85], v[80:81], v[80:81] op_sel:[0,1]
	;; [unrolled: 1-line block ×7, first 2 shown]
	s_and_saveexec_b64 s[10:11], s[0:1]
	s_cbranch_execz .LBB135_26
; %bb.17:
	v_add_u32_e32 v0, v99, v71
	v_subrev_u32_e32 v0, s2, v0
	v_add_u32_e32 v0, 4, v0
	v_max_i32_e32 v0, v0, v98
	v_not_b32_e32 v1, v99
	v_add3_u32 v0, v0, s2, v1
	v_sub_u32_e32 v0, v0, v71
	v_lshrrev_b32_e32 v1, 2, v0
	v_add_u32_e32 v1, 1, v1
	v_and_b32_e32 v1, 3, v1
	v_pk_mov_b32 v[72:73], 0, 0
	v_cmp_ne_u32_e32 vcc, 0, v1
	v_pk_mov_b32 v[74:75], v[72:73], v[72:73] op_sel:[0,1]
	v_pk_mov_b32 v[86:87], v[72:73], v[72:73] op_sel:[0,1]
	;; [unrolled: 1-line block ×8, first 2 shown]
	v_mov_b32_e32 v92, v76
	s_and_saveexec_b64 s[14:15], vcc
	s_cbranch_execz .LBB135_21
; %bb.18:
	v_pk_mov_b32 v[80:81], 0, 0
	v_lshlrev_b32_e32 v1, 7, v1
	s_mov_b64 s[16:17], 0
	v_mov_b32_e32 v2, s13
	v_mov_b32_e32 v3, s5
	;; [unrolled: 1-line block ×3, first 2 shown]
	v_pk_mov_b32 v[94:95], v[78:79], v[78:79] op_sel:[0,1]
	v_pk_mov_b32 v[90:91], v[80:81], v[80:81] op_sel:[0,1]
	;; [unrolled: 1-line block ×8, first 2 shown]
.LBB135_19:                             ; =>This Inner Loop Header: Depth=1
	v_ashrrev_i32_e32 v93, 31, v92
	v_lshlrev_b64 v[4:5], 2, v[92:93]
	v_add_co_u32_e32 v36, vcc, s12, v4
	v_addc_co_u32_e32 v37, vcc, v2, v5, vcc
	global_load_dword v38, v[36:37], off
	global_load_dwordx4 v[4:7], v[94:95], off offset:48
	global_load_dwordx4 v[8:11], v[94:95], off offset:32
	;; [unrolled: 1-line block ×3, first 2 shown]
	global_load_dwordx4 v[16:19], v[94:95], off
	global_load_dwordx4 v[20:23], v[94:95], off offset:112
	global_load_dwordx4 v[24:27], v[94:95], off offset:96
	;; [unrolled: 1-line block ×4, first 2 shown]
	v_add_u32_e32 v1, 0xffffff80, v1
	v_add_u32_e32 v92, 4, v92
	s_waitcnt vmcnt(8)
	v_subrev_u32_e32 v36, s2, v38
	v_lshlrev_b32_e32 v36, 2, v36
	v_ashrrev_i32_e32 v37, 31, v36
	v_lshlrev_b64 v[36:37], 4, v[36:37]
	v_add_co_u32_e32 v52, vcc, s4, v36
	v_addc_co_u32_e32 v53, vcc, v3, v37, vcc
	global_load_dwordx4 v[36:39], v[52:53], off
	global_load_dwordx4 v[40:43], v[52:53], off offset:16
	global_load_dwordx4 v[44:47], v[52:53], off offset:32
	global_load_dwordx4 v[48:51], v[52:53], off offset:48
	v_add_co_u32_e32 v94, vcc, 0x200, v94
	v_addc_co_u32_e32 v95, vcc, 0, v95, vcc
	v_cmp_eq_u32_e32 vcc, 0, v1
	s_or_b64 s[16:17], vcc, s[16:17]
	s_waitcnt vmcnt(3)
	v_fmac_f64_e32 v[90:91], v[16:17], v[36:37]
	v_fmac_f64_e32 v[80:81], 0, v[36:37]
	v_fmac_f64_e32 v[88:89], v[8:9], v[36:37]
	v_fmac_f64_e32 v[84:85], 0, v[36:37]
	v_fmac_f64_e32 v[86:87], v[28:29], v[36:37]
	v_fmac_f64_e32 v[82:83], 0, v[36:37]
	v_fmac_f64_e32 v[72:73], v[24:25], v[36:37]
	v_fmac_f64_e32 v[74:75], 0, v[36:37]
	v_fmac_f64_e32 v[90:91], 0x80000000, v[38:39]
	v_fmac_f64_e32 v[80:81], v[16:17], v[38:39]
	v_fmac_f64_e32 v[88:89], 0x80000000, v[38:39]
	v_fmac_f64_e32 v[84:85], v[8:9], v[38:39]
	v_fmac_f64_e32 v[86:87], 0x80000000, v[38:39]
	v_fmac_f64_e32 v[82:83], v[28:29], v[38:39]
	v_fmac_f64_e32 v[72:73], 0x80000000, v[38:39]
	v_fmac_f64_e32 v[74:75], v[24:25], v[38:39]
	s_waitcnt vmcnt(2)
	v_fmac_f64_e32 v[90:91], v[18:19], v[40:41]
	v_fmac_f64_e32 v[80:81], 0, v[40:41]
	v_fmac_f64_e32 v[88:89], v[10:11], v[40:41]
	v_fmac_f64_e32 v[84:85], 0, v[40:41]
	v_fmac_f64_e32 v[86:87], v[30:31], v[40:41]
	v_fmac_f64_e32 v[82:83], 0, v[40:41]
	v_fmac_f64_e32 v[72:73], v[26:27], v[40:41]
	v_fmac_f64_e32 v[74:75], 0, v[40:41]
	v_fmac_f64_e32 v[80:81], v[18:19], v[42:43]
	v_fmac_f64_e32 v[84:85], v[10:11], v[42:43]
	v_fmac_f64_e32 v[90:91], 0x80000000, v[42:43]
	v_fmac_f64_e32 v[88:89], 0x80000000, v[42:43]
	v_fmac_f64_e32 v[86:87], 0x80000000, v[42:43]
	v_fmac_f64_e32 v[82:83], v[30:31], v[42:43]
	v_fmac_f64_e32 v[72:73], 0x80000000, v[42:43]
	v_fmac_f64_e32 v[74:75], v[26:27], v[42:43]
	;; [unrolled: 17-line block ×4, first 2 shown]
	s_andn2_b64 exec, exec, s[16:17]
	s_cbranch_execnz .LBB135_19
; %bb.20:
	s_or_b64 exec, exec, s[16:17]
.LBB135_21:
	s_or_b64 exec, exec, s[14:15]
	v_cmp_lt_u32_e32 vcc, 11, v0
	s_and_saveexec_b64 s[14:15], vcc
	s_cbranch_execz .LBB135_25
; %bb.22:
	s_mov_b64 s[16:17], 0
	v_mov_b32_e32 v77, s13
	v_mov_b32_e32 v100, s5
.LBB135_23:                             ; =>This Inner Loop Header: Depth=1
	v_ashrrev_i32_e32 v93, 31, v92
	v_lshlrev_b64 v[20:21], 2, v[92:93]
	v_add_co_u32_e32 v96, vcc, s12, v20
	v_addc_co_u32_e32 v97, vcc, v77, v21, vcc
	global_load_dwordx4 v[0:3], v[94:95], off offset:48
	global_load_dwordx4 v[8:11], v[94:95], off offset:32
	global_load_dwordx4 v[4:7], v[94:95], off offset:16
	global_load_dwordx4 v[52:55], v[94:95], off
	global_load_dwordx4 v[16:19], v[94:95], off offset:112
	global_load_dwordx4 v[38:41], v[94:95], off offset:96
	;; [unrolled: 1-line block ×9, first 2 shown]
	global_load_dword v20, v[96:97], off
	global_load_dwordx4 v[102:105], v[94:95], off offset:608
	global_load_dwordx4 v[106:109], v[94:95], off offset:592
	v_add_u32_e32 v92, 16, v92
	s_waitcnt vmcnt(2)
	v_subrev_u32_e32 v20, s2, v20
	v_lshlrev_b32_e32 v20, 2, v20
	v_ashrrev_i32_e32 v21, 31, v20
	v_lshlrev_b64 v[20:21], 4, v[20:21]
	v_add_co_u32_e32 v20, vcc, s4, v20
	v_addc_co_u32_e32 v21, vcc, v100, v21, vcc
	global_load_dwordx4 v[56:59], v[20:21], off
	s_waitcnt vmcnt(0)
	v_fmac_f64_e32 v[80:81], 0, v[56:57]
	v_fmac_f64_e32 v[90:91], v[52:53], v[56:57]
	;; [unrolled: 1-line block ×3, first 2 shown]
	global_load_dwordx4 v[50:53], v[20:21], off offset:16
	v_fmac_f64_e32 v[82:83], 0, v[56:57]
	v_fmac_f64_e32 v[86:87], v[42:43], v[56:57]
	;; [unrolled: 1-line block ×13, first 2 shown]
	s_waitcnt vmcnt(0)
	v_fmac_f64_e32 v[82:83], 0, v[50:51]
	v_fmac_f64_e32 v[86:87], v[44:45], v[50:51]
	;; [unrolled: 1-line block ×3, first 2 shown]
	global_load_dwordx4 v[42:45], v[20:21], off offset:32
	v_fmac_f64_e32 v[80:81], 0, v[50:51]
	v_fmac_f64_e32 v[90:91], v[54:55], v[50:51]
	;; [unrolled: 1-line block ×9, first 2 shown]
	global_load_dwordx4 v[8:11], v[94:95], off offset:576
	v_fmac_f64_e32 v[74:75], v[40:41], v[52:53]
	global_load_dwordx4 v[38:41], v[94:95], off offset:1072
	v_fmac_f64_e32 v[88:89], 0x80000000, v[52:53]
	v_fmac_f64_e32 v[86:87], 0x80000000, v[52:53]
	;; [unrolled: 1-line block ×3, first 2 shown]
	global_load_dwordx4 v[50:53], v[94:95], off offset:1056
	global_load_dwordx4 v[58:61], v[20:21], off offset:48
	;; [unrolled: 1-line block ×3, first 2 shown]
	s_waitcnt vmcnt(5)
	v_fmac_f64_e32 v[80:81], 0, v[42:43]
	v_fmac_f64_e32 v[90:91], v[4:5], v[42:43]
	;; [unrolled: 1-line block ×3, first 2 shown]
	global_load_dword v4, v[96:97], off offset:16
	v_fmac_f64_e32 v[82:83], 0, v[42:43]
	v_fmac_f64_e32 v[86:87], v[26:27], v[42:43]
	;; [unrolled: 1-line block ×12, first 2 shown]
	s_waitcnt vmcnt(2)
	v_fmac_f64_e32 v[80:81], 0, v[58:59]
	v_fmac_f64_e32 v[90:91], v[6:7], v[58:59]
	;; [unrolled: 1-line block ×17, first 2 shown]
	global_load_dwordx4 v[42:45], v[94:95], off offset:1040
	global_load_dwordx4 v[0:3], v[94:95], off offset:1136
	;; [unrolled: 1-line block ×4, first 2 shown]
	s_waitcnt vmcnt(4)
	v_subrev_u32_e32 v4, s2, v4
	v_lshlrev_b32_e32 v4, 2, v4
	v_ashrrev_i32_e32 v5, 31, v4
	v_lshlrev_b64 v[4:5], 4, v[4:5]
	v_add_co_u32_e32 v26, vcc, s4, v4
	v_addc_co_u32_e32 v27, vcc, v100, v5, vcc
	global_load_dwordx4 v[4:7], v[26:27], off
	s_waitcnt vmcnt(0)
	v_fmac_f64_e32 v[90:91], v[34:35], v[4:5]
	v_fmac_f64_e32 v[80:81], 0, v[4:5]
	;; [unrolled: 1-line block ×16, first 2 shown]
	global_load_dwordx4 v[6:9], v[26:27], off offset:16
	s_waitcnt vmcnt(0)
	v_fmac_f64_e32 v[90:91], v[36:37], v[6:7]
	v_fmac_f64_e32 v[80:81], 0, v[6:7]
	;; [unrolled: 1-line block ×16, first 2 shown]
	global_load_dwordx4 v[8:11], v[26:27], off offset:32
	global_load_dwordx4 v[34:37], v[94:95], off offset:1120
	;; [unrolled: 1-line block ×3, first 2 shown]
	s_waitcnt vmcnt(2)
	v_fmac_f64_e32 v[80:81], 0, v[8:9]
	v_fmac_f64_e32 v[90:91], v[22:23], v[8:9]
	;; [unrolled: 1-line block ×3, first 2 shown]
	global_load_dwordx4 v[20:23], v[94:95], off offset:1568
	global_load_dwordx4 v[28:31], v[26:27], off offset:48
	v_fmac_f64_e32 v[88:89], v[12:13], v[8:9]
	v_fmac_f64_e32 v[84:85], 0, v[8:9]
	;; [unrolled: 1-line block ×13, first 2 shown]
	global_load_dwordx4 v[8:11], v[94:95], off offset:1552
	s_waitcnt vmcnt(1)
	v_fmac_f64_e32 v[90:91], v[24:25], v[28:29]
	v_fmac_f64_e32 v[80:81], 0, v[28:29]
	;; [unrolled: 1-line block ×8, first 2 shown]
	global_load_dword v28, v[96:97], off offset:32
	v_fmac_f64_e32 v[80:81], v[24:25], v[30:31]
	global_load_dwordx4 v[24:27], v[94:95], off offset:1536
	v_fmac_f64_e32 v[84:85], v[14:15], v[30:31]
	v_fmac_f64_e32 v[82:83], v[108:109], v[30:31]
	;; [unrolled: 1-line block ×7, first 2 shown]
	global_load_dwordx4 v[12:15], v[94:95], off offset:1648
	s_waitcnt vmcnt(2)
	v_subrev_u32_e32 v28, s2, v28
	v_lshlrev_b32_e32 v28, 2, v28
	v_ashrrev_i32_e32 v29, 31, v28
	v_lshlrev_b64 v[28:29], 4, v[28:29]
	v_add_co_u32_e32 v106, vcc, s4, v28
	v_addc_co_u32_e32 v107, vcc, v100, v29, vcc
	global_load_dwordx4 v[28:31], v[106:107], off
	global_load_dwordx4 v[102:105], v[106:107], off offset:16
	s_waitcnt vmcnt(1)
	v_fmac_f64_e32 v[90:91], v[54:55], v[28:29]
	v_fmac_f64_e32 v[80:81], 0, v[28:29]
	;; [unrolled: 1-line block ×16, first 2 shown]
	global_load_dwordx4 v[32:35], v[94:95], off offset:1632
	global_load_dwordx4 v[28:31], v[94:95], off offset:1616
	;; [unrolled: 1-line block ×3, first 2 shown]
	global_load_dword v50, v[96:97], off offset:48
	s_waitcnt vmcnt(4)
	v_fmac_f64_e32 v[80:81], 0, v[102:103]
	v_fmac_f64_e32 v[82:83], 0, v[102:103]
	;; [unrolled: 1-line block ×6, first 2 shown]
	global_load_dwordx4 v[54:57], v[106:107], off offset:32
	global_load_dwordx4 v[58:61], v[106:107], off offset:48
	v_fmac_f64_e32 v[88:89], v[52:53], v[102:103]
	v_fmac_f64_e32 v[84:85], 0, v[102:103]
	;; [unrolled: 1-line block ×10, first 2 shown]
	s_waitcnt vmcnt(2)
	v_subrev_u32_e32 v50, s2, v50
	v_lshlrev_b32_e32 v50, 2, v50
	v_ashrrev_i32_e32 v51, 31, v50
	v_lshlrev_b64 v[50:51], 4, v[50:51]
	v_add_co_u32_e32 v96, vcc, s4, v50
	v_addc_co_u32_e32 v97, vcc, v100, v51, vcc
	global_load_dwordx4 v[50:53], v[96:97], off
	s_waitcnt vmcnt(2)
	v_fmac_f64_e32 v[90:91], v[42:43], v[54:55]
	v_fmac_f64_e32 v[80:81], 0, v[54:55]
	;; [unrolled: 1-line block ×16, first 2 shown]
	global_load_dwordx4 v[54:57], v[96:97], off offset:16
	s_waitcnt vmcnt(2)
	v_fmac_f64_e32 v[80:81], 0, v[58:59]
	v_fmac_f64_e32 v[90:91], v[44:45], v[58:59]
	;; [unrolled: 1-line block ×3, first 2 shown]
	global_load_dwordx4 v[42:45], v[96:97], off offset:32
	global_load_dwordx4 v[36:39], v[96:97], off offset:48
	v_fmac_f64_e32 v[88:89], v[40:41], v[58:59]
	v_fmac_f64_e32 v[84:85], 0, v[58:59]
	;; [unrolled: 1-line block ×13, first 2 shown]
	v_add_co_u32_e32 v94, vcc, 0x800, v94
	v_addc_co_u32_e32 v95, vcc, 0, v95, vcc
	v_cmp_ge_i32_e32 vcc, v92, v98
	s_or_b64 s[16:17], vcc, s[16:17]
	s_waitcnt vmcnt(3)
	v_fmac_f64_e32 v[90:91], v[24:25], v[50:51]
	v_fmac_f64_e32 v[80:81], 0, v[50:51]
	v_fmac_f64_e32 v[88:89], v[20:21], v[50:51]
	v_fmac_f64_e32 v[84:85], 0, v[50:51]
	v_fmac_f64_e32 v[86:87], v[46:47], v[50:51]
	v_fmac_f64_e32 v[82:83], 0, v[50:51]
	v_fmac_f64_e32 v[72:73], v[32:33], v[50:51]
	v_fmac_f64_e32 v[74:75], 0, v[50:51]
	v_fmac_f64_e32 v[90:91], 0x80000000, v[52:53]
	v_fmac_f64_e32 v[80:81], v[24:25], v[52:53]
	v_fmac_f64_e32 v[88:89], 0x80000000, v[52:53]
	v_fmac_f64_e32 v[84:85], v[20:21], v[52:53]
	v_fmac_f64_e32 v[86:87], 0x80000000, v[52:53]
	v_fmac_f64_e32 v[82:83], v[46:47], v[52:53]
	v_fmac_f64_e32 v[72:73], 0x80000000, v[52:53]
	v_fmac_f64_e32 v[74:75], v[32:33], v[52:53]
	s_waitcnt vmcnt(2)
	v_fmac_f64_e32 v[90:91], v[26:27], v[54:55]
	v_fmac_f64_e32 v[80:81], 0, v[54:55]
	v_fmac_f64_e32 v[88:89], v[22:23], v[54:55]
	v_fmac_f64_e32 v[84:85], 0, v[54:55]
	v_fmac_f64_e32 v[86:87], v[48:49], v[54:55]
	v_fmac_f64_e32 v[82:83], 0, v[54:55]
	v_fmac_f64_e32 v[72:73], v[34:35], v[54:55]
	v_fmac_f64_e32 v[74:75], 0, v[54:55]
	v_fmac_f64_e32 v[90:91], 0x80000000, v[56:57]
	v_fmac_f64_e32 v[80:81], v[26:27], v[56:57]
	v_fmac_f64_e32 v[88:89], 0x80000000, v[56:57]
	v_fmac_f64_e32 v[84:85], v[22:23], v[56:57]
	v_fmac_f64_e32 v[86:87], 0x80000000, v[56:57]
	v_fmac_f64_e32 v[82:83], v[48:49], v[56:57]
	v_fmac_f64_e32 v[72:73], 0x80000000, v[56:57]
	v_fmac_f64_e32 v[74:75], v[34:35], v[56:57]
	;; [unrolled: 17-line block ×4, first 2 shown]
	s_andn2_b64 exec, exec, s[16:17]
	s_cbranch_execnz .LBB135_23
; %bb.24:
	s_or_b64 exec, exec, s[16:17]
.LBB135_25:
	s_or_b64 exec, exec, s[14:15]
.LBB135_26:
	s_or_b64 exec, exec, s[10:11]
	s_andn2_b64 vcc, exec, s[8:9]
	s_cbranch_vccz .LBB135_28
	s_branch .LBB135_39
.LBB135_27:
                                        ; implicit-def: $vgpr80_vgpr81
                                        ; implicit-def: $vgpr90_vgpr91
                                        ; implicit-def: $vgpr84_vgpr85
                                        ; implicit-def: $vgpr88_vgpr89
                                        ; implicit-def: $vgpr82_vgpr83
                                        ; implicit-def: $vgpr86_vgpr87
                                        ; implicit-def: $vgpr74_vgpr75
                                        ; implicit-def: $vgpr72_vgpr73
.LBB135_28:
	v_pk_mov_b32 v[80:81], 0, 0
	v_pk_mov_b32 v[90:91], v[80:81], v[80:81] op_sel:[0,1]
	v_pk_mov_b32 v[84:85], v[80:81], v[80:81] op_sel:[0,1]
	;; [unrolled: 1-line block ×7, first 2 shown]
	s_and_saveexec_b64 s[8:9], s[0:1]
	s_cbranch_execz .LBB135_38
; %bb.29:
	v_add_u32_e32 v0, v99, v71
	v_subrev_u32_e32 v0, s2, v0
	v_add_u32_e32 v0, 4, v0
	v_max_i32_e32 v0, v0, v98
	v_not_b32_e32 v1, v99
	v_add3_u32 v0, v0, s2, v1
	v_sub_u32_e32 v0, v0, v71
	v_lshrrev_b32_e32 v1, 2, v0
	v_add_u32_e32 v1, 1, v1
	v_and_b32_e32 v1, 3, v1
	v_pk_mov_b32 v[72:73], 0, 0
	v_cmp_ne_u32_e32 vcc, 0, v1
	v_pk_mov_b32 v[74:75], v[72:73], v[72:73] op_sel:[0,1]
	v_pk_mov_b32 v[86:87], v[72:73], v[72:73] op_sel:[0,1]
	;; [unrolled: 1-line block ×7, first 2 shown]
	s_and_saveexec_b64 s[0:1], vcc
	s_cbranch_execz .LBB135_33
; %bb.30:
	v_pk_mov_b32 v[80:81], 0, 0
	v_lshlrev_b32_e32 v1, 7, v1
	s_mov_b64 s[10:11], 0
	v_mov_b32_e32 v2, s13
	v_mov_b32_e32 v3, s5
	v_pk_mov_b32 v[90:91], v[80:81], v[80:81] op_sel:[0,1]
	v_pk_mov_b32 v[84:85], v[80:81], v[80:81] op_sel:[0,1]
	;; [unrolled: 1-line block ×7, first 2 shown]
.LBB135_31:                             ; =>This Inner Loop Header: Depth=1
	v_ashrrev_i32_e32 v77, 31, v76
	v_lshlrev_b64 v[4:5], 2, v[76:77]
	v_add_co_u32_e32 v36, vcc, s12, v4
	v_addc_co_u32_e32 v37, vcc, v2, v5, vcc
	global_load_dword v38, v[36:37], off
	global_load_dwordx4 v[4:7], v[78:79], off offset:48
	global_load_dwordx4 v[8:11], v[78:79], off offset:32
	;; [unrolled: 1-line block ×3, first 2 shown]
	global_load_dwordx4 v[16:19], v[78:79], off
	global_load_dwordx4 v[20:23], v[78:79], off offset:80
	global_load_dwordx4 v[24:27], v[78:79], off offset:64
	;; [unrolled: 1-line block ×4, first 2 shown]
	v_add_u32_e32 v1, 0xffffff80, v1
	v_add_u32_e32 v76, 4, v76
	s_waitcnt vmcnt(8)
	v_subrev_u32_e32 v36, s2, v38
	v_lshlrev_b32_e32 v36, 2, v36
	v_ashrrev_i32_e32 v37, 31, v36
	v_lshlrev_b64 v[36:37], 4, v[36:37]
	v_add_co_u32_e32 v52, vcc, s4, v36
	v_addc_co_u32_e32 v53, vcc, v3, v37, vcc
	global_load_dwordx4 v[36:39], v[52:53], off
	global_load_dwordx4 v[40:43], v[52:53], off offset:16
	global_load_dwordx4 v[44:47], v[52:53], off offset:32
	;; [unrolled: 1-line block ×3, first 2 shown]
	v_add_co_u32_e32 v78, vcc, 0x200, v78
	v_addc_co_u32_e32 v79, vcc, 0, v79, vcc
	v_cmp_eq_u32_e32 vcc, 0, v1
	s_or_b64 s[10:11], vcc, s[10:11]
	s_waitcnt vmcnt(3)
	v_fmac_f64_e32 v[90:91], v[16:17], v[36:37]
	v_fmac_f64_e32 v[80:81], 0, v[36:37]
	v_fmac_f64_e32 v[88:89], v[18:19], v[36:37]
	v_fmac_f64_e32 v[84:85], 0, v[36:37]
	v_fmac_f64_e32 v[86:87], v[12:13], v[36:37]
	v_fmac_f64_e32 v[82:83], 0, v[36:37]
	v_fmac_f64_e32 v[72:73], v[14:15], v[36:37]
	v_fmac_f64_e32 v[74:75], 0, v[36:37]
	v_fmac_f64_e32 v[80:81], v[16:17], v[38:39]
	v_fmac_f64_e32 v[84:85], v[18:19], v[38:39]
	v_fmac_f64_e32 v[90:91], 0x80000000, v[38:39]
	v_fmac_f64_e32 v[88:89], 0x80000000, v[38:39]
	v_fmac_f64_e32 v[86:87], 0x80000000, v[38:39]
	v_fmac_f64_e32 v[82:83], v[12:13], v[38:39]
	v_fmac_f64_e32 v[72:73], 0x80000000, v[38:39]
	v_fmac_f64_e32 v[74:75], v[14:15], v[38:39]
	s_waitcnt vmcnt(2)
	v_fmac_f64_e32 v[90:91], v[8:9], v[40:41]
	v_fmac_f64_e32 v[80:81], 0, v[40:41]
	v_fmac_f64_e32 v[88:89], v[10:11], v[40:41]
	v_fmac_f64_e32 v[84:85], 0, v[40:41]
	v_fmac_f64_e32 v[86:87], v[4:5], v[40:41]
	v_fmac_f64_e32 v[82:83], 0, v[40:41]
	v_fmac_f64_e32 v[72:73], v[6:7], v[40:41]
	v_fmac_f64_e32 v[74:75], 0, v[40:41]
	v_fmac_f64_e32 v[90:91], 0x80000000, v[42:43]
	v_fmac_f64_e32 v[80:81], v[8:9], v[42:43]
	v_fmac_f64_e32 v[88:89], 0x80000000, v[42:43]
	v_fmac_f64_e32 v[84:85], v[10:11], v[42:43]
	v_fmac_f64_e32 v[86:87], 0x80000000, v[42:43]
	v_fmac_f64_e32 v[82:83], v[4:5], v[42:43]
	v_fmac_f64_e32 v[72:73], 0x80000000, v[42:43]
	v_fmac_f64_e32 v[74:75], v[6:7], v[42:43]
	;; [unrolled: 17-line block ×4, first 2 shown]
	s_andn2_b64 exec, exec, s[10:11]
	s_cbranch_execnz .LBB135_31
; %bb.32:
	s_or_b64 exec, exec, s[10:11]
.LBB135_33:
	s_or_b64 exec, exec, s[0:1]
	v_cmp_lt_u32_e32 vcc, 11, v0
	s_and_saveexec_b64 s[0:1], vcc
	s_cbranch_execz .LBB135_37
; %bb.34:
	s_mov_b64 s[10:11], 0
	v_mov_b32_e32 v56, s13
	v_mov_b32_e32 v57, s5
.LBB135_35:                             ; =>This Inner Loop Header: Depth=1
	v_ashrrev_i32_e32 v77, 31, v76
	v_lshlrev_b64 v[40:41], 2, v[76:77]
	v_add_co_u32_e32 v40, vcc, s12, v40
	v_addc_co_u32_e32 v41, vcc, v56, v41, vcc
	global_load_dwordx4 v[0:3], v[78:79], off offset:48
	global_load_dwordx4 v[4:7], v[78:79], off offset:32
	;; [unrolled: 1-line block ×3, first 2 shown]
	global_load_dwordx4 v[44:47], v[78:79], off
	global_load_dwordx4 v[12:15], v[78:79], off offset:112
	global_load_dwordx4 v[16:19], v[78:79], off offset:96
	;; [unrolled: 1-line block ×7, first 2 shown]
	global_load_dword v42, v[40:41], off
	global_load_dword v50, v[40:41], off offset:16
	global_load_dword v52, v[40:41], off offset:32
	;; [unrolled: 1-line block ×3, first 2 shown]
	global_load_dwordx4 v[58:61], v[78:79], off offset:512
	global_load_dwordx4 v[92:95], v[78:79], off offset:576
	v_add_u32_e32 v76, 16, v76
	s_waitcnt vmcnt(5)
	v_subrev_u32_e32 v40, s2, v42
	v_lshlrev_b32_e32 v40, 2, v40
	v_ashrrev_i32_e32 v41, 31, v40
	v_lshlrev_b64 v[40:41], 4, v[40:41]
	v_add_co_u32_e32 v48, vcc, s4, v40
	v_addc_co_u32_e32 v49, vcc, v57, v41, vcc
	global_load_dwordx4 v[40:43], v[48:49], off
	s_waitcnt vmcnt(0)
	v_fmac_f64_e32 v[90:91], v[44:45], v[40:41]
	v_fmac_f64_e32 v[80:81], 0, v[40:41]
	;; [unrolled: 1-line block ×16, first 2 shown]
	global_load_dwordx4 v[40:43], v[48:49], off offset:16
	global_load_dwordx4 v[8:11], v[78:79], off offset:624
	;; [unrolled: 1-line block ×3, first 2 shown]
	s_waitcnt vmcnt(2)
	v_fmac_f64_e32 v[90:91], v[4:5], v[40:41]
	v_fmac_f64_e32 v[80:81], 0, v[40:41]
	;; [unrolled: 1-line block ×16, first 2 shown]
	global_load_dwordx4 v[40:43], v[48:49], off offset:32
	global_load_dwordx4 v[4:7], v[78:79], off offset:608
	;; [unrolled: 1-line block ×3, first 2 shown]
	s_waitcnt vmcnt(2)
	v_fmac_f64_e32 v[80:81], 0, v[40:41]
	v_fmac_f64_e32 v[90:91], v[36:37], v[40:41]
	;; [unrolled: 1-line block ×3, first 2 shown]
	v_subrev_u32_e32 v36, s2, v50
	v_lshlrev_b32_e32 v36, 2, v36
	v_ashrrev_i32_e32 v37, 31, v36
	v_lshlrev_b64 v[36:37], 4, v[36:37]
	v_fmac_f64_e32 v[84:85], 0, v[40:41]
	v_add_co_u32_e32 v96, vcc, s4, v36
	v_fmac_f64_e32 v[88:89], v[38:39], v[40:41]
	v_fmac_f64_e32 v[84:85], v[38:39], v[42:43]
	v_addc_co_u32_e32 v97, vcc, v57, v37, vcc
	global_load_dwordx4 v[36:39], v[48:49], off offset:48
	v_fmac_f64_e32 v[82:83], 0, v[40:41]
	v_fmac_f64_e32 v[74:75], 0, v[40:41]
	;; [unrolled: 1-line block ×10, first 2 shown]
	global_load_dwordx4 v[48:51], v[78:79], off offset:1040
	global_load_dwordx4 v[28:31], v[78:79], off offset:1072
	;; [unrolled: 1-line block ×3, first 2 shown]
	s_waitcnt vmcnt(3)
	v_fmac_f64_e32 v[82:83], 0, v[36:37]
	v_fmac_f64_e32 v[74:75], 0, v[36:37]
	;; [unrolled: 1-line block ×6, first 2 shown]
	global_load_dwordx4 v[12:15], v[96:97], off
	v_fmac_f64_e32 v[90:91], v[16:17], v[36:37]
	v_fmac_f64_e32 v[80:81], 0, v[36:37]
	;; [unrolled: 1-line block ×10, first 2 shown]
	global_load_dwordx4 v[16:19], v[78:79], off offset:1024
	global_load_dwordx4 v[36:39], v[78:79], off offset:1104
	s_waitcnt vmcnt(2)
	v_fmac_f64_e32 v[90:91], v[58:59], v[12:13]
	v_fmac_f64_e32 v[80:81], 0, v[12:13]
	;; [unrolled: 1-line block ×16, first 2 shown]
	global_load_dwordx4 v[12:15], v[96:97], off offset:16
	global_load_dwordx4 v[32:35], v[78:79], off offset:1136
	s_waitcnt vmcnt(1)
	v_fmac_f64_e32 v[90:91], v[24:25], v[12:13]
	v_fmac_f64_e32 v[80:81], 0, v[12:13]
	;; [unrolled: 1-line block ×16, first 2 shown]
	global_load_dwordx4 v[12:15], v[96:97], off offset:32
	global_load_dwordx4 v[20:23], v[96:97], off offset:48
	;; [unrolled: 1-line block ×3, first 2 shown]
	s_waitcnt vmcnt(2)
	v_fmac_f64_e32 v[90:91], v[92:93], v[12:13]
	v_fmac_f64_e32 v[80:81], 0, v[12:13]
	;; [unrolled: 1-line block ×8, first 2 shown]
	v_subrev_u32_e32 v12, s2, v52
	v_subrev_u32_e32 v13, s2, v53
	v_lshlrev_b32_e32 v12, 2, v12
	v_fmac_f64_e32 v[80:81], v[92:93], v[14:15]
	v_fmac_f64_e32 v[84:85], v[94:95], v[14:15]
	;; [unrolled: 1-line block ×8, first 2 shown]
	v_lshlrev_b32_e32 v14, 2, v13
	v_ashrrev_i32_e32 v13, 31, v12
	v_lshlrev_b64 v[12:13], 4, v[12:13]
	v_add_co_u32_e32 v54, vcc, s4, v12
	v_addc_co_u32_e32 v55, vcc, v57, v13, vcc
	s_waitcnt vmcnt(1)
	v_fmac_f64_e32 v[90:91], v[4:5], v[20:21]
	v_fmac_f64_e32 v[80:81], 0, v[20:21]
	;; [unrolled: 1-line block ×16, first 2 shown]
	global_load_dwordx4 v[20:23], v[54:55], off
	global_load_dwordx4 v[58:61], v[54:55], off offset:32
	v_ashrrev_i32_e32 v15, 31, v14
	v_lshlrev_b64 v[14:15], 4, v[14:15]
	v_add_co_u32_e32 v52, vcc, s4, v14
	v_addc_co_u32_e32 v53, vcc, v57, v15, vcc
	global_load_dwordx4 v[4:7], v[78:79], off offset:1568
	global_load_dwordx4 v[12:15], v[78:79], off offset:1552
	;; [unrolled: 1-line block ×4, first 2 shown]
	s_waitcnt vmcnt(5)
	v_fmac_f64_e32 v[82:83], 0, v[20:21]
	v_fmac_f64_e32 v[74:75], 0, v[20:21]
	;; [unrolled: 1-line block ×6, first 2 shown]
	global_load_dwordx4 v[48:51], v[54:55], off offset:16
	v_fmac_f64_e32 v[90:91], v[16:17], v[20:21]
	v_fmac_f64_e32 v[80:81], 0, v[20:21]
	;; [unrolled: 1-line block ×10, first 2 shown]
	global_load_dwordx4 v[20:23], v[78:79], off offset:1616
	global_load_dwordx4 v[16:19], v[78:79], off offset:1536
	s_waitcnt vmcnt(2)
	v_fmac_f64_e32 v[90:91], v[44:45], v[48:49]
	v_fmac_f64_e32 v[80:81], 0, v[48:49]
	;; [unrolled: 1-line block ×16, first 2 shown]
	global_load_dwordx4 v[48:51], v[54:55], off offset:48
	global_load_dwordx4 v[44:47], v[52:53], off
	v_fmac_f64_e32 v[80:81], 0, v[58:59]
	v_fmac_f64_e32 v[84:85], 0, v[58:59]
	v_fmac_f64_e32 v[90:91], v[40:41], v[58:59]
	v_fmac_f64_e32 v[88:89], v[42:43], v[58:59]
	v_fmac_f64_e32 v[80:81], v[40:41], v[60:61]
	v_fmac_f64_e32 v[84:85], v[42:43], v[60:61]
	global_load_dwordx4 v[40:43], v[52:53], off offset:16
	v_fmac_f64_e32 v[82:83], 0, v[58:59]
	v_fmac_f64_e32 v[74:75], 0, v[58:59]
	global_load_dwordx4 v[28:31], v[78:79], off offset:1600
	v_fmac_f64_e32 v[86:87], v[36:37], v[58:59]
	v_fmac_f64_e32 v[72:73], v[38:39], v[58:59]
	;; [unrolled: 1-line block ×8, first 2 shown]
	s_waitcnt vmcnt(3)
	v_fmac_f64_e32 v[80:81], 0, v[48:49]
	v_fmac_f64_e32 v[84:85], 0, v[48:49]
	;; [unrolled: 1-line block ×6, first 2 shown]
	global_load_dwordx4 v[36:39], v[52:53], off offset:32
	global_load_dwordx4 v[24:27], v[52:53], off offset:48
	v_fmac_f64_e32 v[82:83], 0, v[48:49]
	v_fmac_f64_e32 v[74:75], 0, v[48:49]
	;; [unrolled: 1-line block ×6, first 2 shown]
	global_load_dwordx4 v[32:35], v[78:79], off offset:1648
	v_fmac_f64_e32 v[90:91], 0x80000000, v[50:51]
	v_fmac_f64_e32 v[88:89], 0x80000000, v[50:51]
	;; [unrolled: 1-line block ×4, first 2 shown]
	s_waitcnt vmcnt(5)
	v_fmac_f64_e32 v[90:91], v[16:17], v[44:45]
	v_fmac_f64_e32 v[80:81], 0, v[44:45]
	;; [unrolled: 1-line block ×16, first 2 shown]
	s_waitcnt vmcnt(4)
	v_fmac_f64_e32 v[90:91], v[4:5], v[40:41]
	v_fmac_f64_e32 v[80:81], 0, v[40:41]
	;; [unrolled: 1-line block ×16, first 2 shown]
	v_add_co_u32_e32 v78, vcc, 0x800, v78
	v_addc_co_u32_e32 v79, vcc, 0, v79, vcc
	v_cmp_ge_i32_e32 vcc, v76, v98
	s_or_b64 s[10:11], vcc, s[10:11]
	s_waitcnt vmcnt(2)
	v_fmac_f64_e32 v[90:91], v[28:29], v[36:37]
	v_fmac_f64_e32 v[80:81], 0, v[36:37]
	;; [unrolled: 1-line block ×16, first 2 shown]
	s_waitcnt vmcnt(1)
	v_fmac_f64_e32 v[90:91], v[8:9], v[24:25]
	v_fmac_f64_e32 v[80:81], 0, v[24:25]
	;; [unrolled: 1-line block ×4, first 2 shown]
	s_waitcnt vmcnt(0)
	v_fmac_f64_e32 v[86:87], v[32:33], v[24:25]
	v_fmac_f64_e32 v[82:83], 0, v[24:25]
	;; [unrolled: 1-line block ×12, first 2 shown]
	s_andn2_b64 exec, exec, s[10:11]
	s_cbranch_execnz .LBB135_35
; %bb.36:
	s_or_b64 exec, exec, s[10:11]
.LBB135_37:
	s_or_b64 exec, exec, s[0:1]
.LBB135_38:
	s_or_b64 exec, exec, s[8:9]
.LBB135_39:
	v_mov_b32_dpp v0, v90 row_shr:1 row_mask:0xf bank_mask:0xf
	v_mov_b32_dpp v1, v91 row_shr:1 row_mask:0xf bank_mask:0xf
	;; [unrolled: 1-line block ×16, first 2 shown]
	v_add_f64 v[0:1], v[90:91], v[0:1]
	v_add_f64 v[4:5], v[80:81], v[4:5]
	;; [unrolled: 1-line block ×8, first 2 shown]
	v_mov_b32_dpp v2, v0 row_shr:2 row_mask:0xf bank_mask:0xf
	v_mov_b32_dpp v3, v1 row_shr:2 row_mask:0xf bank_mask:0xf
	;; [unrolled: 1-line block ×16, first 2 shown]
	v_cmp_eq_u32_e32 vcc, 3, v71
	s_and_b64 exec, exec, vcc
	s_cbranch_execz .LBB135_12
; %bb.40:
	s_load_dwordx2 s[2:3], s[6:7], 0x60
	v_add_f64 v[32:33], v[0:1], v[2:3]
	v_add_f64 v[0:1], v[4:5], v[6:7]
	;; [unrolled: 1-line block ×8, first 2 shown]
	v_cmp_eq_f64_e32 vcc, 0, v[62:63]
	v_cmp_eq_f64_e64 s[0:1], 0, v[64:65]
	v_mul_f64 v[12:13], v[0:1], -v[68:69]
	v_mul_f64 v[14:15], v[66:67], v[0:1]
	v_mul_f64 v[8:9], v[2:3], -v[68:69]
	v_mul_f64 v[10:11], v[66:67], v[2:3]
	;; [unrolled: 2-line block ×4, first 2 shown]
	s_and_b64 s[0:1], vcc, s[0:1]
	v_fmac_f64_e32 v[12:13], v[66:67], v[32:33]
	v_fmac_f64_e32 v[14:15], v[68:69], v[32:33]
	v_lshlrev_b32_e32 v16, 2, v70
	v_fmac_f64_e32 v[8:9], v[66:67], v[34:35]
	v_fmac_f64_e32 v[10:11], v[68:69], v[34:35]
	;; [unrolled: 1-line block ×6, first 2 shown]
	s_and_saveexec_b64 s[4:5], s[0:1]
	s_xor_b64 s[0:1], exec, s[4:5]
	s_cbranch_execz .LBB135_42
; %bb.41:
	v_ashrrev_i32_e32 v17, 31, v16
	v_lshlrev_b64 v[16:17], 4, v[16:17]
	s_waitcnt lgkmcnt(0)
	v_mov_b32_e32 v18, s3
	v_add_co_u32_e32 v16, vcc, s2, v16
	v_addc_co_u32_e32 v17, vcc, v18, v17, vcc
	global_store_dwordx4 v[16:17], v[12:15], off
	global_store_dwordx4 v[16:17], v[8:11], off offset:16
	global_store_dwordx4 v[16:17], v[4:7], off offset:32
	;; [unrolled: 1-line block ×3, first 2 shown]
                                        ; implicit-def: $vgpr62_vgpr63
                                        ; implicit-def: $vgpr64_vgpr65
                                        ; implicit-def: $vgpr12_vgpr13
                                        ; implicit-def: $vgpr16
                                        ; implicit-def: $vgpr8_vgpr9
                                        ; implicit-def: $vgpr4_vgpr5
                                        ; implicit-def: $vgpr0_vgpr1
.LBB135_42:
	s_andn2_saveexec_b64 s[0:1], s[0:1]
	s_cbranch_execz .LBB135_12
; %bb.43:
	v_ashrrev_i32_e32 v17, 31, v16
	v_lshlrev_b64 v[16:17], 4, v[16:17]
	s_waitcnt lgkmcnt(0)
	v_mov_b32_e32 v18, s3
	v_add_co_u32_e32 v32, vcc, s2, v16
	v_addc_co_u32_e32 v33, vcc, v18, v17, vcc
	global_load_dwordx4 v[16:19], v[32:33], off
	global_load_dwordx4 v[20:23], v[32:33], off offset:16
	global_load_dwordx4 v[24:27], v[32:33], off offset:32
	;; [unrolled: 1-line block ×3, first 2 shown]
	s_waitcnt vmcnt(3)
	v_fmac_f64_e32 v[12:13], v[62:63], v[16:17]
	v_fmac_f64_e32 v[14:15], v[64:65], v[16:17]
	s_waitcnt vmcnt(2)
	v_fmac_f64_e32 v[8:9], v[62:63], v[20:21]
	v_fmac_f64_e32 v[10:11], v[64:65], v[20:21]
	;; [unrolled: 3-line block ×4, first 2 shown]
	v_fma_f64 v[12:13], -v[64:65], v[18:19], v[12:13]
	v_fmac_f64_e32 v[14:15], v[62:63], v[18:19]
	v_fma_f64 v[8:9], -v[64:65], v[22:23], v[8:9]
	v_fmac_f64_e32 v[10:11], v[62:63], v[22:23]
	;; [unrolled: 2-line block ×4, first 2 shown]
	global_store_dwordx4 v[32:33], v[12:15], off
	global_store_dwordx4 v[32:33], v[8:11], off offset:16
	global_store_dwordx4 v[32:33], v[4:7], off offset:32
	;; [unrolled: 1-line block ×3, first 2 shown]
	s_endpgm
	.section	.rodata,"a",@progbits
	.p2align	6, 0x0
	.amdhsa_kernel _ZN9rocsparseL18bsrxmvn_4x4_kernelILj128ELj4E21rocsparse_complex_numIdEiidS2_S2_EEvT3_20rocsparse_direction_NS_24const_host_device_scalarIT1_EES3_PKS3_PKT2_SC_S9_PKT4_PKT5_S7_PT6_21rocsparse_index_base_b
		.amdhsa_group_segment_fixed_size 2048
		.amdhsa_private_segment_fixed_size 0
		.amdhsa_kernarg_size 112
		.amdhsa_user_sgpr_count 8
		.amdhsa_user_sgpr_private_segment_buffer 1
		.amdhsa_user_sgpr_dispatch_ptr 1
		.amdhsa_user_sgpr_queue_ptr 0
		.amdhsa_user_sgpr_kernarg_segment_ptr 1
		.amdhsa_user_sgpr_dispatch_id 0
		.amdhsa_user_sgpr_flat_scratch_init 0
		.amdhsa_user_sgpr_kernarg_preload_length 0
		.amdhsa_user_sgpr_kernarg_preload_offset 0
		.amdhsa_user_sgpr_private_segment_size 0
		.amdhsa_uses_dynamic_stack 0
		.amdhsa_system_sgpr_private_segment_wavefront_offset 0
		.amdhsa_system_sgpr_workgroup_id_x 1
		.amdhsa_system_sgpr_workgroup_id_y 0
		.amdhsa_system_sgpr_workgroup_id_z 0
		.amdhsa_system_sgpr_workgroup_info 0
		.amdhsa_system_vgpr_workitem_id 2
		.amdhsa_next_free_vgpr 110
		.amdhsa_next_free_sgpr 22
		.amdhsa_accum_offset 112
		.amdhsa_reserve_vcc 1
		.amdhsa_reserve_flat_scratch 0
		.amdhsa_float_round_mode_32 0
		.amdhsa_float_round_mode_16_64 0
		.amdhsa_float_denorm_mode_32 3
		.amdhsa_float_denorm_mode_16_64 3
		.amdhsa_dx10_clamp 1
		.amdhsa_ieee_mode 1
		.amdhsa_fp16_overflow 0
		.amdhsa_tg_split 0
		.amdhsa_exception_fp_ieee_invalid_op 0
		.amdhsa_exception_fp_denorm_src 0
		.amdhsa_exception_fp_ieee_div_zero 0
		.amdhsa_exception_fp_ieee_overflow 0
		.amdhsa_exception_fp_ieee_underflow 0
		.amdhsa_exception_fp_ieee_inexact 0
		.amdhsa_exception_int_div_zero 0
	.end_amdhsa_kernel
	.section	.text._ZN9rocsparseL18bsrxmvn_4x4_kernelILj128ELj4E21rocsparse_complex_numIdEiidS2_S2_EEvT3_20rocsparse_direction_NS_24const_host_device_scalarIT1_EES3_PKS3_PKT2_SC_S9_PKT4_PKT5_S7_PT6_21rocsparse_index_base_b,"axG",@progbits,_ZN9rocsparseL18bsrxmvn_4x4_kernelILj128ELj4E21rocsparse_complex_numIdEiidS2_S2_EEvT3_20rocsparse_direction_NS_24const_host_device_scalarIT1_EES3_PKS3_PKT2_SC_S9_PKT4_PKT5_S7_PT6_21rocsparse_index_base_b,comdat
.Lfunc_end135:
	.size	_ZN9rocsparseL18bsrxmvn_4x4_kernelILj128ELj4E21rocsparse_complex_numIdEiidS2_S2_EEvT3_20rocsparse_direction_NS_24const_host_device_scalarIT1_EES3_PKS3_PKT2_SC_S9_PKT4_PKT5_S7_PT6_21rocsparse_index_base_b, .Lfunc_end135-_ZN9rocsparseL18bsrxmvn_4x4_kernelILj128ELj4E21rocsparse_complex_numIdEiidS2_S2_EEvT3_20rocsparse_direction_NS_24const_host_device_scalarIT1_EES3_PKS3_PKT2_SC_S9_PKT4_PKT5_S7_PT6_21rocsparse_index_base_b
                                        ; -- End function
	.section	.AMDGPU.csdata,"",@progbits
; Kernel info:
; codeLenInByte = 7044
; NumSgprs: 26
; NumVgprs: 110
; NumAgprs: 0
; TotalNumVgprs: 110
; ScratchSize: 0
; MemoryBound: 0
; FloatMode: 240
; IeeeMode: 1
; LDSByteSize: 2048 bytes/workgroup (compile time only)
; SGPRBlocks: 3
; VGPRBlocks: 13
; NumSGPRsForWavesPerEU: 26
; NumVGPRsForWavesPerEU: 110
; AccumOffset: 112
; Occupancy: 4
; WaveLimiterHint : 1
; COMPUTE_PGM_RSRC2:SCRATCH_EN: 0
; COMPUTE_PGM_RSRC2:USER_SGPR: 8
; COMPUTE_PGM_RSRC2:TRAP_HANDLER: 0
; COMPUTE_PGM_RSRC2:TGID_X_EN: 1
; COMPUTE_PGM_RSRC2:TGID_Y_EN: 0
; COMPUTE_PGM_RSRC2:TGID_Z_EN: 0
; COMPUTE_PGM_RSRC2:TIDIG_COMP_CNT: 2
; COMPUTE_PGM_RSRC3_GFX90A:ACCUM_OFFSET: 27
; COMPUTE_PGM_RSRC3_GFX90A:TG_SPLIT: 0
	.section	.text._ZN9rocsparseL18bsrxmvn_4x4_kernelILj128ELj8E21rocsparse_complex_numIdEiidS2_S2_EEvT3_20rocsparse_direction_NS_24const_host_device_scalarIT1_EES3_PKS3_PKT2_SC_S9_PKT4_PKT5_S7_PT6_21rocsparse_index_base_b,"axG",@progbits,_ZN9rocsparseL18bsrxmvn_4x4_kernelILj128ELj8E21rocsparse_complex_numIdEiidS2_S2_EEvT3_20rocsparse_direction_NS_24const_host_device_scalarIT1_EES3_PKS3_PKT2_SC_S9_PKT4_PKT5_S7_PT6_21rocsparse_index_base_b,comdat
	.globl	_ZN9rocsparseL18bsrxmvn_4x4_kernelILj128ELj8E21rocsparse_complex_numIdEiidS2_S2_EEvT3_20rocsparse_direction_NS_24const_host_device_scalarIT1_EES3_PKS3_PKT2_SC_S9_PKT4_PKT5_S7_PT6_21rocsparse_index_base_b ; -- Begin function _ZN9rocsparseL18bsrxmvn_4x4_kernelILj128ELj8E21rocsparse_complex_numIdEiidS2_S2_EEvT3_20rocsparse_direction_NS_24const_host_device_scalarIT1_EES3_PKS3_PKT2_SC_S9_PKT4_PKT5_S7_PT6_21rocsparse_index_base_b
	.p2align	8
	.type	_ZN9rocsparseL18bsrxmvn_4x4_kernelILj128ELj8E21rocsparse_complex_numIdEiidS2_S2_EEvT3_20rocsparse_direction_NS_24const_host_device_scalarIT1_EES3_PKS3_PKT2_SC_S9_PKT4_PKT5_S7_PT6_21rocsparse_index_base_b,@function
_ZN9rocsparseL18bsrxmvn_4x4_kernelILj128ELj8E21rocsparse_complex_numIdEiidS2_S2_EEvT3_20rocsparse_direction_NS_24const_host_device_scalarIT1_EES3_PKS3_PKT2_SC_S9_PKT4_PKT5_S7_PT6_21rocsparse_index_base_b: ; @_ZN9rocsparseL18bsrxmvn_4x4_kernelILj128ELj8E21rocsparse_complex_numIdEiidS2_S2_EEvT3_20rocsparse_direction_NS_24const_host_device_scalarIT1_EES3_PKS3_PKT2_SC_S9_PKT4_PKT5_S7_PT6_21rocsparse_index_base_b
; %bb.0:
	s_load_dwordx2 s[2:3], s[6:7], 0x68
	s_load_dwordx4 s[12:15], s[6:7], 0x8
	s_load_dwordx2 s[20:21], s[4:5], 0x4
	s_load_dwordx4 s[16:19], s[6:7], 0x50
	s_mov_b64 s[10:11], src_shared_base
	v_bfe_u32 v2, v0, 10, 10
	s_waitcnt lgkmcnt(0)
	s_bitcmp1_b32 s3, 0
	s_cselect_b64 s[0:1], -1, 0
	s_and_b64 vcc, s[0:1], exec
	s_cselect_b32 s3, s11, s13
	s_lshr_b32 s4, s20, 16
	v_and_b32_e32 v1, 0x3ff, v0
	s_mul_i32 s4, s4, s21
	v_mul_u32_u24_e32 v2, s21, v2
	v_mad_u32_u24 v2, s4, v1, v2
	v_bfe_u32 v0, v0, 20, 10
	v_add_lshl_u32 v0, v2, v0, 3
	v_mov_b32_e32 v6, s12
	v_add_u32_e32 v7, 0x400, v0
	v_pk_mov_b32 v[2:3], s[12:13], s[12:13] op_sel:[0,1]
	v_pk_mov_b32 v[4:5], s[16:17], s[16:17] op_sel:[0,1]
	ds_write2st64_b64 v0, v[4:5], v[2:3] offset1:2
	v_cndmask_b32_e64 v2, v6, v7, s[0:1]
	v_mov_b32_e32 v3, s3
	flat_load_dwordx2 v[66:67], v[2:3]
	s_xor_b64 s[4:5], s[0:1], -1
	v_pk_mov_b32 v[68:69], s[14:15], s[14:15] op_sel:[0,1]
	s_cbranch_vccnz .LBB136_2
; %bb.1:
	v_pk_mov_b32 v[2:3], s[12:13], s[12:13] op_sel:[0,1]
	flat_load_dwordx2 v[68:69], v[2:3] offset:8
.LBB136_2:
	s_and_b64 s[12:13], s[0:1], exec
	s_cselect_b32 s3, s11, s17
	v_mov_b32_e32 v2, s16
	v_cndmask_b32_e64 v2, v2, v0, s[0:1]
	v_mov_b32_e32 v3, s3
	flat_load_dwordx2 v[62:63], v[2:3]
	s_andn2_b64 vcc, exec, s[4:5]
	v_pk_mov_b32 v[64:65], s[18:19], s[18:19] op_sel:[0,1]
	s_cbranch_vccnz .LBB136_4
; %bb.3:
	v_pk_mov_b32 v[2:3], s[16:17], s[16:17] op_sel:[0,1]
	flat_load_dwordx2 v[64:65], v[2:3] offset:8
.LBB136_4:
	s_waitcnt vmcnt(0) lgkmcnt(0)
	v_cmp_eq_f64_e32 vcc, 0, v[66:67]
	v_cmp_eq_f64_e64 s[0:1], 0, v[68:69]
	s_and_b64 s[10:11], vcc, s[0:1]
	s_mov_b64 s[0:1], -1
	s_and_saveexec_b64 s[4:5], s[10:11]
; %bb.5:
	v_cmp_neq_f64_e32 vcc, 1.0, v[62:63]
	v_cmp_neq_f64_e64 s[0:1], 0, v[64:65]
	s_or_b64 s[0:1], vcc, s[0:1]
	s_orn2_b64 s[0:1], s[0:1], exec
; %bb.6:
	s_or_b64 exec, exec, s[4:5]
	s_and_saveexec_b64 s[4:5], s[0:1]
	s_cbranch_execz .LBB136_12
; %bb.7:
	s_load_dwordx2 s[10:11], s[6:7], 0x20
	s_load_dwordx2 s[0:1], s[6:7], 0x0
	v_lshrrev_b32_e32 v0, 3, v1
	v_lshl_or_b32 v70, s8, 4, v0
	s_mov_b64 s[4:5], 0
	s_waitcnt lgkmcnt(0)
	s_cmp_lg_u64 s[10:11], 0
	s_cbranch_scc0 .LBB136_13
; %bb.8:
	s_load_dword s3, s[6:7], 0x18
                                        ; implicit-def: $vgpr0
	s_waitcnt lgkmcnt(0)
	v_cmp_gt_i32_e32 vcc, s3, v70
	s_and_saveexec_b64 s[8:9], vcc
	s_xor_b64 s[8:9], exec, s[8:9]
	s_cbranch_execz .LBB136_10
; %bb.9:
	v_ashrrev_i32_e32 v71, 31, v70
	v_lshlrev_b64 v[2:3], 2, v[70:71]
	v_mov_b32_e32 v0, s11
	v_add_co_u32_e32 v2, vcc, s10, v2
	v_addc_co_u32_e32 v3, vcc, v0, v3, vcc
	global_load_dword v0, v[2:3], off
	s_mov_b64 s[4:5], exec
	s_waitcnt vmcnt(0)
	v_subrev_u32_e32 v0, s2, v0
.LBB136_10:
	s_or_b64 exec, exec, s[8:9]
	s_branch .LBB136_14
.LBB136_11:
	v_cmp_gt_i32_e32 vcc, s0, v70
	s_andn2_b64 s[4:5], s[4:5], exec
	s_and_b64 s[8:9], vcc, exec
	s_or_b64 s[4:5], s[4:5], s[8:9]
	s_and_b64 exec, exec, s[4:5]
	s_cbranch_execnz .LBB136_15
.LBB136_12:
	s_endpgm
.LBB136_13:
                                        ; implicit-def: $vgpr0
	s_cbranch_execnz .LBB136_11
.LBB136_14:
	v_mov_b32_e32 v70, v0
	s_and_b64 exec, exec, s[4:5]
	s_cbranch_execz .LBB136_12
.LBB136_15:
	s_load_dwordx8 s[8:15], s[6:7], 0x28
	v_ashrrev_i32_e32 v71, 31, v70
	v_lshlrev_b64 v[2:3], 2, v[70:71]
	v_and_b32_e32 v71, 7, v1
	s_load_dwordx2 s[4:5], s[6:7], 0x48
	s_waitcnt lgkmcnt(0)
	v_mov_b32_e32 v0, s9
	v_add_co_u32_e32 v4, vcc, s8, v2
	v_addc_co_u32_e32 v5, vcc, v0, v3, vcc
	v_add_co_u32_e32 v0, vcc, 4, v4
	global_load_dword v99, v[4:5], off
	v_addc_co_u32_e32 v4, vcc, 0, v5, vcc
	v_mov_b32_e32 v5, s11
	v_add_co_u32_e32 v2, vcc, s10, v2
	s_cmp_eq_u64 s[10:11], 0
	v_addc_co_u32_e32 v3, vcc, v5, v3, vcc
	s_cselect_b64 vcc, -1, 0
	v_cndmask_b32_e32 v3, v3, v4, vcc
	v_cndmask_b32_e32 v2, v2, v0, vcc
	global_load_dword v0, v[2:3], off
	v_mov_b32_e32 v2, s15
	s_cmp_eq_u32 s1, 1
	s_waitcnt vmcnt(1)
	v_subrev_u32_e32 v1, s2, v99
	v_add_u32_e32 v82, v1, v71
	v_ashrrev_i32_e32 v83, 31, v82
	s_waitcnt vmcnt(0)
	v_subrev_u32_e32 v98, s2, v0
	v_lshlrev_b64 v[0:1], 7, v[82:83]
	v_add_co_u32_e32 v86, vcc, s14, v0
	v_addc_co_u32_e32 v87, vcc, v2, v1, vcc
	v_cmp_lt_i32_e64 s[0:1], v82, v98
	s_cbranch_scc1 .LBB136_27
; %bb.16:
	v_pk_mov_b32 v[84:85], 0, 0
	s_mov_b64 s[8:9], 0
	v_pk_mov_b32 v[90:91], v[84:85], v[84:85] op_sel:[0,1]
	v_pk_mov_b32 v[80:81], v[84:85], v[84:85] op_sel:[0,1]
	;; [unrolled: 1-line block ×7, first 2 shown]
	s_and_saveexec_b64 s[10:11], s[0:1]
	s_cbranch_execz .LBB136_26
; %bb.17:
	v_add_u32_e32 v0, v99, v71
	v_subrev_u32_e32 v0, s2, v0
	v_add_u32_e32 v0, 8, v0
	v_max_i32_e32 v0, v0, v98
	v_not_b32_e32 v1, v99
	v_add3_u32 v0, v0, s2, v1
	v_sub_u32_e32 v0, v0, v71
	v_lshrrev_b32_e32 v1, 3, v0
	v_add_u32_e32 v1, 1, v1
	v_and_b32_e32 v1, 3, v1
	v_pk_mov_b32 v[72:73], 0, 0
	v_cmp_ne_u32_e32 vcc, 0, v1
	v_pk_mov_b32 v[74:75], v[72:73], v[72:73] op_sel:[0,1]
	v_pk_mov_b32 v[78:79], v[72:73], v[72:73] op_sel:[0,1]
	;; [unrolled: 1-line block ×8, first 2 shown]
	v_mov_b32_e32 v92, v82
	s_and_saveexec_b64 s[14:15], vcc
	s_cbranch_execz .LBB136_21
; %bb.18:
	v_pk_mov_b32 v[84:85], 0, 0
	v_lshlrev_b32_e32 v1, 7, v1
	s_mov_b64 s[16:17], 0
	v_mov_b32_e32 v2, s13
	v_mov_b32_e32 v3, s5
	;; [unrolled: 1-line block ×3, first 2 shown]
	v_pk_mov_b32 v[94:95], v[86:87], v[86:87] op_sel:[0,1]
	v_pk_mov_b32 v[90:91], v[84:85], v[84:85] op_sel:[0,1]
	;; [unrolled: 1-line block ×8, first 2 shown]
.LBB136_19:                             ; =>This Inner Loop Header: Depth=1
	v_ashrrev_i32_e32 v93, 31, v92
	v_lshlrev_b64 v[4:5], 2, v[92:93]
	v_add_co_u32_e32 v36, vcc, s12, v4
	v_addc_co_u32_e32 v37, vcc, v2, v5, vcc
	global_load_dword v38, v[36:37], off
	global_load_dwordx4 v[4:7], v[94:95], off offset:48
	global_load_dwordx4 v[8:11], v[94:95], off offset:32
	;; [unrolled: 1-line block ×3, first 2 shown]
	global_load_dwordx4 v[16:19], v[94:95], off
	global_load_dwordx4 v[20:23], v[94:95], off offset:112
	global_load_dwordx4 v[24:27], v[94:95], off offset:96
	;; [unrolled: 1-line block ×4, first 2 shown]
	v_add_u32_e32 v1, 0xffffff80, v1
	v_add_u32_e32 v92, 8, v92
	s_waitcnt vmcnt(8)
	v_subrev_u32_e32 v36, s2, v38
	v_lshlrev_b32_e32 v36, 2, v36
	v_ashrrev_i32_e32 v37, 31, v36
	v_lshlrev_b64 v[36:37], 4, v[36:37]
	v_add_co_u32_e32 v52, vcc, s4, v36
	v_addc_co_u32_e32 v53, vcc, v3, v37, vcc
	global_load_dwordx4 v[36:39], v[52:53], off
	global_load_dwordx4 v[40:43], v[52:53], off offset:16
	global_load_dwordx4 v[44:47], v[52:53], off offset:32
	;; [unrolled: 1-line block ×3, first 2 shown]
	v_add_co_u32_e32 v94, vcc, 0x400, v94
	v_addc_co_u32_e32 v95, vcc, 0, v95, vcc
	v_cmp_eq_u32_e32 vcc, 0, v1
	s_or_b64 s[16:17], vcc, s[16:17]
	s_waitcnt vmcnt(3)
	v_fmac_f64_e32 v[90:91], v[16:17], v[36:37]
	v_fmac_f64_e32 v[84:85], 0, v[36:37]
	v_fmac_f64_e32 v[88:89], v[8:9], v[36:37]
	v_fmac_f64_e32 v[80:81], 0, v[36:37]
	v_fmac_f64_e32 v[78:79], v[28:29], v[36:37]
	v_fmac_f64_e32 v[76:77], 0, v[36:37]
	v_fmac_f64_e32 v[72:73], v[24:25], v[36:37]
	v_fmac_f64_e32 v[74:75], 0, v[36:37]
	v_fmac_f64_e32 v[90:91], 0x80000000, v[38:39]
	v_fmac_f64_e32 v[84:85], v[16:17], v[38:39]
	v_fmac_f64_e32 v[88:89], 0x80000000, v[38:39]
	v_fmac_f64_e32 v[80:81], v[8:9], v[38:39]
	v_fmac_f64_e32 v[78:79], 0x80000000, v[38:39]
	v_fmac_f64_e32 v[76:77], v[28:29], v[38:39]
	v_fmac_f64_e32 v[72:73], 0x80000000, v[38:39]
	v_fmac_f64_e32 v[74:75], v[24:25], v[38:39]
	s_waitcnt vmcnt(2)
	v_fmac_f64_e32 v[90:91], v[18:19], v[40:41]
	v_fmac_f64_e32 v[84:85], 0, v[40:41]
	v_fmac_f64_e32 v[88:89], v[10:11], v[40:41]
	v_fmac_f64_e32 v[80:81], 0, v[40:41]
	v_fmac_f64_e32 v[78:79], v[30:31], v[40:41]
	v_fmac_f64_e32 v[76:77], 0, v[40:41]
	v_fmac_f64_e32 v[72:73], v[26:27], v[40:41]
	v_fmac_f64_e32 v[74:75], 0, v[40:41]
	v_fmac_f64_e32 v[84:85], v[18:19], v[42:43]
	v_fmac_f64_e32 v[80:81], v[10:11], v[42:43]
	v_fmac_f64_e32 v[90:91], 0x80000000, v[42:43]
	v_fmac_f64_e32 v[88:89], 0x80000000, v[42:43]
	v_fmac_f64_e32 v[78:79], 0x80000000, v[42:43]
	v_fmac_f64_e32 v[76:77], v[30:31], v[42:43]
	v_fmac_f64_e32 v[72:73], 0x80000000, v[42:43]
	v_fmac_f64_e32 v[74:75], v[26:27], v[42:43]
	s_waitcnt vmcnt(1)
	v_fmac_f64_e32 v[90:91], v[12:13], v[44:45]
	v_fmac_f64_e32 v[84:85], 0, v[44:45]
	v_fmac_f64_e32 v[88:89], v[4:5], v[44:45]
	v_fmac_f64_e32 v[80:81], 0, v[44:45]
	v_fmac_f64_e32 v[78:79], v[32:33], v[44:45]
	v_fmac_f64_e32 v[76:77], 0, v[44:45]
	v_fmac_f64_e32 v[72:73], v[20:21], v[44:45]
	v_fmac_f64_e32 v[74:75], 0, v[44:45]
	v_fmac_f64_e32 v[90:91], 0x80000000, v[46:47]
	v_fmac_f64_e32 v[84:85], v[12:13], v[46:47]
	v_fmac_f64_e32 v[88:89], 0x80000000, v[46:47]
	v_fmac_f64_e32 v[80:81], v[4:5], v[46:47]
	v_fmac_f64_e32 v[78:79], 0x80000000, v[46:47]
	v_fmac_f64_e32 v[76:77], v[32:33], v[46:47]
	v_fmac_f64_e32 v[72:73], 0x80000000, v[46:47]
	v_fmac_f64_e32 v[74:75], v[20:21], v[46:47]
	s_waitcnt vmcnt(0)
	v_fmac_f64_e32 v[90:91], v[14:15], v[48:49]
	v_fmac_f64_e32 v[84:85], 0, v[48:49]
	v_fmac_f64_e32 v[88:89], v[6:7], v[48:49]
	v_fmac_f64_e32 v[80:81], 0, v[48:49]
	v_fmac_f64_e32 v[78:79], v[34:35], v[48:49]
	v_fmac_f64_e32 v[76:77], 0, v[48:49]
	v_fmac_f64_e32 v[72:73], v[22:23], v[48:49]
	v_fmac_f64_e32 v[74:75], 0, v[48:49]
	v_fmac_f64_e32 v[90:91], 0x80000000, v[50:51]
	v_fmac_f64_e32 v[84:85], v[14:15], v[50:51]
	v_fmac_f64_e32 v[88:89], 0x80000000, v[50:51]
	v_fmac_f64_e32 v[80:81], v[6:7], v[50:51]
	v_fmac_f64_e32 v[78:79], 0x80000000, v[50:51]
	v_fmac_f64_e32 v[76:77], v[34:35], v[50:51]
	v_fmac_f64_e32 v[72:73], 0x80000000, v[50:51]
	v_fmac_f64_e32 v[74:75], v[22:23], v[50:51]
	s_andn2_b64 exec, exec, s[16:17]
	s_cbranch_execnz .LBB136_19
; %bb.20:
	s_or_b64 exec, exec, s[16:17]
.LBB136_21:
	s_or_b64 exec, exec, s[14:15]
	v_cmp_lt_u32_e32 vcc, 23, v0
	s_and_saveexec_b64 s[14:15], vcc
	s_cbranch_execz .LBB136_25
; %bb.22:
	s_mov_b64 s[16:17], 0
	v_mov_b32_e32 v83, s13
	v_mov_b32_e32 v100, s5
.LBB136_23:                             ; =>This Inner Loop Header: Depth=1
	v_ashrrev_i32_e32 v93, 31, v92
	v_lshlrev_b64 v[20:21], 2, v[92:93]
	v_add_co_u32_e32 v96, vcc, s12, v20
	v_addc_co_u32_e32 v97, vcc, v83, v21, vcc
	global_load_dwordx4 v[0:3], v[94:95], off offset:48
	global_load_dwordx4 v[8:11], v[94:95], off offset:32
	;; [unrolled: 1-line block ×3, first 2 shown]
	global_load_dwordx4 v[52:55], v[94:95], off
	global_load_dwordx4 v[16:19], v[94:95], off offset:112
	global_load_dwordx4 v[38:41], v[94:95], off offset:96
	;; [unrolled: 1-line block ×9, first 2 shown]
	global_load_dword v20, v[96:97], off
	global_load_dwordx4 v[102:105], v[94:95], off offset:1120
	global_load_dwordx4 v[106:109], v[94:95], off offset:1104
	v_add_u32_e32 v92, 32, v92
	s_waitcnt vmcnt(2)
	v_subrev_u32_e32 v20, s2, v20
	v_lshlrev_b32_e32 v20, 2, v20
	v_ashrrev_i32_e32 v21, 31, v20
	v_lshlrev_b64 v[20:21], 4, v[20:21]
	v_add_co_u32_e32 v20, vcc, s4, v20
	v_addc_co_u32_e32 v21, vcc, v100, v21, vcc
	global_load_dwordx4 v[56:59], v[20:21], off
	s_waitcnt vmcnt(0)
	v_fmac_f64_e32 v[84:85], 0, v[56:57]
	v_fmac_f64_e32 v[90:91], v[52:53], v[56:57]
	;; [unrolled: 1-line block ×3, first 2 shown]
	global_load_dwordx4 v[50:53], v[20:21], off offset:16
	v_fmac_f64_e32 v[76:77], 0, v[56:57]
	v_fmac_f64_e32 v[78:79], v[42:43], v[56:57]
	;; [unrolled: 1-line block ×13, first 2 shown]
	s_waitcnt vmcnt(0)
	v_fmac_f64_e32 v[76:77], 0, v[50:51]
	v_fmac_f64_e32 v[78:79], v[44:45], v[50:51]
	;; [unrolled: 1-line block ×3, first 2 shown]
	global_load_dwordx4 v[42:45], v[20:21], off offset:32
	v_fmac_f64_e32 v[84:85], 0, v[50:51]
	v_fmac_f64_e32 v[90:91], v[54:55], v[50:51]
	;; [unrolled: 1-line block ×9, first 2 shown]
	global_load_dwordx4 v[8:11], v[94:95], off offset:1088
	v_fmac_f64_e32 v[74:75], v[40:41], v[52:53]
	global_load_dwordx4 v[38:41], v[94:95], off offset:2096
	v_fmac_f64_e32 v[88:89], 0x80000000, v[52:53]
	v_fmac_f64_e32 v[78:79], 0x80000000, v[52:53]
	;; [unrolled: 1-line block ×3, first 2 shown]
	global_load_dwordx4 v[50:53], v[94:95], off offset:2080
	global_load_dwordx4 v[58:61], v[20:21], off offset:48
	;; [unrolled: 1-line block ×3, first 2 shown]
	s_waitcnt vmcnt(5)
	v_fmac_f64_e32 v[84:85], 0, v[42:43]
	v_fmac_f64_e32 v[90:91], v[4:5], v[42:43]
	;; [unrolled: 1-line block ×3, first 2 shown]
	global_load_dword v4, v[96:97], off offset:32
	v_fmac_f64_e32 v[76:77], 0, v[42:43]
	v_fmac_f64_e32 v[78:79], v[26:27], v[42:43]
	;; [unrolled: 1-line block ×12, first 2 shown]
	s_waitcnt vmcnt(2)
	v_fmac_f64_e32 v[84:85], 0, v[58:59]
	v_fmac_f64_e32 v[90:91], v[6:7], v[58:59]
	;; [unrolled: 1-line block ×17, first 2 shown]
	global_load_dwordx4 v[42:45], v[94:95], off offset:2064
	global_load_dwordx4 v[0:3], v[94:95], off offset:2160
	;; [unrolled: 1-line block ×4, first 2 shown]
	s_waitcnt vmcnt(4)
	v_subrev_u32_e32 v4, s2, v4
	v_lshlrev_b32_e32 v4, 2, v4
	v_ashrrev_i32_e32 v5, 31, v4
	v_lshlrev_b64 v[4:5], 4, v[4:5]
	v_add_co_u32_e32 v26, vcc, s4, v4
	v_addc_co_u32_e32 v27, vcc, v100, v5, vcc
	global_load_dwordx4 v[4:7], v[26:27], off
	s_waitcnt vmcnt(0)
	v_fmac_f64_e32 v[90:91], v[34:35], v[4:5]
	v_fmac_f64_e32 v[84:85], 0, v[4:5]
	;; [unrolled: 1-line block ×16, first 2 shown]
	global_load_dwordx4 v[6:9], v[26:27], off offset:16
	s_waitcnt vmcnt(0)
	v_fmac_f64_e32 v[90:91], v[36:37], v[6:7]
	v_fmac_f64_e32 v[84:85], 0, v[6:7]
	;; [unrolled: 1-line block ×16, first 2 shown]
	global_load_dwordx4 v[8:11], v[26:27], off offset:32
	global_load_dwordx4 v[34:37], v[94:95], off offset:2144
	;; [unrolled: 1-line block ×3, first 2 shown]
	s_waitcnt vmcnt(2)
	v_fmac_f64_e32 v[84:85], 0, v[8:9]
	v_fmac_f64_e32 v[90:91], v[22:23], v[8:9]
	;; [unrolled: 1-line block ×3, first 2 shown]
	global_load_dwordx4 v[20:23], v[94:95], off offset:3104
	global_load_dwordx4 v[28:31], v[26:27], off offset:48
	v_fmac_f64_e32 v[88:89], v[12:13], v[8:9]
	v_fmac_f64_e32 v[80:81], 0, v[8:9]
	;; [unrolled: 1-line block ×13, first 2 shown]
	global_load_dwordx4 v[8:11], v[94:95], off offset:3088
	s_waitcnt vmcnt(1)
	v_fmac_f64_e32 v[90:91], v[24:25], v[28:29]
	v_fmac_f64_e32 v[84:85], 0, v[28:29]
	v_fmac_f64_e32 v[88:89], v[14:15], v[28:29]
	v_fmac_f64_e32 v[80:81], 0, v[28:29]
	v_fmac_f64_e32 v[78:79], v[108:109], v[28:29]
	v_fmac_f64_e32 v[76:77], 0, v[28:29]
	v_fmac_f64_e32 v[72:73], v[48:49], v[28:29]
	v_fmac_f64_e32 v[74:75], 0, v[28:29]
	global_load_dword v28, v[96:97], off offset:64
	v_fmac_f64_e32 v[84:85], v[24:25], v[30:31]
	global_load_dwordx4 v[24:27], v[94:95], off offset:3072
	v_fmac_f64_e32 v[80:81], v[14:15], v[30:31]
	v_fmac_f64_e32 v[76:77], v[108:109], v[30:31]
	;; [unrolled: 1-line block ×7, first 2 shown]
	global_load_dwordx4 v[12:15], v[94:95], off offset:3184
	s_waitcnt vmcnt(2)
	v_subrev_u32_e32 v28, s2, v28
	v_lshlrev_b32_e32 v28, 2, v28
	v_ashrrev_i32_e32 v29, 31, v28
	v_lshlrev_b64 v[28:29], 4, v[28:29]
	v_add_co_u32_e32 v106, vcc, s4, v28
	v_addc_co_u32_e32 v107, vcc, v100, v29, vcc
	global_load_dwordx4 v[28:31], v[106:107], off
	global_load_dwordx4 v[102:105], v[106:107], off offset:16
	s_waitcnt vmcnt(1)
	v_fmac_f64_e32 v[90:91], v[54:55], v[28:29]
	v_fmac_f64_e32 v[84:85], 0, v[28:29]
	v_fmac_f64_e32 v[88:89], v[50:51], v[28:29]
	v_fmac_f64_e32 v[80:81], 0, v[28:29]
	v_fmac_f64_e32 v[78:79], v[58:59], v[28:29]
	v_fmac_f64_e32 v[76:77], 0, v[28:29]
	v_fmac_f64_e32 v[72:73], v[34:35], v[28:29]
	v_fmac_f64_e32 v[74:75], 0, v[28:29]
	v_fmac_f64_e32 v[90:91], 0x80000000, v[30:31]
	v_fmac_f64_e32 v[84:85], v[54:55], v[30:31]
	v_fmac_f64_e32 v[88:89], 0x80000000, v[30:31]
	v_fmac_f64_e32 v[80:81], v[50:51], v[30:31]
	v_fmac_f64_e32 v[78:79], 0x80000000, v[30:31]
	v_fmac_f64_e32 v[76:77], v[58:59], v[30:31]
	v_fmac_f64_e32 v[72:73], 0x80000000, v[30:31]
	v_fmac_f64_e32 v[74:75], v[34:35], v[30:31]
	global_load_dwordx4 v[32:35], v[94:95], off offset:3168
	global_load_dwordx4 v[28:31], v[94:95], off offset:3152
	global_load_dwordx4 v[46:49], v[94:95], off offset:3136
	global_load_dword v50, v[96:97], off offset:96
	s_waitcnt vmcnt(4)
	v_fmac_f64_e32 v[84:85], 0, v[102:103]
	v_fmac_f64_e32 v[76:77], 0, v[102:103]
	;; [unrolled: 1-line block ×6, first 2 shown]
	global_load_dwordx4 v[54:57], v[106:107], off offset:32
	global_load_dwordx4 v[58:61], v[106:107], off offset:48
	v_fmac_f64_e32 v[88:89], v[52:53], v[102:103]
	v_fmac_f64_e32 v[80:81], 0, v[102:103]
	;; [unrolled: 1-line block ×10, first 2 shown]
	s_waitcnt vmcnt(2)
	v_subrev_u32_e32 v50, s2, v50
	v_lshlrev_b32_e32 v50, 2, v50
	v_ashrrev_i32_e32 v51, 31, v50
	v_lshlrev_b64 v[50:51], 4, v[50:51]
	v_add_co_u32_e32 v96, vcc, s4, v50
	v_addc_co_u32_e32 v97, vcc, v100, v51, vcc
	global_load_dwordx4 v[50:53], v[96:97], off
	s_waitcnt vmcnt(2)
	v_fmac_f64_e32 v[90:91], v[42:43], v[54:55]
	v_fmac_f64_e32 v[84:85], 0, v[54:55]
	;; [unrolled: 1-line block ×16, first 2 shown]
	global_load_dwordx4 v[54:57], v[96:97], off offset:16
	s_waitcnt vmcnt(2)
	v_fmac_f64_e32 v[84:85], 0, v[58:59]
	v_fmac_f64_e32 v[90:91], v[44:45], v[58:59]
	;; [unrolled: 1-line block ×3, first 2 shown]
	global_load_dwordx4 v[42:45], v[96:97], off offset:32
	global_load_dwordx4 v[36:39], v[96:97], off offset:48
	v_fmac_f64_e32 v[88:89], v[40:41], v[58:59]
	v_fmac_f64_e32 v[80:81], 0, v[58:59]
	;; [unrolled: 1-line block ×13, first 2 shown]
	v_add_co_u32_e32 v94, vcc, 0x1000, v94
	v_addc_co_u32_e32 v95, vcc, 0, v95, vcc
	v_cmp_ge_i32_e32 vcc, v92, v98
	s_or_b64 s[16:17], vcc, s[16:17]
	s_waitcnt vmcnt(3)
	v_fmac_f64_e32 v[90:91], v[24:25], v[50:51]
	v_fmac_f64_e32 v[84:85], 0, v[50:51]
	v_fmac_f64_e32 v[88:89], v[20:21], v[50:51]
	v_fmac_f64_e32 v[80:81], 0, v[50:51]
	v_fmac_f64_e32 v[78:79], v[46:47], v[50:51]
	v_fmac_f64_e32 v[76:77], 0, v[50:51]
	v_fmac_f64_e32 v[72:73], v[32:33], v[50:51]
	v_fmac_f64_e32 v[74:75], 0, v[50:51]
	v_fmac_f64_e32 v[90:91], 0x80000000, v[52:53]
	v_fmac_f64_e32 v[84:85], v[24:25], v[52:53]
	v_fmac_f64_e32 v[88:89], 0x80000000, v[52:53]
	v_fmac_f64_e32 v[80:81], v[20:21], v[52:53]
	v_fmac_f64_e32 v[78:79], 0x80000000, v[52:53]
	v_fmac_f64_e32 v[76:77], v[46:47], v[52:53]
	v_fmac_f64_e32 v[72:73], 0x80000000, v[52:53]
	v_fmac_f64_e32 v[74:75], v[32:33], v[52:53]
	s_waitcnt vmcnt(2)
	v_fmac_f64_e32 v[90:91], v[26:27], v[54:55]
	v_fmac_f64_e32 v[84:85], 0, v[54:55]
	v_fmac_f64_e32 v[88:89], v[22:23], v[54:55]
	v_fmac_f64_e32 v[80:81], 0, v[54:55]
	v_fmac_f64_e32 v[78:79], v[48:49], v[54:55]
	v_fmac_f64_e32 v[76:77], 0, v[54:55]
	v_fmac_f64_e32 v[72:73], v[34:35], v[54:55]
	v_fmac_f64_e32 v[74:75], 0, v[54:55]
	v_fmac_f64_e32 v[90:91], 0x80000000, v[56:57]
	v_fmac_f64_e32 v[84:85], v[26:27], v[56:57]
	v_fmac_f64_e32 v[88:89], 0x80000000, v[56:57]
	v_fmac_f64_e32 v[80:81], v[22:23], v[56:57]
	v_fmac_f64_e32 v[78:79], 0x80000000, v[56:57]
	v_fmac_f64_e32 v[76:77], v[48:49], v[56:57]
	v_fmac_f64_e32 v[72:73], 0x80000000, v[56:57]
	v_fmac_f64_e32 v[74:75], v[34:35], v[56:57]
	;; [unrolled: 17-line block ×4, first 2 shown]
	s_andn2_b64 exec, exec, s[16:17]
	s_cbranch_execnz .LBB136_23
; %bb.24:
	s_or_b64 exec, exec, s[16:17]
.LBB136_25:
	s_or_b64 exec, exec, s[14:15]
.LBB136_26:
	s_or_b64 exec, exec, s[10:11]
	s_andn2_b64 vcc, exec, s[8:9]
	s_cbranch_vccz .LBB136_28
	s_branch .LBB136_39
.LBB136_27:
                                        ; implicit-def: $vgpr84_vgpr85
                                        ; implicit-def: $vgpr90_vgpr91
                                        ; implicit-def: $vgpr80_vgpr81
                                        ; implicit-def: $vgpr88_vgpr89
                                        ; implicit-def: $vgpr76_vgpr77
                                        ; implicit-def: $vgpr78_vgpr79
                                        ; implicit-def: $vgpr74_vgpr75
                                        ; implicit-def: $vgpr72_vgpr73
.LBB136_28:
	v_pk_mov_b32 v[84:85], 0, 0
	v_pk_mov_b32 v[90:91], v[84:85], v[84:85] op_sel:[0,1]
	v_pk_mov_b32 v[80:81], v[84:85], v[84:85] op_sel:[0,1]
	;; [unrolled: 1-line block ×7, first 2 shown]
	s_and_saveexec_b64 s[8:9], s[0:1]
	s_cbranch_execz .LBB136_38
; %bb.29:
	v_add_u32_e32 v0, v99, v71
	v_subrev_u32_e32 v0, s2, v0
	v_add_u32_e32 v0, 8, v0
	v_max_i32_e32 v0, v0, v98
	v_not_b32_e32 v1, v99
	v_add3_u32 v0, v0, s2, v1
	v_sub_u32_e32 v0, v0, v71
	v_lshrrev_b32_e32 v1, 3, v0
	v_add_u32_e32 v1, 1, v1
	v_and_b32_e32 v1, 3, v1
	v_pk_mov_b32 v[72:73], 0, 0
	v_cmp_ne_u32_e32 vcc, 0, v1
	v_pk_mov_b32 v[74:75], v[72:73], v[72:73] op_sel:[0,1]
	v_pk_mov_b32 v[78:79], v[72:73], v[72:73] op_sel:[0,1]
	;; [unrolled: 1-line block ×7, first 2 shown]
	s_and_saveexec_b64 s[0:1], vcc
	s_cbranch_execz .LBB136_33
; %bb.30:
	v_pk_mov_b32 v[84:85], 0, 0
	v_lshlrev_b32_e32 v1, 7, v1
	s_mov_b64 s[10:11], 0
	v_mov_b32_e32 v2, s13
	v_mov_b32_e32 v3, s5
	v_pk_mov_b32 v[90:91], v[84:85], v[84:85] op_sel:[0,1]
	v_pk_mov_b32 v[80:81], v[84:85], v[84:85] op_sel:[0,1]
	;; [unrolled: 1-line block ×7, first 2 shown]
.LBB136_31:                             ; =>This Inner Loop Header: Depth=1
	v_ashrrev_i32_e32 v83, 31, v82
	v_lshlrev_b64 v[4:5], 2, v[82:83]
	v_add_co_u32_e32 v36, vcc, s12, v4
	v_addc_co_u32_e32 v37, vcc, v2, v5, vcc
	global_load_dword v38, v[36:37], off
	global_load_dwordx4 v[4:7], v[86:87], off offset:48
	global_load_dwordx4 v[8:11], v[86:87], off offset:32
	;; [unrolled: 1-line block ×3, first 2 shown]
	global_load_dwordx4 v[16:19], v[86:87], off
	global_load_dwordx4 v[20:23], v[86:87], off offset:80
	global_load_dwordx4 v[24:27], v[86:87], off offset:64
	;; [unrolled: 1-line block ×4, first 2 shown]
	v_add_u32_e32 v1, 0xffffff80, v1
	v_add_u32_e32 v82, 8, v82
	s_waitcnt vmcnt(8)
	v_subrev_u32_e32 v36, s2, v38
	v_lshlrev_b32_e32 v36, 2, v36
	v_ashrrev_i32_e32 v37, 31, v36
	v_lshlrev_b64 v[36:37], 4, v[36:37]
	v_add_co_u32_e32 v52, vcc, s4, v36
	v_addc_co_u32_e32 v53, vcc, v3, v37, vcc
	global_load_dwordx4 v[36:39], v[52:53], off
	global_load_dwordx4 v[40:43], v[52:53], off offset:16
	global_load_dwordx4 v[44:47], v[52:53], off offset:32
	;; [unrolled: 1-line block ×3, first 2 shown]
	v_add_co_u32_e32 v86, vcc, 0x400, v86
	v_addc_co_u32_e32 v87, vcc, 0, v87, vcc
	v_cmp_eq_u32_e32 vcc, 0, v1
	s_or_b64 s[10:11], vcc, s[10:11]
	s_waitcnt vmcnt(3)
	v_fmac_f64_e32 v[90:91], v[16:17], v[36:37]
	v_fmac_f64_e32 v[84:85], 0, v[36:37]
	v_fmac_f64_e32 v[88:89], v[18:19], v[36:37]
	v_fmac_f64_e32 v[80:81], 0, v[36:37]
	v_fmac_f64_e32 v[78:79], v[12:13], v[36:37]
	v_fmac_f64_e32 v[76:77], 0, v[36:37]
	v_fmac_f64_e32 v[72:73], v[14:15], v[36:37]
	v_fmac_f64_e32 v[74:75], 0, v[36:37]
	v_fmac_f64_e32 v[84:85], v[16:17], v[38:39]
	v_fmac_f64_e32 v[80:81], v[18:19], v[38:39]
	v_fmac_f64_e32 v[90:91], 0x80000000, v[38:39]
	v_fmac_f64_e32 v[88:89], 0x80000000, v[38:39]
	v_fmac_f64_e32 v[78:79], 0x80000000, v[38:39]
	v_fmac_f64_e32 v[76:77], v[12:13], v[38:39]
	v_fmac_f64_e32 v[72:73], 0x80000000, v[38:39]
	v_fmac_f64_e32 v[74:75], v[14:15], v[38:39]
	s_waitcnt vmcnt(2)
	v_fmac_f64_e32 v[90:91], v[8:9], v[40:41]
	v_fmac_f64_e32 v[84:85], 0, v[40:41]
	v_fmac_f64_e32 v[88:89], v[10:11], v[40:41]
	v_fmac_f64_e32 v[80:81], 0, v[40:41]
	v_fmac_f64_e32 v[78:79], v[4:5], v[40:41]
	v_fmac_f64_e32 v[76:77], 0, v[40:41]
	v_fmac_f64_e32 v[72:73], v[6:7], v[40:41]
	v_fmac_f64_e32 v[74:75], 0, v[40:41]
	v_fmac_f64_e32 v[90:91], 0x80000000, v[42:43]
	v_fmac_f64_e32 v[84:85], v[8:9], v[42:43]
	v_fmac_f64_e32 v[88:89], 0x80000000, v[42:43]
	v_fmac_f64_e32 v[80:81], v[10:11], v[42:43]
	v_fmac_f64_e32 v[78:79], 0x80000000, v[42:43]
	v_fmac_f64_e32 v[76:77], v[4:5], v[42:43]
	v_fmac_f64_e32 v[72:73], 0x80000000, v[42:43]
	v_fmac_f64_e32 v[74:75], v[6:7], v[42:43]
	;; [unrolled: 17-line block ×4, first 2 shown]
	s_andn2_b64 exec, exec, s[10:11]
	s_cbranch_execnz .LBB136_31
; %bb.32:
	s_or_b64 exec, exec, s[10:11]
.LBB136_33:
	s_or_b64 exec, exec, s[0:1]
	v_cmp_lt_u32_e32 vcc, 23, v0
	s_and_saveexec_b64 s[0:1], vcc
	s_cbranch_execz .LBB136_37
; %bb.34:
	s_mov_b64 s[10:11], 0
	v_mov_b32_e32 v56, s13
	v_mov_b32_e32 v57, s5
.LBB136_35:                             ; =>This Inner Loop Header: Depth=1
	v_ashrrev_i32_e32 v83, 31, v82
	v_lshlrev_b64 v[40:41], 2, v[82:83]
	v_add_co_u32_e32 v40, vcc, s12, v40
	v_addc_co_u32_e32 v41, vcc, v56, v41, vcc
	global_load_dwordx4 v[0:3], v[86:87], off offset:48
	global_load_dwordx4 v[4:7], v[86:87], off offset:32
	;; [unrolled: 1-line block ×3, first 2 shown]
	global_load_dwordx4 v[44:47], v[86:87], off
	global_load_dwordx4 v[12:15], v[86:87], off offset:112
	global_load_dwordx4 v[16:19], v[86:87], off offset:96
	;; [unrolled: 1-line block ×7, first 2 shown]
	global_load_dword v42, v[40:41], off
	global_load_dword v50, v[40:41], off offset:32
	global_load_dword v52, v[40:41], off offset:64
	;; [unrolled: 1-line block ×3, first 2 shown]
	global_load_dwordx4 v[58:61], v[86:87], off offset:1024
	global_load_dwordx4 v[92:95], v[86:87], off offset:1088
	v_add_u32_e32 v82, 32, v82
	s_waitcnt vmcnt(5)
	v_subrev_u32_e32 v40, s2, v42
	v_lshlrev_b32_e32 v40, 2, v40
	v_ashrrev_i32_e32 v41, 31, v40
	v_lshlrev_b64 v[40:41], 4, v[40:41]
	v_add_co_u32_e32 v48, vcc, s4, v40
	v_addc_co_u32_e32 v49, vcc, v57, v41, vcc
	global_load_dwordx4 v[40:43], v[48:49], off
	s_waitcnt vmcnt(0)
	v_fmac_f64_e32 v[90:91], v[44:45], v[40:41]
	v_fmac_f64_e32 v[84:85], 0, v[40:41]
	v_fmac_f64_e32 v[88:89], v[46:47], v[40:41]
	v_fmac_f64_e32 v[80:81], 0, v[40:41]
	v_fmac_f64_e32 v[78:79], v[8:9], v[40:41]
	v_fmac_f64_e32 v[76:77], 0, v[40:41]
	v_fmac_f64_e32 v[72:73], v[10:11], v[40:41]
	v_fmac_f64_e32 v[74:75], 0, v[40:41]
	v_fmac_f64_e32 v[84:85], v[44:45], v[42:43]
	v_fmac_f64_e32 v[80:81], v[46:47], v[42:43]
	v_fmac_f64_e32 v[76:77], v[8:9], v[42:43]
	v_fmac_f64_e32 v[74:75], v[10:11], v[42:43]
	v_fmac_f64_e32 v[90:91], 0x80000000, v[42:43]
	v_fmac_f64_e32 v[88:89], 0x80000000, v[42:43]
	v_fmac_f64_e32 v[78:79], 0x80000000, v[42:43]
	v_fmac_f64_e32 v[72:73], 0x80000000, v[42:43]
	global_load_dwordx4 v[40:43], v[48:49], off offset:16
	global_load_dwordx4 v[8:11], v[86:87], off offset:1136
	;; [unrolled: 1-line block ×3, first 2 shown]
	s_waitcnt vmcnt(2)
	v_fmac_f64_e32 v[90:91], v[4:5], v[40:41]
	v_fmac_f64_e32 v[84:85], 0, v[40:41]
	;; [unrolled: 1-line block ×16, first 2 shown]
	global_load_dwordx4 v[40:43], v[48:49], off offset:32
	global_load_dwordx4 v[4:7], v[86:87], off offset:1120
	global_load_dwordx4 v[0:3], v[86:87], off offset:1104
	s_waitcnt vmcnt(2)
	v_fmac_f64_e32 v[84:85], 0, v[40:41]
	v_fmac_f64_e32 v[90:91], v[36:37], v[40:41]
	;; [unrolled: 1-line block ×3, first 2 shown]
	v_subrev_u32_e32 v36, s2, v50
	v_lshlrev_b32_e32 v36, 2, v36
	v_ashrrev_i32_e32 v37, 31, v36
	v_lshlrev_b64 v[36:37], 4, v[36:37]
	v_fmac_f64_e32 v[80:81], 0, v[40:41]
	v_add_co_u32_e32 v96, vcc, s4, v36
	v_fmac_f64_e32 v[88:89], v[38:39], v[40:41]
	v_fmac_f64_e32 v[80:81], v[38:39], v[42:43]
	v_addc_co_u32_e32 v97, vcc, v57, v37, vcc
	global_load_dwordx4 v[36:39], v[48:49], off offset:48
	v_fmac_f64_e32 v[76:77], 0, v[40:41]
	v_fmac_f64_e32 v[74:75], 0, v[40:41]
	;; [unrolled: 1-line block ×10, first 2 shown]
	global_load_dwordx4 v[48:51], v[86:87], off offset:2064
	global_load_dwordx4 v[28:31], v[86:87], off offset:2096
	;; [unrolled: 1-line block ×3, first 2 shown]
	s_waitcnt vmcnt(3)
	v_fmac_f64_e32 v[76:77], 0, v[36:37]
	v_fmac_f64_e32 v[74:75], 0, v[36:37]
	v_fmac_f64_e32 v[78:79], v[12:13], v[36:37]
	v_fmac_f64_e32 v[72:73], v[14:15], v[36:37]
	v_fmac_f64_e32 v[76:77], v[12:13], v[38:39]
	v_fmac_f64_e32 v[74:75], v[14:15], v[38:39]
	global_load_dwordx4 v[12:15], v[96:97], off
	v_fmac_f64_e32 v[90:91], v[16:17], v[36:37]
	v_fmac_f64_e32 v[84:85], 0, v[36:37]
	;; [unrolled: 1-line block ×10, first 2 shown]
	global_load_dwordx4 v[16:19], v[86:87], off offset:2048
	global_load_dwordx4 v[36:39], v[86:87], off offset:2128
	s_waitcnt vmcnt(2)
	v_fmac_f64_e32 v[90:91], v[58:59], v[12:13]
	v_fmac_f64_e32 v[84:85], 0, v[12:13]
	;; [unrolled: 1-line block ×16, first 2 shown]
	global_load_dwordx4 v[12:15], v[96:97], off offset:16
	global_load_dwordx4 v[32:35], v[86:87], off offset:2160
	s_waitcnt vmcnt(1)
	v_fmac_f64_e32 v[90:91], v[24:25], v[12:13]
	v_fmac_f64_e32 v[84:85], 0, v[12:13]
	;; [unrolled: 1-line block ×16, first 2 shown]
	global_load_dwordx4 v[12:15], v[96:97], off offset:32
	global_load_dwordx4 v[20:23], v[96:97], off offset:48
	;; [unrolled: 1-line block ×3, first 2 shown]
	s_waitcnt vmcnt(2)
	v_fmac_f64_e32 v[90:91], v[92:93], v[12:13]
	v_fmac_f64_e32 v[84:85], 0, v[12:13]
	v_fmac_f64_e32 v[88:89], v[94:95], v[12:13]
	v_fmac_f64_e32 v[80:81], 0, v[12:13]
	v_fmac_f64_e32 v[78:79], v[0:1], v[12:13]
	v_fmac_f64_e32 v[76:77], 0, v[12:13]
	v_fmac_f64_e32 v[72:73], v[2:3], v[12:13]
	v_fmac_f64_e32 v[74:75], 0, v[12:13]
	v_subrev_u32_e32 v12, s2, v52
	v_subrev_u32_e32 v13, s2, v53
	v_lshlrev_b32_e32 v12, 2, v12
	v_fmac_f64_e32 v[84:85], v[92:93], v[14:15]
	v_fmac_f64_e32 v[80:81], v[94:95], v[14:15]
	;; [unrolled: 1-line block ×8, first 2 shown]
	v_lshlrev_b32_e32 v14, 2, v13
	v_ashrrev_i32_e32 v13, 31, v12
	v_lshlrev_b64 v[12:13], 4, v[12:13]
	v_add_co_u32_e32 v54, vcc, s4, v12
	v_addc_co_u32_e32 v55, vcc, v57, v13, vcc
	s_waitcnt vmcnt(1)
	v_fmac_f64_e32 v[90:91], v[4:5], v[20:21]
	v_fmac_f64_e32 v[84:85], 0, v[20:21]
	;; [unrolled: 1-line block ×16, first 2 shown]
	global_load_dwordx4 v[20:23], v[54:55], off
	global_load_dwordx4 v[58:61], v[54:55], off offset:32
	v_ashrrev_i32_e32 v15, 31, v14
	v_lshlrev_b64 v[14:15], 4, v[14:15]
	v_add_co_u32_e32 v52, vcc, s4, v14
	v_addc_co_u32_e32 v53, vcc, v57, v15, vcc
	global_load_dwordx4 v[4:7], v[86:87], off offset:3104
	global_load_dwordx4 v[12:15], v[86:87], off offset:3088
	;; [unrolled: 1-line block ×4, first 2 shown]
	s_waitcnt vmcnt(5)
	v_fmac_f64_e32 v[76:77], 0, v[20:21]
	v_fmac_f64_e32 v[74:75], 0, v[20:21]
	;; [unrolled: 1-line block ×6, first 2 shown]
	global_load_dwordx4 v[48:51], v[54:55], off offset:16
	v_fmac_f64_e32 v[90:91], v[16:17], v[20:21]
	v_fmac_f64_e32 v[84:85], 0, v[20:21]
	;; [unrolled: 1-line block ×10, first 2 shown]
	global_load_dwordx4 v[20:23], v[86:87], off offset:3152
	global_load_dwordx4 v[16:19], v[86:87], off offset:3072
	s_waitcnt vmcnt(2)
	v_fmac_f64_e32 v[90:91], v[44:45], v[48:49]
	v_fmac_f64_e32 v[84:85], 0, v[48:49]
	;; [unrolled: 1-line block ×16, first 2 shown]
	global_load_dwordx4 v[48:51], v[54:55], off offset:48
	global_load_dwordx4 v[44:47], v[52:53], off
	v_fmac_f64_e32 v[84:85], 0, v[58:59]
	v_fmac_f64_e32 v[80:81], 0, v[58:59]
	;; [unrolled: 1-line block ×6, first 2 shown]
	global_load_dwordx4 v[40:43], v[52:53], off offset:16
	v_fmac_f64_e32 v[76:77], 0, v[58:59]
	v_fmac_f64_e32 v[74:75], 0, v[58:59]
	global_load_dwordx4 v[28:31], v[86:87], off offset:3136
	v_fmac_f64_e32 v[78:79], v[36:37], v[58:59]
	v_fmac_f64_e32 v[72:73], v[38:39], v[58:59]
	;; [unrolled: 1-line block ×8, first 2 shown]
	s_waitcnt vmcnt(3)
	v_fmac_f64_e32 v[84:85], 0, v[48:49]
	v_fmac_f64_e32 v[80:81], 0, v[48:49]
	v_fmac_f64_e32 v[90:91], v[24:25], v[48:49]
	v_fmac_f64_e32 v[88:89], v[26:27], v[48:49]
	v_fmac_f64_e32 v[84:85], v[24:25], v[50:51]
	v_fmac_f64_e32 v[80:81], v[26:27], v[50:51]
	global_load_dwordx4 v[36:39], v[52:53], off offset:32
	global_load_dwordx4 v[24:27], v[52:53], off offset:48
	v_fmac_f64_e32 v[76:77], 0, v[48:49]
	v_fmac_f64_e32 v[74:75], 0, v[48:49]
	;; [unrolled: 1-line block ×6, first 2 shown]
	global_load_dwordx4 v[32:35], v[86:87], off offset:3184
	v_fmac_f64_e32 v[90:91], 0x80000000, v[50:51]
	v_fmac_f64_e32 v[88:89], 0x80000000, v[50:51]
	;; [unrolled: 1-line block ×4, first 2 shown]
	s_waitcnt vmcnt(5)
	v_fmac_f64_e32 v[90:91], v[16:17], v[44:45]
	v_fmac_f64_e32 v[84:85], 0, v[44:45]
	;; [unrolled: 1-line block ×16, first 2 shown]
	s_waitcnt vmcnt(4)
	v_fmac_f64_e32 v[90:91], v[4:5], v[40:41]
	v_fmac_f64_e32 v[84:85], 0, v[40:41]
	v_fmac_f64_e32 v[88:89], v[6:7], v[40:41]
	v_fmac_f64_e32 v[80:81], 0, v[40:41]
	v_fmac_f64_e32 v[78:79], v[0:1], v[40:41]
	v_fmac_f64_e32 v[76:77], 0, v[40:41]
	v_fmac_f64_e32 v[72:73], v[2:3], v[40:41]
	v_fmac_f64_e32 v[74:75], 0, v[40:41]
	v_fmac_f64_e32 v[90:91], 0x80000000, v[42:43]
	v_fmac_f64_e32 v[84:85], v[4:5], v[42:43]
	v_fmac_f64_e32 v[88:89], 0x80000000, v[42:43]
	v_fmac_f64_e32 v[80:81], v[6:7], v[42:43]
	v_fmac_f64_e32 v[78:79], 0x80000000, v[42:43]
	v_fmac_f64_e32 v[76:77], v[0:1], v[42:43]
	v_fmac_f64_e32 v[72:73], 0x80000000, v[42:43]
	v_fmac_f64_e32 v[74:75], v[2:3], v[42:43]
	v_add_co_u32_e32 v86, vcc, 0x1000, v86
	v_addc_co_u32_e32 v87, vcc, 0, v87, vcc
	v_cmp_ge_i32_e32 vcc, v82, v98
	s_or_b64 s[10:11], vcc, s[10:11]
	s_waitcnt vmcnt(2)
	v_fmac_f64_e32 v[90:91], v[28:29], v[36:37]
	v_fmac_f64_e32 v[84:85], 0, v[36:37]
	;; [unrolled: 1-line block ×16, first 2 shown]
	s_waitcnt vmcnt(1)
	v_fmac_f64_e32 v[90:91], v[8:9], v[24:25]
	v_fmac_f64_e32 v[84:85], 0, v[24:25]
	;; [unrolled: 1-line block ×4, first 2 shown]
	s_waitcnt vmcnt(0)
	v_fmac_f64_e32 v[78:79], v[32:33], v[24:25]
	v_fmac_f64_e32 v[76:77], 0, v[24:25]
	;; [unrolled: 1-line block ×12, first 2 shown]
	s_andn2_b64 exec, exec, s[10:11]
	s_cbranch_execnz .LBB136_35
; %bb.36:
	s_or_b64 exec, exec, s[10:11]
.LBB136_37:
	s_or_b64 exec, exec, s[0:1]
.LBB136_38:
	s_or_b64 exec, exec, s[8:9]
.LBB136_39:
	v_mov_b32_dpp v0, v90 row_shr:1 row_mask:0xf bank_mask:0xf
	v_mov_b32_dpp v1, v91 row_shr:1 row_mask:0xf bank_mask:0xf
	;; [unrolled: 1-line block ×16, first 2 shown]
	v_add_f64 v[0:1], v[90:91], v[0:1]
	v_add_f64 v[4:5], v[84:85], v[4:5]
	;; [unrolled: 1-line block ×8, first 2 shown]
	v_mov_b32_dpp v2, v0 row_shr:2 row_mask:0xf bank_mask:0xf
	v_mov_b32_dpp v3, v1 row_shr:2 row_mask:0xf bank_mask:0xf
	;; [unrolled: 1-line block ×16, first 2 shown]
	v_add_f64 v[0:1], v[0:1], v[2:3]
	v_add_f64 v[4:5], v[4:5], v[6:7]
	;; [unrolled: 1-line block ×8, first 2 shown]
	v_mov_b32_dpp v2, v0 row_shr:4 row_mask:0xf bank_mask:0xe
	v_mov_b32_dpp v3, v1 row_shr:4 row_mask:0xf bank_mask:0xe
	;; [unrolled: 1-line block ×16, first 2 shown]
	v_cmp_eq_u32_e32 vcc, 7, v71
	s_and_b64 exec, exec, vcc
	s_cbranch_execz .LBB136_12
; %bb.40:
	s_load_dwordx2 s[2:3], s[6:7], 0x60
	v_add_f64 v[32:33], v[0:1], v[2:3]
	v_add_f64 v[0:1], v[4:5], v[6:7]
	;; [unrolled: 1-line block ×8, first 2 shown]
	v_cmp_eq_f64_e32 vcc, 0, v[62:63]
	v_cmp_eq_f64_e64 s[0:1], 0, v[64:65]
	v_mul_f64 v[12:13], v[0:1], -v[68:69]
	v_mul_f64 v[14:15], v[66:67], v[0:1]
	v_mul_f64 v[8:9], v[2:3], -v[68:69]
	v_mul_f64 v[10:11], v[66:67], v[2:3]
	;; [unrolled: 2-line block ×4, first 2 shown]
	s_and_b64 s[0:1], vcc, s[0:1]
	v_fmac_f64_e32 v[12:13], v[66:67], v[32:33]
	v_fmac_f64_e32 v[14:15], v[68:69], v[32:33]
	v_lshlrev_b32_e32 v16, 2, v70
	v_fmac_f64_e32 v[8:9], v[66:67], v[34:35]
	v_fmac_f64_e32 v[10:11], v[68:69], v[34:35]
	;; [unrolled: 1-line block ×6, first 2 shown]
	s_and_saveexec_b64 s[4:5], s[0:1]
	s_xor_b64 s[0:1], exec, s[4:5]
	s_cbranch_execz .LBB136_42
; %bb.41:
	v_ashrrev_i32_e32 v17, 31, v16
	v_lshlrev_b64 v[16:17], 4, v[16:17]
	s_waitcnt lgkmcnt(0)
	v_mov_b32_e32 v18, s3
	v_add_co_u32_e32 v16, vcc, s2, v16
	v_addc_co_u32_e32 v17, vcc, v18, v17, vcc
	global_store_dwordx4 v[16:17], v[12:15], off
	global_store_dwordx4 v[16:17], v[8:11], off offset:16
	global_store_dwordx4 v[16:17], v[4:7], off offset:32
	;; [unrolled: 1-line block ×3, first 2 shown]
                                        ; implicit-def: $vgpr62_vgpr63
                                        ; implicit-def: $vgpr64_vgpr65
                                        ; implicit-def: $vgpr12_vgpr13
                                        ; implicit-def: $vgpr16
                                        ; implicit-def: $vgpr8_vgpr9
                                        ; implicit-def: $vgpr4_vgpr5
                                        ; implicit-def: $vgpr0_vgpr1
.LBB136_42:
	s_andn2_saveexec_b64 s[0:1], s[0:1]
	s_cbranch_execz .LBB136_12
; %bb.43:
	v_ashrrev_i32_e32 v17, 31, v16
	v_lshlrev_b64 v[16:17], 4, v[16:17]
	s_waitcnt lgkmcnt(0)
	v_mov_b32_e32 v18, s3
	v_add_co_u32_e32 v32, vcc, s2, v16
	v_addc_co_u32_e32 v33, vcc, v18, v17, vcc
	global_load_dwordx4 v[16:19], v[32:33], off
	global_load_dwordx4 v[20:23], v[32:33], off offset:16
	global_load_dwordx4 v[24:27], v[32:33], off offset:32
	;; [unrolled: 1-line block ×3, first 2 shown]
	s_waitcnt vmcnt(3)
	v_fmac_f64_e32 v[12:13], v[62:63], v[16:17]
	v_fmac_f64_e32 v[14:15], v[64:65], v[16:17]
	s_waitcnt vmcnt(2)
	v_fmac_f64_e32 v[8:9], v[62:63], v[20:21]
	v_fmac_f64_e32 v[10:11], v[64:65], v[20:21]
	;; [unrolled: 3-line block ×4, first 2 shown]
	v_fma_f64 v[12:13], -v[64:65], v[18:19], v[12:13]
	v_fmac_f64_e32 v[14:15], v[62:63], v[18:19]
	v_fma_f64 v[8:9], -v[64:65], v[22:23], v[8:9]
	v_fmac_f64_e32 v[10:11], v[62:63], v[22:23]
	;; [unrolled: 2-line block ×4, first 2 shown]
	global_store_dwordx4 v[32:33], v[12:15], off
	global_store_dwordx4 v[32:33], v[8:11], off offset:16
	global_store_dwordx4 v[32:33], v[4:7], off offset:32
	;; [unrolled: 1-line block ×3, first 2 shown]
	s_endpgm
	.section	.rodata,"a",@progbits
	.p2align	6, 0x0
	.amdhsa_kernel _ZN9rocsparseL18bsrxmvn_4x4_kernelILj128ELj8E21rocsparse_complex_numIdEiidS2_S2_EEvT3_20rocsparse_direction_NS_24const_host_device_scalarIT1_EES3_PKS3_PKT2_SC_S9_PKT4_PKT5_S7_PT6_21rocsparse_index_base_b
		.amdhsa_group_segment_fixed_size 2048
		.amdhsa_private_segment_fixed_size 0
		.amdhsa_kernarg_size 112
		.amdhsa_user_sgpr_count 8
		.amdhsa_user_sgpr_private_segment_buffer 1
		.amdhsa_user_sgpr_dispatch_ptr 1
		.amdhsa_user_sgpr_queue_ptr 0
		.amdhsa_user_sgpr_kernarg_segment_ptr 1
		.amdhsa_user_sgpr_dispatch_id 0
		.amdhsa_user_sgpr_flat_scratch_init 0
		.amdhsa_user_sgpr_kernarg_preload_length 0
		.amdhsa_user_sgpr_kernarg_preload_offset 0
		.amdhsa_user_sgpr_private_segment_size 0
		.amdhsa_uses_dynamic_stack 0
		.amdhsa_system_sgpr_private_segment_wavefront_offset 0
		.amdhsa_system_sgpr_workgroup_id_x 1
		.amdhsa_system_sgpr_workgroup_id_y 0
		.amdhsa_system_sgpr_workgroup_id_z 0
		.amdhsa_system_sgpr_workgroup_info 0
		.amdhsa_system_vgpr_workitem_id 2
		.amdhsa_next_free_vgpr 110
		.amdhsa_next_free_sgpr 22
		.amdhsa_accum_offset 112
		.amdhsa_reserve_vcc 1
		.amdhsa_reserve_flat_scratch 0
		.amdhsa_float_round_mode_32 0
		.amdhsa_float_round_mode_16_64 0
		.amdhsa_float_denorm_mode_32 3
		.amdhsa_float_denorm_mode_16_64 3
		.amdhsa_dx10_clamp 1
		.amdhsa_ieee_mode 1
		.amdhsa_fp16_overflow 0
		.amdhsa_tg_split 0
		.amdhsa_exception_fp_ieee_invalid_op 0
		.amdhsa_exception_fp_denorm_src 0
		.amdhsa_exception_fp_ieee_div_zero 0
		.amdhsa_exception_fp_ieee_overflow 0
		.amdhsa_exception_fp_ieee_underflow 0
		.amdhsa_exception_fp_ieee_inexact 0
		.amdhsa_exception_int_div_zero 0
	.end_amdhsa_kernel
	.section	.text._ZN9rocsparseL18bsrxmvn_4x4_kernelILj128ELj8E21rocsparse_complex_numIdEiidS2_S2_EEvT3_20rocsparse_direction_NS_24const_host_device_scalarIT1_EES3_PKS3_PKT2_SC_S9_PKT4_PKT5_S7_PT6_21rocsparse_index_base_b,"axG",@progbits,_ZN9rocsparseL18bsrxmvn_4x4_kernelILj128ELj8E21rocsparse_complex_numIdEiidS2_S2_EEvT3_20rocsparse_direction_NS_24const_host_device_scalarIT1_EES3_PKS3_PKT2_SC_S9_PKT4_PKT5_S7_PT6_21rocsparse_index_base_b,comdat
.Lfunc_end136:
	.size	_ZN9rocsparseL18bsrxmvn_4x4_kernelILj128ELj8E21rocsparse_complex_numIdEiidS2_S2_EEvT3_20rocsparse_direction_NS_24const_host_device_scalarIT1_EES3_PKS3_PKT2_SC_S9_PKT4_PKT5_S7_PT6_21rocsparse_index_base_b, .Lfunc_end136-_ZN9rocsparseL18bsrxmvn_4x4_kernelILj128ELj8E21rocsparse_complex_numIdEiidS2_S2_EEvT3_20rocsparse_direction_NS_24const_host_device_scalarIT1_EES3_PKS3_PKT2_SC_S9_PKT4_PKT5_S7_PT6_21rocsparse_index_base_b
                                        ; -- End function
	.section	.AMDGPU.csdata,"",@progbits
; Kernel info:
; codeLenInByte = 7236
; NumSgprs: 26
; NumVgprs: 110
; NumAgprs: 0
; TotalNumVgprs: 110
; ScratchSize: 0
; MemoryBound: 0
; FloatMode: 240
; IeeeMode: 1
; LDSByteSize: 2048 bytes/workgroup (compile time only)
; SGPRBlocks: 3
; VGPRBlocks: 13
; NumSGPRsForWavesPerEU: 26
; NumVGPRsForWavesPerEU: 110
; AccumOffset: 112
; Occupancy: 4
; WaveLimiterHint : 1
; COMPUTE_PGM_RSRC2:SCRATCH_EN: 0
; COMPUTE_PGM_RSRC2:USER_SGPR: 8
; COMPUTE_PGM_RSRC2:TRAP_HANDLER: 0
; COMPUTE_PGM_RSRC2:TGID_X_EN: 1
; COMPUTE_PGM_RSRC2:TGID_Y_EN: 0
; COMPUTE_PGM_RSRC2:TGID_Z_EN: 0
; COMPUTE_PGM_RSRC2:TIDIG_COMP_CNT: 2
; COMPUTE_PGM_RSRC3_GFX90A:ACCUM_OFFSET: 27
; COMPUTE_PGM_RSRC3_GFX90A:TG_SPLIT: 0
	.section	.text._ZN9rocsparseL18bsrxmvn_4x4_kernelILj128ELj16E21rocsparse_complex_numIdEiidS2_S2_EEvT3_20rocsparse_direction_NS_24const_host_device_scalarIT1_EES3_PKS3_PKT2_SC_S9_PKT4_PKT5_S7_PT6_21rocsparse_index_base_b,"axG",@progbits,_ZN9rocsparseL18bsrxmvn_4x4_kernelILj128ELj16E21rocsparse_complex_numIdEiidS2_S2_EEvT3_20rocsparse_direction_NS_24const_host_device_scalarIT1_EES3_PKS3_PKT2_SC_S9_PKT4_PKT5_S7_PT6_21rocsparse_index_base_b,comdat
	.globl	_ZN9rocsparseL18bsrxmvn_4x4_kernelILj128ELj16E21rocsparse_complex_numIdEiidS2_S2_EEvT3_20rocsparse_direction_NS_24const_host_device_scalarIT1_EES3_PKS3_PKT2_SC_S9_PKT4_PKT5_S7_PT6_21rocsparse_index_base_b ; -- Begin function _ZN9rocsparseL18bsrxmvn_4x4_kernelILj128ELj16E21rocsparse_complex_numIdEiidS2_S2_EEvT3_20rocsparse_direction_NS_24const_host_device_scalarIT1_EES3_PKS3_PKT2_SC_S9_PKT4_PKT5_S7_PT6_21rocsparse_index_base_b
	.p2align	8
	.type	_ZN9rocsparseL18bsrxmvn_4x4_kernelILj128ELj16E21rocsparse_complex_numIdEiidS2_S2_EEvT3_20rocsparse_direction_NS_24const_host_device_scalarIT1_EES3_PKS3_PKT2_SC_S9_PKT4_PKT5_S7_PT6_21rocsparse_index_base_b,@function
_ZN9rocsparseL18bsrxmvn_4x4_kernelILj128ELj16E21rocsparse_complex_numIdEiidS2_S2_EEvT3_20rocsparse_direction_NS_24const_host_device_scalarIT1_EES3_PKS3_PKT2_SC_S9_PKT4_PKT5_S7_PT6_21rocsparse_index_base_b: ; @_ZN9rocsparseL18bsrxmvn_4x4_kernelILj128ELj16E21rocsparse_complex_numIdEiidS2_S2_EEvT3_20rocsparse_direction_NS_24const_host_device_scalarIT1_EES3_PKS3_PKT2_SC_S9_PKT4_PKT5_S7_PT6_21rocsparse_index_base_b
; %bb.0:
	s_load_dwordx2 s[2:3], s[6:7], 0x68
	s_load_dwordx4 s[12:15], s[6:7], 0x8
	s_load_dwordx2 s[20:21], s[4:5], 0x4
	s_load_dwordx4 s[16:19], s[6:7], 0x50
	s_mov_b64 s[10:11], src_shared_base
	v_bfe_u32 v2, v0, 10, 10
	s_waitcnt lgkmcnt(0)
	s_bitcmp1_b32 s3, 0
	s_cselect_b64 s[0:1], -1, 0
	s_and_b64 vcc, s[0:1], exec
	s_cselect_b32 s3, s11, s13
	s_lshr_b32 s4, s20, 16
	v_and_b32_e32 v1, 0x3ff, v0
	s_mul_i32 s4, s4, s21
	v_mul_u32_u24_e32 v2, s21, v2
	v_mad_u32_u24 v2, s4, v1, v2
	v_bfe_u32 v0, v0, 20, 10
	v_add_lshl_u32 v0, v2, v0, 3
	v_mov_b32_e32 v6, s12
	v_add_u32_e32 v7, 0x400, v0
	v_pk_mov_b32 v[2:3], s[12:13], s[12:13] op_sel:[0,1]
	v_pk_mov_b32 v[4:5], s[16:17], s[16:17] op_sel:[0,1]
	ds_write2st64_b64 v0, v[4:5], v[2:3] offset1:2
	v_cndmask_b32_e64 v2, v6, v7, s[0:1]
	v_mov_b32_e32 v3, s3
	flat_load_dwordx2 v[64:65], v[2:3]
	s_xor_b64 s[4:5], s[0:1], -1
	v_pk_mov_b32 v[66:67], s[14:15], s[14:15] op_sel:[0,1]
	s_cbranch_vccnz .LBB137_2
; %bb.1:
	v_pk_mov_b32 v[2:3], s[12:13], s[12:13] op_sel:[0,1]
	flat_load_dwordx2 v[66:67], v[2:3] offset:8
.LBB137_2:
	s_and_b64 s[12:13], s[0:1], exec
	s_cselect_b32 s3, s11, s17
	v_mov_b32_e32 v2, s16
	v_cndmask_b32_e64 v2, v2, v0, s[0:1]
	v_mov_b32_e32 v3, s3
	flat_load_dwordx2 v[60:61], v[2:3]
	s_andn2_b64 vcc, exec, s[4:5]
	v_pk_mov_b32 v[62:63], s[18:19], s[18:19] op_sel:[0,1]
	s_cbranch_vccnz .LBB137_4
; %bb.3:
	v_pk_mov_b32 v[2:3], s[16:17], s[16:17] op_sel:[0,1]
	flat_load_dwordx2 v[62:63], v[2:3] offset:8
.LBB137_4:
	s_waitcnt vmcnt(0) lgkmcnt(0)
	v_cmp_eq_f64_e32 vcc, 0, v[64:65]
	v_cmp_eq_f64_e64 s[0:1], 0, v[66:67]
	s_and_b64 s[10:11], vcc, s[0:1]
	s_mov_b64 s[0:1], -1
	s_and_saveexec_b64 s[4:5], s[10:11]
; %bb.5:
	v_cmp_neq_f64_e32 vcc, 1.0, v[60:61]
	v_cmp_neq_f64_e64 s[0:1], 0, v[62:63]
	s_or_b64 s[0:1], vcc, s[0:1]
	s_orn2_b64 s[0:1], s[0:1], exec
; %bb.6:
	s_or_b64 exec, exec, s[4:5]
	s_and_saveexec_b64 s[4:5], s[0:1]
	s_cbranch_execz .LBB137_12
; %bb.7:
	s_load_dwordx2 s[10:11], s[6:7], 0x20
	s_load_dwordx2 s[0:1], s[6:7], 0x0
	v_lshrrev_b32_e32 v0, 4, v1
	v_lshl_or_b32 v68, s8, 3, v0
	s_mov_b64 s[4:5], 0
	s_waitcnt lgkmcnt(0)
	s_cmp_lg_u64 s[10:11], 0
	s_cbranch_scc0 .LBB137_13
; %bb.8:
	s_load_dword s3, s[6:7], 0x18
                                        ; implicit-def: $vgpr0
	s_waitcnt lgkmcnt(0)
	v_cmp_gt_i32_e32 vcc, s3, v68
	s_and_saveexec_b64 s[8:9], vcc
	s_xor_b64 s[8:9], exec, s[8:9]
	s_cbranch_execz .LBB137_10
; %bb.9:
	v_ashrrev_i32_e32 v69, 31, v68
	v_lshlrev_b64 v[2:3], 2, v[68:69]
	v_mov_b32_e32 v0, s11
	v_add_co_u32_e32 v2, vcc, s10, v2
	v_addc_co_u32_e32 v3, vcc, v0, v3, vcc
	global_load_dword v0, v[2:3], off
	s_mov_b64 s[4:5], exec
	s_waitcnt vmcnt(0)
	v_subrev_u32_e32 v0, s2, v0
.LBB137_10:
	s_or_b64 exec, exec, s[8:9]
	s_branch .LBB137_14
.LBB137_11:
	v_cmp_gt_i32_e32 vcc, s0, v68
	s_andn2_b64 s[4:5], s[4:5], exec
	s_and_b64 s[8:9], vcc, exec
	s_or_b64 s[4:5], s[4:5], s[8:9]
	s_and_b64 exec, exec, s[4:5]
	s_cbranch_execnz .LBB137_15
.LBB137_12:
	s_endpgm
.LBB137_13:
                                        ; implicit-def: $vgpr0
	s_cbranch_execnz .LBB137_11
.LBB137_14:
	v_mov_b32_e32 v68, v0
	s_and_b64 exec, exec, s[4:5]
	s_cbranch_execz .LBB137_12
.LBB137_15:
	s_load_dwordx8 s[8:15], s[6:7], 0x28
	v_ashrrev_i32_e32 v69, 31, v68
	v_lshlrev_b64 v[2:3], 2, v[68:69]
	v_and_b32_e32 v69, 15, v1
	s_load_dwordx2 s[4:5], s[6:7], 0x48
	s_waitcnt lgkmcnt(0)
	v_mov_b32_e32 v0, s9
	v_add_co_u32_e32 v4, vcc, s8, v2
	v_addc_co_u32_e32 v5, vcc, v0, v3, vcc
	v_add_co_u32_e32 v0, vcc, 4, v4
	global_load_dword v95, v[4:5], off
	v_addc_co_u32_e32 v4, vcc, 0, v5, vcc
	v_mov_b32_e32 v5, s11
	v_add_co_u32_e32 v2, vcc, s10, v2
	s_cmp_eq_u64 s[10:11], 0
	v_addc_co_u32_e32 v3, vcc, v5, v3, vcc
	s_cselect_b64 vcc, -1, 0
	v_cndmask_b32_e32 v3, v3, v4, vcc
	v_cndmask_b32_e32 v2, v2, v0, vcc
	global_load_dword v0, v[2:3], off
	v_mov_b32_e32 v2, s15
	s_cmp_eq_u32 s1, 1
	s_waitcnt vmcnt(1)
	v_subrev_u32_e32 v1, s2, v95
	v_add_u32_e32 v82, v1, v69
	v_ashrrev_i32_e32 v83, 31, v82
	s_waitcnt vmcnt(0)
	v_subrev_u32_e32 v94, s2, v0
	v_lshlrev_b64 v[0:1], 7, v[82:83]
	v_add_co_u32_e32 v84, vcc, s14, v0
	v_addc_co_u32_e32 v85, vcc, v2, v1, vcc
	v_cmp_lt_i32_e64 s[0:1], v82, v94
	s_cbranch_scc1 .LBB137_27
; %bb.16:
	v_pk_mov_b32 v[80:81], 0, 0
	s_mov_b64 s[8:9], 0
	v_pk_mov_b32 v[88:89], v[80:81], v[80:81] op_sel:[0,1]
	v_pk_mov_b32 v[78:79], v[80:81], v[80:81] op_sel:[0,1]
	;; [unrolled: 1-line block ×7, first 2 shown]
	s_and_saveexec_b64 s[10:11], s[0:1]
	s_cbranch_execz .LBB137_26
; %bb.17:
	v_add_u32_e32 v0, v95, v69
	v_subrev_u32_e32 v0, s2, v0
	v_add_u32_e32 v0, 16, v0
	v_max_i32_e32 v0, v0, v94
	v_not_b32_e32 v1, v95
	v_add3_u32 v0, v0, s2, v1
	v_sub_u32_e32 v0, v0, v69
	v_lshrrev_b32_e32 v1, 4, v0
	v_add_u32_e32 v1, 1, v1
	v_and_b32_e32 v1, 3, v1
	v_pk_mov_b32 v[72:73], 0, 0
	v_cmp_ne_u32_e32 vcc, 0, v1
	v_pk_mov_b32 v[70:71], v[72:73], v[72:73] op_sel:[0,1]
	v_pk_mov_b32 v[76:77], v[72:73], v[72:73] op_sel:[0,1]
	;; [unrolled: 1-line block ×8, first 2 shown]
	v_mov_b32_e32 v90, v82
	s_and_saveexec_b64 s[14:15], vcc
	s_cbranch_execz .LBB137_21
; %bb.18:
	v_pk_mov_b32 v[80:81], 0, 0
	v_lshlrev_b32_e32 v1, 7, v1
	s_mov_b64 s[16:17], 0
	v_mov_b32_e32 v2, s13
	v_mov_b32_e32 v3, s5
	v_mov_b32_e32 v90, v82
	v_pk_mov_b32 v[92:93], v[84:85], v[84:85] op_sel:[0,1]
	v_pk_mov_b32 v[88:89], v[80:81], v[80:81] op_sel:[0,1]
	;; [unrolled: 1-line block ×8, first 2 shown]
.LBB137_19:                             ; =>This Inner Loop Header: Depth=1
	v_ashrrev_i32_e32 v91, 31, v90
	v_lshlrev_b64 v[4:5], 2, v[90:91]
	v_add_co_u32_e32 v36, vcc, s12, v4
	v_addc_co_u32_e32 v37, vcc, v2, v5, vcc
	global_load_dword v38, v[36:37], off
	global_load_dwordx4 v[4:7], v[92:93], off offset:48
	global_load_dwordx4 v[8:11], v[92:93], off offset:32
	;; [unrolled: 1-line block ×3, first 2 shown]
	global_load_dwordx4 v[16:19], v[92:93], off
	global_load_dwordx4 v[20:23], v[92:93], off offset:112
	global_load_dwordx4 v[24:27], v[92:93], off offset:96
	;; [unrolled: 1-line block ×4, first 2 shown]
	v_add_u32_e32 v1, 0xffffff80, v1
	v_add_u32_e32 v90, 16, v90
	s_waitcnt vmcnt(8)
	v_subrev_u32_e32 v36, s2, v38
	v_lshlrev_b32_e32 v36, 2, v36
	v_ashrrev_i32_e32 v37, 31, v36
	v_lshlrev_b64 v[36:37], 4, v[36:37]
	v_add_co_u32_e32 v52, vcc, s4, v36
	v_addc_co_u32_e32 v53, vcc, v3, v37, vcc
	global_load_dwordx4 v[36:39], v[52:53], off
	global_load_dwordx4 v[40:43], v[52:53], off offset:16
	global_load_dwordx4 v[44:47], v[52:53], off offset:32
	global_load_dwordx4 v[48:51], v[52:53], off offset:48
	v_add_co_u32_e32 v92, vcc, 0x800, v92
	v_addc_co_u32_e32 v93, vcc, 0, v93, vcc
	v_cmp_eq_u32_e32 vcc, 0, v1
	s_or_b64 s[16:17], vcc, s[16:17]
	s_waitcnt vmcnt(3)
	v_fmac_f64_e32 v[88:89], v[16:17], v[36:37]
	v_fmac_f64_e32 v[80:81], 0, v[36:37]
	v_fmac_f64_e32 v[86:87], v[8:9], v[36:37]
	v_fmac_f64_e32 v[78:79], 0, v[36:37]
	v_fmac_f64_e32 v[76:77], v[28:29], v[36:37]
	v_fmac_f64_e32 v[74:75], 0, v[36:37]
	v_fmac_f64_e32 v[72:73], v[24:25], v[36:37]
	v_fmac_f64_e32 v[70:71], 0, v[36:37]
	v_fmac_f64_e32 v[88:89], 0x80000000, v[38:39]
	v_fmac_f64_e32 v[80:81], v[16:17], v[38:39]
	v_fmac_f64_e32 v[86:87], 0x80000000, v[38:39]
	v_fmac_f64_e32 v[78:79], v[8:9], v[38:39]
	v_fmac_f64_e32 v[76:77], 0x80000000, v[38:39]
	v_fmac_f64_e32 v[74:75], v[28:29], v[38:39]
	v_fmac_f64_e32 v[72:73], 0x80000000, v[38:39]
	v_fmac_f64_e32 v[70:71], v[24:25], v[38:39]
	s_waitcnt vmcnt(2)
	v_fmac_f64_e32 v[88:89], v[18:19], v[40:41]
	v_fmac_f64_e32 v[80:81], 0, v[40:41]
	v_fmac_f64_e32 v[86:87], v[10:11], v[40:41]
	v_fmac_f64_e32 v[78:79], 0, v[40:41]
	v_fmac_f64_e32 v[76:77], v[30:31], v[40:41]
	v_fmac_f64_e32 v[74:75], 0, v[40:41]
	v_fmac_f64_e32 v[72:73], v[26:27], v[40:41]
	v_fmac_f64_e32 v[70:71], 0, v[40:41]
	v_fmac_f64_e32 v[80:81], v[18:19], v[42:43]
	v_fmac_f64_e32 v[78:79], v[10:11], v[42:43]
	v_fmac_f64_e32 v[88:89], 0x80000000, v[42:43]
	v_fmac_f64_e32 v[86:87], 0x80000000, v[42:43]
	v_fmac_f64_e32 v[76:77], 0x80000000, v[42:43]
	v_fmac_f64_e32 v[74:75], v[30:31], v[42:43]
	v_fmac_f64_e32 v[72:73], 0x80000000, v[42:43]
	v_fmac_f64_e32 v[70:71], v[26:27], v[42:43]
	;; [unrolled: 17-line block ×4, first 2 shown]
	s_andn2_b64 exec, exec, s[16:17]
	s_cbranch_execnz .LBB137_19
; %bb.20:
	s_or_b64 exec, exec, s[16:17]
.LBB137_21:
	s_or_b64 exec, exec, s[14:15]
	v_cmp_lt_u32_e32 vcc, 47, v0
	s_and_saveexec_b64 s[14:15], vcc
	s_cbranch_execz .LBB137_25
; %bb.22:
	s_mov_b64 s[16:17], 0
	v_mov_b32_e32 v83, s13
	v_mov_b32_e32 v96, s5
	s_movk_i32 s3, 0x1000
.LBB137_23:                             ; =>This Inner Loop Header: Depth=1
	v_ashrrev_i32_e32 v91, 31, v90
	v_lshlrev_b64 v[44:45], 2, v[90:91]
	v_add_co_u32_e32 v54, vcc, s12, v44
	v_addc_co_u32_e32 v55, vcc, v83, v45, vcc
	global_load_dwordx4 v[0:3], v[92:93], off offset:48
	global_load_dwordx4 v[40:43], v[92:93], off offset:32
	;; [unrolled: 1-line block ×3, first 2 shown]
	global_load_dwordx4 v[50:53], v[92:93], off
	global_load_dwordx4 v[8:11], v[92:93], off offset:112
	global_load_dwordx4 v[24:27], v[92:93], off offset:96
	;; [unrolled: 1-line block ×9, first 2 shown]
	global_load_dword v44, v[54:55], off
	v_add_u32_e32 v90, 64, v90
	s_waitcnt vmcnt(0)
	v_subrev_u32_e32 v44, s2, v44
	v_lshlrev_b32_e32 v44, 2, v44
	v_ashrrev_i32_e32 v45, 31, v44
	v_lshlrev_b64 v[44:45], 4, v[44:45]
	v_add_co_u32_e32 v56, vcc, s4, v44
	v_addc_co_u32_e32 v57, vcc, v96, v45, vcc
	global_load_dwordx4 v[98:101], v[56:57], off
	v_add_co_u32_e32 v110, vcc, s3, v92
	v_addc_co_u32_e32 v111, vcc, 0, v93, vcc
	global_load_dwordx4 v[102:105], v[110:111], off offset:48
	global_load_dwordx4 v[106:109], v[110:111], off offset:16
	s_waitcnt vmcnt(2)
	v_fmac_f64_e32 v[74:75], 0, v[98:99]
	v_fmac_f64_e32 v[76:77], v[46:47], v[98:99]
	;; [unrolled: 1-line block ×3, first 2 shown]
	global_load_dwordx4 v[44:47], v[56:57], off offset:16
	v_fmac_f64_e32 v[70:71], 0, v[98:99]
	v_fmac_f64_e32 v[72:73], v[24:25], v[98:99]
	;; [unrolled: 1-line block ×13, first 2 shown]
	global_load_dwordx4 v[98:101], v[92:93], off offset:2112
	s_waitcnt vmcnt(1)
	v_fmac_f64_e32 v[70:71], 0, v[44:45]
	v_fmac_f64_e32 v[72:73], v[26:27], v[44:45]
	;; [unrolled: 1-line block ×3, first 2 shown]
	global_load_dwordx4 v[24:27], v[56:57], off offset:32
	v_fmac_f64_e32 v[78:79], 0, v[44:45]
	v_fmac_f64_e32 v[86:87], v[42:43], v[44:45]
	v_fmac_f64_e32 v[78:79], v[42:43], v[46:47]
	v_fmac_f64_e32 v[86:87], 0x80000000, v[46:47]
	v_fmac_f64_e32 v[88:89], v[52:53], v[44:45]
	v_fmac_f64_e32 v[80:81], 0, v[44:45]
	v_fmac_f64_e32 v[76:77], v[48:49], v[44:45]
	v_fmac_f64_e32 v[74:75], 0, v[44:45]
	v_fmac_f64_e32 v[80:81], v[52:53], v[46:47]
	v_fmac_f64_e32 v[74:75], v[48:49], v[46:47]
	v_fmac_f64_e32 v[88:89], 0x80000000, v[46:47]
	v_fmac_f64_e32 v[76:77], 0x80000000, v[46:47]
	v_fmac_f64_e32 v[72:73], 0x80000000, v[46:47]
	global_load_dwordx4 v[50:53], v[92:93], off offset:2144
	global_load_dwordx4 v[40:43], v[92:93], off offset:2128
	;; [unrolled: 1-line block ×3, first 2 shown]
	s_waitcnt vmcnt(3)
	v_fmac_f64_e32 v[78:79], 0, v[24:25]
	v_fmac_f64_e32 v[86:87], v[0:1], v[24:25]
	;; [unrolled: 1-line block ×3, first 2 shown]
	global_load_dword v0, v[54:55], off offset:64
	v_fmac_f64_e32 v[88:89], v[4:5], v[24:25]
	v_fmac_f64_e32 v[80:81], 0, v[24:25]
	;; [unrolled: 1-line block ×13, first 2 shown]
	global_load_dwordx4 v[24:27], v[56:57], off offset:48
	s_waitcnt vmcnt(1)
	v_subrev_u32_e32 v0, s2, v0
	v_lshlrev_b32_e32 v0, 2, v0
	v_ashrrev_i32_e32 v1, 31, v0
	v_lshlrev_b64 v[0:1], 4, v[0:1]
	v_add_co_u32_e32 v12, vcc, s4, v0
	v_addc_co_u32_e32 v13, vcc, v96, v1, vcc
	global_load_dwordx4 v[56:59], v[110:111], off
	s_waitcnt vmcnt(1)
	v_fmac_f64_e32 v[78:79], 0, v[24:25]
	v_fmac_f64_e32 v[86:87], v[2:3], v[24:25]
	;; [unrolled: 1-line block ×3, first 2 shown]
	global_load_dwordx4 v[0:3], v[12:13], off
	v_fmac_f64_e32 v[70:71], 0, v[24:25]
	v_fmac_f64_e32 v[72:73], v[10:11], v[24:25]
	;; [unrolled: 1-line block ×3, first 2 shown]
	global_load_dwordx4 v[8:11], v[12:13], off offset:16
	v_fmac_f64_e32 v[88:89], v[6:7], v[24:25]
	v_fmac_f64_e32 v[80:81], 0, v[24:25]
	;; [unrolled: 1-line block ×10, first 2 shown]
	global_load_dwordx4 v[4:7], v[110:111], off offset:112
	global_load_dwordx4 v[24:27], v[110:111], off offset:80
	s_waitcnt vmcnt(3)
	v_fmac_f64_e32 v[88:89], v[32:33], v[0:1]
	v_fmac_f64_e32 v[80:81], 0, v[0:1]
	;; [unrolled: 1-line block ×16, first 2 shown]
	s_waitcnt vmcnt(2)
	v_fmac_f64_e32 v[88:89], v[34:35], v[8:9]
	v_fmac_f64_e32 v[80:81], 0, v[8:9]
	;; [unrolled: 1-line block ×10, first 2 shown]
	global_load_dwordx4 v[28:31], v[110:111], off offset:2048
	v_fmac_f64_e32 v[74:75], v[100:101], v[10:11]
	v_fmac_f64_e32 v[70:71], v[52:53], v[10:11]
	v_fmac_f64_e32 v[88:89], 0x80000000, v[10:11]
	v_fmac_f64_e32 v[86:87], 0x80000000, v[10:11]
	v_fmac_f64_e32 v[76:77], 0x80000000, v[10:11]
	v_fmac_f64_e32 v[72:73], 0x80000000, v[10:11]
	global_load_dwordx4 v[8:11], v[12:13], off offset:32
	global_load_dwordx4 v[48:51], v[110:111], off offset:96
	;; [unrolled: 1-line block ×5, first 2 shown]
	s_waitcnt vmcnt(4)
	v_fmac_f64_e32 v[88:89], v[20:21], v[8:9]
	v_fmac_f64_e32 v[80:81], 0, v[8:9]
	v_fmac_f64_e32 v[86:87], v[16:17], v[8:9]
	v_fmac_f64_e32 v[78:79], 0, v[8:9]
	v_fmac_f64_e32 v[76:77], v[40:41], v[8:9]
	v_fmac_f64_e32 v[74:75], 0, v[8:9]
	v_fmac_f64_e32 v[72:73], v[36:37], v[8:9]
	v_fmac_f64_e32 v[70:71], 0, v[8:9]
	global_load_dword v8, v[54:55], off offset:128
	v_fmac_f64_e32 v[78:79], v[16:17], v[10:11]
	global_load_dwordx4 v[14:17], v[12:13], off offset:48
	v_fmac_f64_e32 v[88:89], 0x80000000, v[10:11]
	v_fmac_f64_e32 v[80:81], v[20:21], v[10:11]
	;; [unrolled: 1-line block ×7, first 2 shown]
	s_waitcnt vmcnt(1)
	v_subrev_u32_e32 v8, s2, v8
	v_lshlrev_b32_e32 v8, 2, v8
	v_ashrrev_i32_e32 v9, 31, v8
	v_lshlrev_b64 v[8:9], 4, v[8:9]
	v_add_co_u32_e32 v52, vcc, s4, v8
	v_addc_co_u32_e32 v53, vcc, v96, v9, vcc
	s_waitcnt vmcnt(0)
	v_fmac_f64_e32 v[88:89], v[22:23], v[14:15]
	v_fmac_f64_e32 v[80:81], 0, v[14:15]
	v_fmac_f64_e32 v[86:87], v[18:19], v[14:15]
	v_fmac_f64_e32 v[78:79], 0, v[14:15]
	v_fmac_f64_e32 v[76:77], v[42:43], v[14:15]
	v_fmac_f64_e32 v[74:75], 0, v[14:15]
	v_fmac_f64_e32 v[72:73], v[38:39], v[14:15]
	v_fmac_f64_e32 v[70:71], 0, v[14:15]
	v_fmac_f64_e32 v[80:81], v[22:23], v[16:17]
	v_fmac_f64_e32 v[78:79], v[18:19], v[16:17]
	v_fmac_f64_e32 v[74:75], v[42:43], v[16:17]
	v_fmac_f64_e32 v[70:71], v[38:39], v[16:17]
	v_fmac_f64_e32 v[88:89], 0x80000000, v[16:17]
	v_fmac_f64_e32 v[86:87], 0x80000000, v[16:17]
	v_fmac_f64_e32 v[76:77], 0x80000000, v[16:17]
	v_fmac_f64_e32 v[72:73], 0x80000000, v[16:17]
	global_load_dwordx4 v[16:19], v[52:53], off
	global_load_dwordx4 v[40:43], v[52:53], off offset:16
	global_load_dwordx4 v[20:23], v[110:111], off offset:2080
	global_load_dwordx4 v[8:11], v[110:111], off offset:2064
	global_load_dwordx4 v[12:15], v[110:111], off offset:2160
	s_waitcnt vmcnt(4)
	v_fmac_f64_e32 v[88:89], v[56:57], v[16:17]
	v_fmac_f64_e32 v[80:81], 0, v[16:17]
	;; [unrolled: 1-line block ×16, first 2 shown]
	global_load_dwordx4 v[16:19], v[110:111], off offset:2128
	global_load_dwordx4 v[36:39], v[110:111], off offset:2112
	global_load_dword v44, v[54:55], off offset:192
	s_waitcnt vmcnt(6)
	v_fmac_f64_e32 v[80:81], 0, v[40:41]
	v_fmac_f64_e32 v[78:79], 0, v[40:41]
	;; [unrolled: 1-line block ×16, first 2 shown]
	s_waitcnt vmcnt(0)
	v_subrev_u32_e32 v44, s2, v44
	v_lshlrev_b32_e32 v44, 2, v44
	v_ashrrev_i32_e32 v45, 31, v44
	v_lshlrev_b64 v[44:45], 4, v[44:45]
	v_add_co_u32_e32 v98, vcc, s4, v44
	v_addc_co_u32_e32 v99, vcc, v96, v45, vcc
	global_load_dwordx4 v[44:47], v[52:53], off offset:32
	global_load_dwordx4 v[56:59], v[52:53], off offset:48
	global_load_dwordx4 v[48:51], v[98:99], off
	global_load_dwordx4 v[40:43], v[98:99], off offset:48
	v_add_co_u32_e32 v92, vcc, 0x2000, v92
	global_load_dwordx4 v[52:55], v[98:99], off offset:16
	v_addc_co_u32_e32 v93, vcc, 0, v93, vcc
	v_cmp_ge_i32_e32 vcc, v90, v94
	s_or_b64 s[16:17], vcc, s[16:17]
	s_waitcnt vmcnt(4)
	v_fmac_f64_e32 v[88:89], v[106:107], v[44:45]
	v_fmac_f64_e32 v[80:81], 0, v[44:45]
	;; [unrolled: 1-line block ×16, first 2 shown]
	global_load_dwordx4 v[44:47], v[98:99], off offset:32
	s_waitcnt vmcnt(4)
	v_fmac_f64_e32 v[88:89], v[108:109], v[56:57]
	v_fmac_f64_e32 v[80:81], 0, v[56:57]
	v_fmac_f64_e32 v[86:87], v[104:105], v[56:57]
	v_fmac_f64_e32 v[78:79], 0, v[56:57]
	v_fmac_f64_e32 v[76:77], v[26:27], v[56:57]
	v_fmac_f64_e32 v[74:75], 0, v[56:57]
	v_fmac_f64_e32 v[72:73], v[6:7], v[56:57]
	v_fmac_f64_e32 v[70:71], 0, v[56:57]
	v_fmac_f64_e32 v[80:81], v[108:109], v[58:59]
	v_fmac_f64_e32 v[78:79], v[104:105], v[58:59]
	v_fmac_f64_e32 v[88:89], 0x80000000, v[58:59]
	v_fmac_f64_e32 v[86:87], 0x80000000, v[58:59]
	v_fmac_f64_e32 v[76:77], 0x80000000, v[58:59]
	v_fmac_f64_e32 v[74:75], v[26:27], v[58:59]
	v_fmac_f64_e32 v[72:73], 0x80000000, v[58:59]
	v_fmac_f64_e32 v[70:71], v[6:7], v[58:59]
	s_waitcnt vmcnt(3)
	v_fmac_f64_e32 v[88:89], v[28:29], v[48:49]
	v_fmac_f64_e32 v[80:81], 0, v[48:49]
	v_fmac_f64_e32 v[86:87], v[20:21], v[48:49]
	v_fmac_f64_e32 v[78:79], 0, v[48:49]
	v_fmac_f64_e32 v[76:77], v[36:37], v[48:49]
	v_fmac_f64_e32 v[74:75], 0, v[48:49]
	v_fmac_f64_e32 v[72:73], v[32:33], v[48:49]
	v_fmac_f64_e32 v[70:71], 0, v[48:49]
	v_fmac_f64_e32 v[88:89], 0x80000000, v[50:51]
	v_fmac_f64_e32 v[80:81], v[28:29], v[50:51]
	v_fmac_f64_e32 v[86:87], 0x80000000, v[50:51]
	v_fmac_f64_e32 v[78:79], v[20:21], v[50:51]
	v_fmac_f64_e32 v[76:77], 0x80000000, v[50:51]
	v_fmac_f64_e32 v[74:75], v[36:37], v[50:51]
	v_fmac_f64_e32 v[72:73], 0x80000000, v[50:51]
	v_fmac_f64_e32 v[70:71], v[32:33], v[50:51]
	;; [unrolled: 17-line block ×4, first 2 shown]
	v_fmac_f64_e32 v[88:89], v[10:11], v[40:41]
	v_fmac_f64_e32 v[80:81], 0, v[40:41]
	;; [unrolled: 1-line block ×16, first 2 shown]
	s_andn2_b64 exec, exec, s[16:17]
	s_cbranch_execnz .LBB137_23
; %bb.24:
	s_or_b64 exec, exec, s[16:17]
.LBB137_25:
	s_or_b64 exec, exec, s[14:15]
.LBB137_26:
	s_or_b64 exec, exec, s[10:11]
	s_andn2_b64 vcc, exec, s[8:9]
	s_cbranch_vccz .LBB137_28
	s_branch .LBB137_39
.LBB137_27:
                                        ; implicit-def: $vgpr80_vgpr81
                                        ; implicit-def: $vgpr88_vgpr89
                                        ; implicit-def: $vgpr78_vgpr79
                                        ; implicit-def: $vgpr86_vgpr87
                                        ; implicit-def: $vgpr74_vgpr75
                                        ; implicit-def: $vgpr76_vgpr77
                                        ; implicit-def: $vgpr70_vgpr71
                                        ; implicit-def: $vgpr72_vgpr73
.LBB137_28:
	v_pk_mov_b32 v[80:81], 0, 0
	v_pk_mov_b32 v[88:89], v[80:81], v[80:81] op_sel:[0,1]
	v_pk_mov_b32 v[78:79], v[80:81], v[80:81] op_sel:[0,1]
	;; [unrolled: 1-line block ×7, first 2 shown]
	s_and_saveexec_b64 s[8:9], s[0:1]
	s_cbranch_execz .LBB137_38
; %bb.29:
	v_add_u32_e32 v0, v95, v69
	v_subrev_u32_e32 v0, s2, v0
	v_add_u32_e32 v0, 16, v0
	v_max_i32_e32 v0, v0, v94
	v_not_b32_e32 v1, v95
	v_add3_u32 v0, v0, s2, v1
	v_sub_u32_e32 v0, v0, v69
	v_lshrrev_b32_e32 v1, 4, v0
	v_add_u32_e32 v1, 1, v1
	v_and_b32_e32 v1, 3, v1
	v_pk_mov_b32 v[72:73], 0, 0
	v_cmp_ne_u32_e32 vcc, 0, v1
	v_pk_mov_b32 v[70:71], v[72:73], v[72:73] op_sel:[0,1]
	v_pk_mov_b32 v[76:77], v[72:73], v[72:73] op_sel:[0,1]
	;; [unrolled: 1-line block ×7, first 2 shown]
	s_and_saveexec_b64 s[0:1], vcc
	s_cbranch_execz .LBB137_33
; %bb.30:
	v_pk_mov_b32 v[80:81], 0, 0
	v_lshlrev_b32_e32 v1, 7, v1
	s_mov_b64 s[10:11], 0
	v_mov_b32_e32 v2, s13
	v_mov_b32_e32 v3, s5
	v_pk_mov_b32 v[88:89], v[80:81], v[80:81] op_sel:[0,1]
	v_pk_mov_b32 v[78:79], v[80:81], v[80:81] op_sel:[0,1]
	;; [unrolled: 1-line block ×7, first 2 shown]
.LBB137_31:                             ; =>This Inner Loop Header: Depth=1
	v_ashrrev_i32_e32 v83, 31, v82
	v_lshlrev_b64 v[4:5], 2, v[82:83]
	v_add_co_u32_e32 v36, vcc, s12, v4
	v_addc_co_u32_e32 v37, vcc, v2, v5, vcc
	global_load_dword v38, v[36:37], off
	global_load_dwordx4 v[4:7], v[84:85], off offset:48
	global_load_dwordx4 v[8:11], v[84:85], off offset:32
	;; [unrolled: 1-line block ×3, first 2 shown]
	global_load_dwordx4 v[16:19], v[84:85], off
	global_load_dwordx4 v[20:23], v[84:85], off offset:80
	global_load_dwordx4 v[24:27], v[84:85], off offset:64
	;; [unrolled: 1-line block ×4, first 2 shown]
	v_add_u32_e32 v1, 0xffffff80, v1
	v_add_u32_e32 v82, 16, v82
	s_waitcnt vmcnt(8)
	v_subrev_u32_e32 v36, s2, v38
	v_lshlrev_b32_e32 v36, 2, v36
	v_ashrrev_i32_e32 v37, 31, v36
	v_lshlrev_b64 v[36:37], 4, v[36:37]
	v_add_co_u32_e32 v52, vcc, s4, v36
	v_addc_co_u32_e32 v53, vcc, v3, v37, vcc
	global_load_dwordx4 v[36:39], v[52:53], off
	global_load_dwordx4 v[40:43], v[52:53], off offset:16
	global_load_dwordx4 v[44:47], v[52:53], off offset:32
	;; [unrolled: 1-line block ×3, first 2 shown]
	v_add_co_u32_e32 v84, vcc, 0x800, v84
	v_addc_co_u32_e32 v85, vcc, 0, v85, vcc
	v_cmp_eq_u32_e32 vcc, 0, v1
	s_or_b64 s[10:11], vcc, s[10:11]
	s_waitcnt vmcnt(3)
	v_fmac_f64_e32 v[88:89], v[16:17], v[36:37]
	v_fmac_f64_e32 v[80:81], 0, v[36:37]
	v_fmac_f64_e32 v[86:87], v[18:19], v[36:37]
	v_fmac_f64_e32 v[78:79], 0, v[36:37]
	v_fmac_f64_e32 v[76:77], v[12:13], v[36:37]
	v_fmac_f64_e32 v[74:75], 0, v[36:37]
	v_fmac_f64_e32 v[72:73], v[14:15], v[36:37]
	v_fmac_f64_e32 v[70:71], 0, v[36:37]
	v_fmac_f64_e32 v[80:81], v[16:17], v[38:39]
	v_fmac_f64_e32 v[78:79], v[18:19], v[38:39]
	v_fmac_f64_e32 v[88:89], 0x80000000, v[38:39]
	v_fmac_f64_e32 v[86:87], 0x80000000, v[38:39]
	v_fmac_f64_e32 v[76:77], 0x80000000, v[38:39]
	v_fmac_f64_e32 v[74:75], v[12:13], v[38:39]
	v_fmac_f64_e32 v[72:73], 0x80000000, v[38:39]
	v_fmac_f64_e32 v[70:71], v[14:15], v[38:39]
	s_waitcnt vmcnt(2)
	v_fmac_f64_e32 v[88:89], v[8:9], v[40:41]
	v_fmac_f64_e32 v[80:81], 0, v[40:41]
	v_fmac_f64_e32 v[86:87], v[10:11], v[40:41]
	v_fmac_f64_e32 v[78:79], 0, v[40:41]
	v_fmac_f64_e32 v[76:77], v[4:5], v[40:41]
	v_fmac_f64_e32 v[74:75], 0, v[40:41]
	v_fmac_f64_e32 v[72:73], v[6:7], v[40:41]
	v_fmac_f64_e32 v[70:71], 0, v[40:41]
	v_fmac_f64_e32 v[88:89], 0x80000000, v[42:43]
	v_fmac_f64_e32 v[80:81], v[8:9], v[42:43]
	v_fmac_f64_e32 v[86:87], 0x80000000, v[42:43]
	v_fmac_f64_e32 v[78:79], v[10:11], v[42:43]
	v_fmac_f64_e32 v[76:77], 0x80000000, v[42:43]
	v_fmac_f64_e32 v[74:75], v[4:5], v[42:43]
	v_fmac_f64_e32 v[72:73], 0x80000000, v[42:43]
	v_fmac_f64_e32 v[70:71], v[6:7], v[42:43]
	s_waitcnt vmcnt(1)
	v_fmac_f64_e32 v[88:89], v[24:25], v[44:45]
	v_fmac_f64_e32 v[80:81], 0, v[44:45]
	v_fmac_f64_e32 v[86:87], v[26:27], v[44:45]
	v_fmac_f64_e32 v[78:79], 0, v[44:45]
	v_fmac_f64_e32 v[76:77], v[20:21], v[44:45]
	v_fmac_f64_e32 v[74:75], 0, v[44:45]
	v_fmac_f64_e32 v[72:73], v[22:23], v[44:45]
	v_fmac_f64_e32 v[70:71], 0, v[44:45]
	v_fmac_f64_e32 v[88:89], 0x80000000, v[46:47]
	v_fmac_f64_e32 v[80:81], v[24:25], v[46:47]
	v_fmac_f64_e32 v[86:87], 0x80000000, v[46:47]
	v_fmac_f64_e32 v[78:79], v[26:27], v[46:47]
	v_fmac_f64_e32 v[76:77], 0x80000000, v[46:47]
	v_fmac_f64_e32 v[74:75], v[20:21], v[46:47]
	v_fmac_f64_e32 v[72:73], 0x80000000, v[46:47]
	v_fmac_f64_e32 v[70:71], v[22:23], v[46:47]
	s_waitcnt vmcnt(0)
	v_fmac_f64_e32 v[88:89], v[28:29], v[48:49]
	v_fmac_f64_e32 v[80:81], 0, v[48:49]
	v_fmac_f64_e32 v[86:87], v[30:31], v[48:49]
	v_fmac_f64_e32 v[78:79], 0, v[48:49]
	v_fmac_f64_e32 v[76:77], v[32:33], v[48:49]
	v_fmac_f64_e32 v[74:75], 0, v[48:49]
	v_fmac_f64_e32 v[72:73], v[34:35], v[48:49]
	v_fmac_f64_e32 v[70:71], 0, v[48:49]
	v_fmac_f64_e32 v[88:89], 0x80000000, v[50:51]
	v_fmac_f64_e32 v[80:81], v[28:29], v[50:51]
	v_fmac_f64_e32 v[86:87], 0x80000000, v[50:51]
	v_fmac_f64_e32 v[78:79], v[30:31], v[50:51]
	v_fmac_f64_e32 v[76:77], 0x80000000, v[50:51]
	v_fmac_f64_e32 v[74:75], v[32:33], v[50:51]
	v_fmac_f64_e32 v[72:73], 0x80000000, v[50:51]
	v_fmac_f64_e32 v[70:71], v[34:35], v[50:51]
	s_andn2_b64 exec, exec, s[10:11]
	s_cbranch_execnz .LBB137_31
; %bb.32:
	s_or_b64 exec, exec, s[10:11]
.LBB137_33:
	s_or_b64 exec, exec, s[0:1]
	v_cmp_lt_u32_e32 vcc, 47, v0
	s_and_saveexec_b64 s[0:1], vcc
	s_cbranch_execz .LBB137_37
; %bb.34:
	s_mov_b64 s[10:11], 0
	v_mov_b32_e32 v52, s13
	v_mov_b32_e32 v53, s5
	s_movk_i32 s3, 0x1000
.LBB137_35:                             ; =>This Inner Loop Header: Depth=1
	v_ashrrev_i32_e32 v83, 31, v82
	v_lshlrev_b64 v[40:41], 2, v[82:83]
	v_add_co_u32_e32 v40, vcc, s12, v40
	v_addc_co_u32_e32 v41, vcc, v52, v41, vcc
	global_load_dwordx4 v[0:3], v[84:85], off offset:48
	global_load_dwordx4 v[4:7], v[84:85], off offset:32
	;; [unrolled: 1-line block ×3, first 2 shown]
	global_load_dwordx4 v[44:47], v[84:85], off
	global_load_dwordx4 v[12:15], v[84:85], off offset:112
	global_load_dwordx4 v[16:19], v[84:85], off offset:96
	;; [unrolled: 1-line block ×7, first 2 shown]
	global_load_dword v42, v[40:41], off
	global_load_dword v54, v[40:41], off offset:64
	global_load_dword v51, v[40:41], off offset:128
	;; [unrolled: 1-line block ×3, first 2 shown]
	global_load_dwordx4 v[56:59], v[84:85], off offset:2160
	v_add_u32_e32 v82, 64, v82
	s_waitcnt vmcnt(4)
	v_subrev_u32_e32 v40, s2, v42
	v_lshlrev_b32_e32 v40, 2, v40
	v_ashrrev_i32_e32 v41, 31, v40
	v_lshlrev_b64 v[40:41], 4, v[40:41]
	v_add_co_u32_e32 v48, vcc, s4, v40
	v_addc_co_u32_e32 v49, vcc, v53, v41, vcc
	global_load_dwordx4 v[40:43], v[48:49], off
	v_add_co_u32_e32 v96, vcc, s3, v84
	v_addc_co_u32_e32 v97, vcc, 0, v85, vcc
	s_waitcnt vmcnt(0)
	v_fmac_f64_e32 v[74:75], 0, v[40:41]
	v_fmac_f64_e32 v[70:71], 0, v[40:41]
	;; [unrolled: 1-line block ×6, first 2 shown]
	global_load_dwordx4 v[8:11], v[48:49], off offset:16
	v_fmac_f64_e32 v[88:89], v[44:45], v[40:41]
	v_fmac_f64_e32 v[80:81], 0, v[40:41]
	;; [unrolled: 1-line block ×10, first 2 shown]
	global_load_dwordx4 v[44:47], v[84:85], off offset:2048
	s_waitcnt vmcnt(1)
	v_fmac_f64_e32 v[88:89], v[4:5], v[8:9]
	v_fmac_f64_e32 v[80:81], 0, v[8:9]
	;; [unrolled: 1-line block ×16, first 2 shown]
	global_load_dwordx4 v[8:11], v[48:49], off offset:32
	global_load_dwordx4 v[4:7], v[84:85], off offset:2144
	;; [unrolled: 1-line block ×3, first 2 shown]
	s_waitcnt vmcnt(2)
	v_fmac_f64_e32 v[88:89], v[28:29], v[8:9]
	v_fmac_f64_e32 v[80:81], 0, v[8:9]
	;; [unrolled: 1-line block ×10, first 2 shown]
	global_load_dwordx4 v[28:31], v[84:85], off offset:2112
	v_fmac_f64_e32 v[74:75], v[20:21], v[10:11]
	v_fmac_f64_e32 v[70:71], v[22:23], v[10:11]
	v_fmac_f64_e32 v[88:89], 0x80000000, v[10:11]
	v_fmac_f64_e32 v[86:87], 0x80000000, v[10:11]
	v_fmac_f64_e32 v[76:77], 0x80000000, v[10:11]
	v_fmac_f64_e32 v[72:73], 0x80000000, v[10:11]
	global_load_dwordx4 v[20:23], v[96:97], off offset:48
	global_load_dwordx4 v[8:11], v[48:49], off offset:48
	;; [unrolled: 1-line block ×4, first 2 shown]
	s_waitcnt vmcnt(2)
	v_fmac_f64_e32 v[80:81], 0, v[8:9]
	v_fmac_f64_e32 v[88:89], v[16:17], v[8:9]
	;; [unrolled: 1-line block ×3, first 2 shown]
	v_subrev_u32_e32 v16, s2, v54
	v_fmac_f64_e32 v[86:87], v[18:19], v[8:9]
	v_fmac_f64_e32 v[78:79], 0, v[8:9]
	v_fmac_f64_e32 v[76:77], v[12:13], v[8:9]
	v_fmac_f64_e32 v[74:75], 0, v[8:9]
	v_fmac_f64_e32 v[72:73], v[14:15], v[8:9]
	v_fmac_f64_e32 v[70:71], 0, v[8:9]
	v_lshlrev_b32_e32 v8, 2, v16
	v_ashrrev_i32_e32 v9, 31, v8
	v_lshlrev_b64 v[8:9], 4, v[8:9]
	v_add_co_u32_e32 v16, vcc, s4, v8
	v_addc_co_u32_e32 v17, vcc, v53, v9, vcc
	v_fmac_f64_e32 v[78:79], v[18:19], v[10:11]
	v_fmac_f64_e32 v[74:75], v[12:13], v[10:11]
	v_fmac_f64_e32 v[70:71], v[14:15], v[10:11]
	v_fmac_f64_e32 v[88:89], 0x80000000, v[10:11]
	v_fmac_f64_e32 v[86:87], 0x80000000, v[10:11]
	v_fmac_f64_e32 v[76:77], 0x80000000, v[10:11]
	v_fmac_f64_e32 v[72:73], 0x80000000, v[10:11]
	global_load_dwordx4 v[8:11], v[16:17], off
	global_load_dwordx4 v[12:15], v[96:97], off
	s_waitcnt vmcnt(1)
	v_fmac_f64_e32 v[88:89], v[44:45], v[8:9]
	v_fmac_f64_e32 v[80:81], 0, v[8:9]
	;; [unrolled: 1-line block ×12, first 2 shown]
	global_load_dwordx4 v[36:39], v[96:97], off offset:16
	v_fmac_f64_e32 v[88:89], 0x80000000, v[10:11]
	v_fmac_f64_e32 v[86:87], 0x80000000, v[10:11]
	;; [unrolled: 1-line block ×4, first 2 shown]
	global_load_dwordx4 v[8:11], v[16:17], off offset:16
	global_load_dwordx4 v[44:47], v[96:97], off offset:64
	s_waitcnt vmcnt(1)
	v_fmac_f64_e32 v[88:89], v[32:33], v[8:9]
	v_fmac_f64_e32 v[80:81], 0, v[8:9]
	v_fmac_f64_e32 v[86:87], v[34:35], v[8:9]
	v_fmac_f64_e32 v[78:79], 0, v[8:9]
	v_fmac_f64_e32 v[76:77], v[24:25], v[8:9]
	v_fmac_f64_e32 v[74:75], 0, v[8:9]
	v_fmac_f64_e32 v[72:73], v[26:27], v[8:9]
	v_fmac_f64_e32 v[70:71], 0, v[8:9]
	v_fmac_f64_e32 v[80:81], v[32:33], v[10:11]
	v_fmac_f64_e32 v[78:79], v[34:35], v[10:11]
	v_fmac_f64_e32 v[74:75], v[24:25], v[10:11]
	v_fmac_f64_e32 v[70:71], v[26:27], v[10:11]
	v_fmac_f64_e32 v[88:89], 0x80000000, v[10:11]
	v_fmac_f64_e32 v[86:87], 0x80000000, v[10:11]
	v_fmac_f64_e32 v[76:77], 0x80000000, v[10:11]
	v_fmac_f64_e32 v[72:73], 0x80000000, v[10:11]
	global_load_dwordx4 v[8:11], v[16:17], off offset:32
	global_load_dwordx4 v[24:27], v[16:17], off offset:48
	;; [unrolled: 1-line block ×3, first 2 shown]
	s_waitcnt vmcnt(2)
	v_fmac_f64_e32 v[88:89], v[28:29], v[8:9]
	v_fmac_f64_e32 v[80:81], 0, v[8:9]
	;; [unrolled: 1-line block ×8, first 2 shown]
	v_subrev_u32_e32 v8, s2, v51
	v_lshlrev_b32_e32 v8, 2, v8
	v_ashrrev_i32_e32 v9, 31, v8
	v_lshlrev_b64 v[8:9], 4, v[8:9]
	v_fmac_f64_e32 v[74:75], v[0:1], v[10:11]
	v_add_co_u32_e32 v48, vcc, s4, v8
	v_fmac_f64_e32 v[76:77], 0x80000000, v[10:11]
	v_addc_co_u32_e32 v49, vcc, v53, v9, vcc
	s_waitcnt vmcnt(1)
	v_fmac_f64_e32 v[74:75], 0, v[24:25]
	v_fmac_f64_e32 v[76:77], v[56:57], v[24:25]
	;; [unrolled: 1-line block ×3, first 2 shown]
	global_load_dwordx4 v[54:57], v[48:49], off
	v_fmac_f64_e32 v[70:71], v[2:3], v[10:11]
	v_fmac_f64_e32 v[72:73], 0x80000000, v[10:11]
	;; [unrolled: 1-line block ×19, first 2 shown]
	global_load_dwordx4 v[24:27], v[96:97], off offset:2048
	global_load_dwordx4 v[28:31], v[96:97], off offset:80
	;; [unrolled: 1-line block ×6, first 2 shown]
	s_waitcnt vmcnt(6)
	v_fmac_f64_e32 v[74:75], 0, v[54:55]
	v_fmac_f64_e32 v[70:71], 0, v[54:55]
	;; [unrolled: 1-line block ×6, first 2 shown]
	global_load_dwordx4 v[36:39], v[48:49], off offset:16
	v_fmac_f64_e32 v[88:89], v[12:13], v[54:55]
	v_fmac_f64_e32 v[80:81], 0, v[54:55]
	;; [unrolled: 1-line block ×6, first 2 shown]
	global_load_dwordx4 v[12:15], v[96:97], off offset:2128
	v_fmac_f64_e32 v[88:89], 0x80000000, v[56:57]
	v_fmac_f64_e32 v[86:87], 0x80000000, v[56:57]
	;; [unrolled: 1-line block ×4, first 2 shown]
	s_waitcnt vmcnt(1)
	v_fmac_f64_e32 v[88:89], v[40:41], v[36:37]
	v_fmac_f64_e32 v[80:81], 0, v[36:37]
	;; [unrolled: 1-line block ×12, first 2 shown]
	v_subrev_u32_e32 v40, s2, v50
	v_fmac_f64_e32 v[88:89], 0x80000000, v[38:39]
	v_fmac_f64_e32 v[86:87], 0x80000000, v[38:39]
	;; [unrolled: 1-line block ×4, first 2 shown]
	global_load_dwordx4 v[36:39], v[48:49], off offset:32
	v_lshlrev_b32_e32 v40, 2, v40
	v_ashrrev_i32_e32 v41, 31, v40
	v_lshlrev_b64 v[40:41], 4, v[40:41]
	v_add_co_u32_e32 v54, vcc, s4, v40
	v_addc_co_u32_e32 v55, vcc, v53, v41, vcc
	global_load_dwordx4 v[40:43], v[54:55], off offset:16
	global_load_dwordx4 v[20:23], v[96:97], off offset:2112
	v_add_co_u32_e32 v84, vcc, 0x2000, v84
	global_load_dwordx4 v[48:51], v[48:49], off offset:48
	v_addc_co_u32_e32 v85, vcc, 0, v85, vcc
	v_cmp_ge_i32_e32 vcc, v82, v94
	s_or_b64 s[10:11], vcc, s[10:11]
	s_waitcnt vmcnt(3)
	v_fmac_f64_e32 v[80:81], 0, v[36:37]
	v_fmac_f64_e32 v[78:79], 0, v[36:37]
	;; [unrolled: 1-line block ×6, first 2 shown]
	global_load_dwordx4 v[44:47], v[54:55], off
	v_fmac_f64_e32 v[76:77], v[28:29], v[36:37]
	v_fmac_f64_e32 v[74:75], 0, v[36:37]
	v_fmac_f64_e32 v[72:73], v[30:31], v[36:37]
	v_fmac_f64_e32 v[70:71], 0, v[36:37]
	v_fmac_f64_e32 v[74:75], v[28:29], v[38:39]
	v_fmac_f64_e32 v[70:71], v[30:31], v[38:39]
	v_fmac_f64_e32 v[88:89], 0x80000000, v[38:39]
	v_fmac_f64_e32 v[86:87], 0x80000000, v[38:39]
	v_fmac_f64_e32 v[76:77], 0x80000000, v[38:39]
	v_fmac_f64_e32 v[72:73], 0x80000000, v[38:39]
	global_load_dwordx4 v[36:39], v[54:55], off offset:32
	s_waitcnt vmcnt(2)
	v_fmac_f64_e32 v[74:75], 0, v[48:49]
	v_fmac_f64_e32 v[70:71], 0, v[48:49]
	;; [unrolled: 1-line block ×6, first 2 shown]
	global_load_dwordx4 v[28:31], v[54:55], off offset:48
	global_load_dwordx4 v[32:35], v[96:97], off offset:2160
	v_fmac_f64_e32 v[88:89], v[90:91], v[48:49]
	v_fmac_f64_e32 v[80:81], 0, v[48:49]
	;; [unrolled: 1-line block ×10, first 2 shown]
	s_waitcnt vmcnt(3)
	v_fmac_f64_e32 v[88:89], v[24:25], v[44:45]
	v_fmac_f64_e32 v[80:81], 0, v[44:45]
	;; [unrolled: 1-line block ×32, first 2 shown]
	s_waitcnt vmcnt(2)
	v_fmac_f64_e32 v[88:89], v[20:21], v[36:37]
	v_fmac_f64_e32 v[80:81], 0, v[36:37]
	;; [unrolled: 1-line block ×16, first 2 shown]
	s_waitcnt vmcnt(1)
	v_fmac_f64_e32 v[88:89], v[4:5], v[28:29]
	v_fmac_f64_e32 v[80:81], 0, v[28:29]
	;; [unrolled: 1-line block ×4, first 2 shown]
	s_waitcnt vmcnt(0)
	v_fmac_f64_e32 v[76:77], v[32:33], v[28:29]
	v_fmac_f64_e32 v[74:75], 0, v[28:29]
	;; [unrolled: 1-line block ×12, first 2 shown]
	s_andn2_b64 exec, exec, s[10:11]
	s_cbranch_execnz .LBB137_35
; %bb.36:
	s_or_b64 exec, exec, s[10:11]
.LBB137_37:
	s_or_b64 exec, exec, s[0:1]
.LBB137_38:
	s_or_b64 exec, exec, s[8:9]
.LBB137_39:
	v_mov_b32_dpp v0, v88 row_shr:1 row_mask:0xf bank_mask:0xf
	v_mov_b32_dpp v1, v89 row_shr:1 row_mask:0xf bank_mask:0xf
	v_mov_b32_dpp v4, v80 row_shr:1 row_mask:0xf bank_mask:0xf
	v_mov_b32_dpp v5, v81 row_shr:1 row_mask:0xf bank_mask:0xf
	v_mov_b32_dpp v8, v86 row_shr:1 row_mask:0xf bank_mask:0xf
	v_mov_b32_dpp v9, v87 row_shr:1 row_mask:0xf bank_mask:0xf
	v_mov_b32_dpp v12, v78 row_shr:1 row_mask:0xf bank_mask:0xf
	v_mov_b32_dpp v13, v79 row_shr:1 row_mask:0xf bank_mask:0xf
	v_mov_b32_dpp v16, v76 row_shr:1 row_mask:0xf bank_mask:0xf
	v_mov_b32_dpp v17, v77 row_shr:1 row_mask:0xf bank_mask:0xf
	v_mov_b32_dpp v20, v74 row_shr:1 row_mask:0xf bank_mask:0xf
	v_mov_b32_dpp v21, v75 row_shr:1 row_mask:0xf bank_mask:0xf
	v_mov_b32_dpp v24, v72 row_shr:1 row_mask:0xf bank_mask:0xf
	v_mov_b32_dpp v25, v73 row_shr:1 row_mask:0xf bank_mask:0xf
	v_mov_b32_dpp v28, v70 row_shr:1 row_mask:0xf bank_mask:0xf
	v_mov_b32_dpp v29, v71 row_shr:1 row_mask:0xf bank_mask:0xf
	v_add_f64 v[0:1], v[88:89], v[0:1]
	v_add_f64 v[4:5], v[80:81], v[4:5]
	v_add_f64 v[8:9], v[86:87], v[8:9]
	v_add_f64 v[12:13], v[78:79], v[12:13]
	v_add_f64 v[16:17], v[76:77], v[16:17]
	v_add_f64 v[20:21], v[74:75], v[20:21]
	v_add_f64 v[24:25], v[72:73], v[24:25]
	v_add_f64 v[28:29], v[70:71], v[28:29]
	v_mov_b32_dpp v2, v0 row_shr:2 row_mask:0xf bank_mask:0xf
	v_mov_b32_dpp v3, v1 row_shr:2 row_mask:0xf bank_mask:0xf
	v_mov_b32_dpp v6, v4 row_shr:2 row_mask:0xf bank_mask:0xf
	v_mov_b32_dpp v7, v5 row_shr:2 row_mask:0xf bank_mask:0xf
	v_mov_b32_dpp v10, v8 row_shr:2 row_mask:0xf bank_mask:0xf
	v_mov_b32_dpp v11, v9 row_shr:2 row_mask:0xf bank_mask:0xf
	v_mov_b32_dpp v14, v12 row_shr:2 row_mask:0xf bank_mask:0xf
	v_mov_b32_dpp v15, v13 row_shr:2 row_mask:0xf bank_mask:0xf
	v_mov_b32_dpp v18, v16 row_shr:2 row_mask:0xf bank_mask:0xf
	v_mov_b32_dpp v19, v17 row_shr:2 row_mask:0xf bank_mask:0xf
	v_mov_b32_dpp v22, v20 row_shr:2 row_mask:0xf bank_mask:0xf
	v_mov_b32_dpp v23, v21 row_shr:2 row_mask:0xf bank_mask:0xf
	v_mov_b32_dpp v26, v24 row_shr:2 row_mask:0xf bank_mask:0xf
	v_mov_b32_dpp v27, v25 row_shr:2 row_mask:0xf bank_mask:0xf
	v_mov_b32_dpp v30, v28 row_shr:2 row_mask:0xf bank_mask:0xf
	v_mov_b32_dpp v31, v29 row_shr:2 row_mask:0xf bank_mask:0xf
	v_add_f64 v[0:1], v[0:1], v[2:3]
	v_add_f64 v[4:5], v[4:5], v[6:7]
	v_add_f64 v[8:9], v[8:9], v[10:11]
	v_add_f64 v[12:13], v[12:13], v[14:15]
	v_add_f64 v[16:17], v[16:17], v[18:19]
	v_add_f64 v[20:21], v[20:21], v[22:23]
	v_add_f64 v[24:25], v[24:25], v[26:27]
	v_add_f64 v[28:29], v[28:29], v[30:31]
	;; [unrolled: 24-line block ×3, first 2 shown]
	v_mov_b32_dpp v2, v0 row_shr:8 row_mask:0xf bank_mask:0xc
	v_mov_b32_dpp v3, v1 row_shr:8 row_mask:0xf bank_mask:0xc
	;; [unrolled: 1-line block ×16, first 2 shown]
	v_cmp_eq_u32_e32 vcc, 15, v69
	s_and_b64 exec, exec, vcc
	s_cbranch_execz .LBB137_12
; %bb.40:
	s_load_dwordx2 s[2:3], s[6:7], 0x60
	v_add_f64 v[32:33], v[0:1], v[2:3]
	v_add_f64 v[0:1], v[4:5], v[6:7]
	;; [unrolled: 1-line block ×8, first 2 shown]
	v_cmp_eq_f64_e32 vcc, 0, v[60:61]
	v_cmp_eq_f64_e64 s[0:1], 0, v[62:63]
	v_mul_f64 v[12:13], v[0:1], -v[66:67]
	v_mul_f64 v[14:15], v[64:65], v[0:1]
	v_mul_f64 v[8:9], v[2:3], -v[66:67]
	v_mul_f64 v[10:11], v[64:65], v[2:3]
	;; [unrolled: 2-line block ×4, first 2 shown]
	s_and_b64 s[0:1], vcc, s[0:1]
	v_fmac_f64_e32 v[12:13], v[64:65], v[32:33]
	v_fmac_f64_e32 v[14:15], v[66:67], v[32:33]
	v_lshlrev_b32_e32 v16, 2, v68
	v_fmac_f64_e32 v[8:9], v[64:65], v[34:35]
	v_fmac_f64_e32 v[10:11], v[66:67], v[34:35]
	;; [unrolled: 1-line block ×6, first 2 shown]
	s_and_saveexec_b64 s[4:5], s[0:1]
	s_xor_b64 s[0:1], exec, s[4:5]
	s_cbranch_execz .LBB137_42
; %bb.41:
	v_ashrrev_i32_e32 v17, 31, v16
	v_lshlrev_b64 v[16:17], 4, v[16:17]
	s_waitcnt lgkmcnt(0)
	v_mov_b32_e32 v18, s3
	v_add_co_u32_e32 v16, vcc, s2, v16
	v_addc_co_u32_e32 v17, vcc, v18, v17, vcc
	global_store_dwordx4 v[16:17], v[12:15], off
	global_store_dwordx4 v[16:17], v[8:11], off offset:16
	global_store_dwordx4 v[16:17], v[4:7], off offset:32
	;; [unrolled: 1-line block ×3, first 2 shown]
                                        ; implicit-def: $vgpr60_vgpr61
                                        ; implicit-def: $vgpr62_vgpr63
                                        ; implicit-def: $vgpr12_vgpr13
                                        ; implicit-def: $vgpr16
                                        ; implicit-def: $vgpr8_vgpr9
                                        ; implicit-def: $vgpr4_vgpr5
                                        ; implicit-def: $vgpr0_vgpr1
.LBB137_42:
	s_andn2_saveexec_b64 s[0:1], s[0:1]
	s_cbranch_execz .LBB137_12
; %bb.43:
	v_ashrrev_i32_e32 v17, 31, v16
	v_lshlrev_b64 v[16:17], 4, v[16:17]
	s_waitcnt lgkmcnt(0)
	v_mov_b32_e32 v18, s3
	v_add_co_u32_e32 v32, vcc, s2, v16
	v_addc_co_u32_e32 v33, vcc, v18, v17, vcc
	global_load_dwordx4 v[16:19], v[32:33], off
	global_load_dwordx4 v[20:23], v[32:33], off offset:16
	global_load_dwordx4 v[24:27], v[32:33], off offset:32
	;; [unrolled: 1-line block ×3, first 2 shown]
	s_waitcnt vmcnt(3)
	v_fmac_f64_e32 v[12:13], v[60:61], v[16:17]
	v_fmac_f64_e32 v[14:15], v[62:63], v[16:17]
	s_waitcnt vmcnt(2)
	v_fmac_f64_e32 v[8:9], v[60:61], v[20:21]
	v_fmac_f64_e32 v[10:11], v[62:63], v[20:21]
	;; [unrolled: 3-line block ×4, first 2 shown]
	v_fma_f64 v[12:13], -v[62:63], v[18:19], v[12:13]
	v_fmac_f64_e32 v[14:15], v[60:61], v[18:19]
	v_fma_f64 v[8:9], -v[62:63], v[22:23], v[8:9]
	v_fmac_f64_e32 v[10:11], v[60:61], v[22:23]
	;; [unrolled: 2-line block ×4, first 2 shown]
	global_store_dwordx4 v[32:33], v[12:15], off
	global_store_dwordx4 v[32:33], v[8:11], off offset:16
	global_store_dwordx4 v[32:33], v[4:7], off offset:32
	;; [unrolled: 1-line block ×3, first 2 shown]
	s_endpgm
	.section	.rodata,"a",@progbits
	.p2align	6, 0x0
	.amdhsa_kernel _ZN9rocsparseL18bsrxmvn_4x4_kernelILj128ELj16E21rocsparse_complex_numIdEiidS2_S2_EEvT3_20rocsparse_direction_NS_24const_host_device_scalarIT1_EES3_PKS3_PKT2_SC_S9_PKT4_PKT5_S7_PT6_21rocsparse_index_base_b
		.amdhsa_group_segment_fixed_size 2048
		.amdhsa_private_segment_fixed_size 0
		.amdhsa_kernarg_size 112
		.amdhsa_user_sgpr_count 8
		.amdhsa_user_sgpr_private_segment_buffer 1
		.amdhsa_user_sgpr_dispatch_ptr 1
		.amdhsa_user_sgpr_queue_ptr 0
		.amdhsa_user_sgpr_kernarg_segment_ptr 1
		.amdhsa_user_sgpr_dispatch_id 0
		.amdhsa_user_sgpr_flat_scratch_init 0
		.amdhsa_user_sgpr_kernarg_preload_length 0
		.amdhsa_user_sgpr_kernarg_preload_offset 0
		.amdhsa_user_sgpr_private_segment_size 0
		.amdhsa_uses_dynamic_stack 0
		.amdhsa_system_sgpr_private_segment_wavefront_offset 0
		.amdhsa_system_sgpr_workgroup_id_x 1
		.amdhsa_system_sgpr_workgroup_id_y 0
		.amdhsa_system_sgpr_workgroup_id_z 0
		.amdhsa_system_sgpr_workgroup_info 0
		.amdhsa_system_vgpr_workitem_id 2
		.amdhsa_next_free_vgpr 112
		.amdhsa_next_free_sgpr 22
		.amdhsa_accum_offset 112
		.amdhsa_reserve_vcc 1
		.amdhsa_reserve_flat_scratch 0
		.amdhsa_float_round_mode_32 0
		.amdhsa_float_round_mode_16_64 0
		.amdhsa_float_denorm_mode_32 3
		.amdhsa_float_denorm_mode_16_64 3
		.amdhsa_dx10_clamp 1
		.amdhsa_ieee_mode 1
		.amdhsa_fp16_overflow 0
		.amdhsa_tg_split 0
		.amdhsa_exception_fp_ieee_invalid_op 0
		.amdhsa_exception_fp_denorm_src 0
		.amdhsa_exception_fp_ieee_div_zero 0
		.amdhsa_exception_fp_ieee_overflow 0
		.amdhsa_exception_fp_ieee_underflow 0
		.amdhsa_exception_fp_ieee_inexact 0
		.amdhsa_exception_int_div_zero 0
	.end_amdhsa_kernel
	.section	.text._ZN9rocsparseL18bsrxmvn_4x4_kernelILj128ELj16E21rocsparse_complex_numIdEiidS2_S2_EEvT3_20rocsparse_direction_NS_24const_host_device_scalarIT1_EES3_PKS3_PKT2_SC_S9_PKT4_PKT5_S7_PT6_21rocsparse_index_base_b,"axG",@progbits,_ZN9rocsparseL18bsrxmvn_4x4_kernelILj128ELj16E21rocsparse_complex_numIdEiidS2_S2_EEvT3_20rocsparse_direction_NS_24const_host_device_scalarIT1_EES3_PKS3_PKT2_SC_S9_PKT4_PKT5_S7_PT6_21rocsparse_index_base_b,comdat
.Lfunc_end137:
	.size	_ZN9rocsparseL18bsrxmvn_4x4_kernelILj128ELj16E21rocsparse_complex_numIdEiidS2_S2_EEvT3_20rocsparse_direction_NS_24const_host_device_scalarIT1_EES3_PKS3_PKT2_SC_S9_PKT4_PKT5_S7_PT6_21rocsparse_index_base_b, .Lfunc_end137-_ZN9rocsparseL18bsrxmvn_4x4_kernelILj128ELj16E21rocsparse_complex_numIdEiidS2_S2_EEvT3_20rocsparse_direction_NS_24const_host_device_scalarIT1_EES3_PKS3_PKT2_SC_S9_PKT4_PKT5_S7_PT6_21rocsparse_index_base_b
                                        ; -- End function
	.section	.AMDGPU.csdata,"",@progbits
; Kernel info:
; codeLenInByte = 7448
; NumSgprs: 26
; NumVgprs: 112
; NumAgprs: 0
; TotalNumVgprs: 112
; ScratchSize: 0
; MemoryBound: 0
; FloatMode: 240
; IeeeMode: 1
; LDSByteSize: 2048 bytes/workgroup (compile time only)
; SGPRBlocks: 3
; VGPRBlocks: 13
; NumSGPRsForWavesPerEU: 26
; NumVGPRsForWavesPerEU: 112
; AccumOffset: 112
; Occupancy: 4
; WaveLimiterHint : 1
; COMPUTE_PGM_RSRC2:SCRATCH_EN: 0
; COMPUTE_PGM_RSRC2:USER_SGPR: 8
; COMPUTE_PGM_RSRC2:TRAP_HANDLER: 0
; COMPUTE_PGM_RSRC2:TGID_X_EN: 1
; COMPUTE_PGM_RSRC2:TGID_Y_EN: 0
; COMPUTE_PGM_RSRC2:TGID_Z_EN: 0
; COMPUTE_PGM_RSRC2:TIDIG_COMP_CNT: 2
; COMPUTE_PGM_RSRC3_GFX90A:ACCUM_OFFSET: 27
; COMPUTE_PGM_RSRC3_GFX90A:TG_SPLIT: 0
	.section	.text._ZN9rocsparseL18bsrxmvn_4x4_kernelILj128ELj32E21rocsparse_complex_numIdEiidS2_S2_EEvT3_20rocsparse_direction_NS_24const_host_device_scalarIT1_EES3_PKS3_PKT2_SC_S9_PKT4_PKT5_S7_PT6_21rocsparse_index_base_b,"axG",@progbits,_ZN9rocsparseL18bsrxmvn_4x4_kernelILj128ELj32E21rocsparse_complex_numIdEiidS2_S2_EEvT3_20rocsparse_direction_NS_24const_host_device_scalarIT1_EES3_PKS3_PKT2_SC_S9_PKT4_PKT5_S7_PT6_21rocsparse_index_base_b,comdat
	.globl	_ZN9rocsparseL18bsrxmvn_4x4_kernelILj128ELj32E21rocsparse_complex_numIdEiidS2_S2_EEvT3_20rocsparse_direction_NS_24const_host_device_scalarIT1_EES3_PKS3_PKT2_SC_S9_PKT4_PKT5_S7_PT6_21rocsparse_index_base_b ; -- Begin function _ZN9rocsparseL18bsrxmvn_4x4_kernelILj128ELj32E21rocsparse_complex_numIdEiidS2_S2_EEvT3_20rocsparse_direction_NS_24const_host_device_scalarIT1_EES3_PKS3_PKT2_SC_S9_PKT4_PKT5_S7_PT6_21rocsparse_index_base_b
	.p2align	8
	.type	_ZN9rocsparseL18bsrxmvn_4x4_kernelILj128ELj32E21rocsparse_complex_numIdEiidS2_S2_EEvT3_20rocsparse_direction_NS_24const_host_device_scalarIT1_EES3_PKS3_PKT2_SC_S9_PKT4_PKT5_S7_PT6_21rocsparse_index_base_b,@function
_ZN9rocsparseL18bsrxmvn_4x4_kernelILj128ELj32E21rocsparse_complex_numIdEiidS2_S2_EEvT3_20rocsparse_direction_NS_24const_host_device_scalarIT1_EES3_PKS3_PKT2_SC_S9_PKT4_PKT5_S7_PT6_21rocsparse_index_base_b: ; @_ZN9rocsparseL18bsrxmvn_4x4_kernelILj128ELj32E21rocsparse_complex_numIdEiidS2_S2_EEvT3_20rocsparse_direction_NS_24const_host_device_scalarIT1_EES3_PKS3_PKT2_SC_S9_PKT4_PKT5_S7_PT6_21rocsparse_index_base_b
; %bb.0:
	s_load_dwordx2 s[20:21], s[6:7], 0x68
	s_load_dwordx4 s[12:15], s[6:7], 0x8
	s_load_dwordx2 s[10:11], s[4:5], 0x4
	s_load_dwordx4 s[16:19], s[6:7], 0x50
	s_mov_b64 s[2:3], src_shared_base
	v_bfe_u32 v2, v0, 10, 10
	s_waitcnt lgkmcnt(0)
	s_bitcmp1_b32 s21, 0
	s_cselect_b64 s[0:1], -1, 0
	s_and_b64 vcc, s[0:1], exec
	s_cselect_b32 s2, s3, s13
	s_lshr_b32 s4, s10, 16
	v_and_b32_e32 v1, 0x3ff, v0
	s_mul_i32 s4, s4, s11
	v_mul_u32_u24_e32 v2, s11, v2
	v_mad_u32_u24 v2, s4, v1, v2
	v_bfe_u32 v0, v0, 20, 10
	v_add_lshl_u32 v0, v2, v0, 3
	v_mov_b32_e32 v6, s12
	v_add_u32_e32 v7, 0x400, v0
	v_pk_mov_b32 v[2:3], s[12:13], s[12:13] op_sel:[0,1]
	v_pk_mov_b32 v[4:5], s[16:17], s[16:17] op_sel:[0,1]
	ds_write2st64_b64 v0, v[4:5], v[2:3] offset1:2
	v_cndmask_b32_e64 v2, v6, v7, s[0:1]
	v_mov_b32_e32 v3, s2
	flat_load_dwordx2 v[68:69], v[2:3]
	s_xor_b64 s[4:5], s[0:1], -1
	v_pk_mov_b32 v[70:71], s[14:15], s[14:15] op_sel:[0,1]
	s_cbranch_vccnz .LBB138_2
; %bb.1:
	v_pk_mov_b32 v[2:3], s[12:13], s[12:13] op_sel:[0,1]
	flat_load_dwordx2 v[70:71], v[2:3] offset:8
.LBB138_2:
	s_and_b64 s[10:11], s[0:1], exec
	s_cselect_b32 s2, s3, s17
	v_mov_b32_e32 v2, s16
	v_cndmask_b32_e64 v2, v2, v0, s[0:1]
	v_mov_b32_e32 v3, s2
	flat_load_dwordx2 v[64:65], v[2:3]
	s_andn2_b64 vcc, exec, s[4:5]
	v_pk_mov_b32 v[66:67], s[18:19], s[18:19] op_sel:[0,1]
	s_cbranch_vccnz .LBB138_4
; %bb.3:
	v_pk_mov_b32 v[2:3], s[16:17], s[16:17] op_sel:[0,1]
	flat_load_dwordx2 v[66:67], v[2:3] offset:8
.LBB138_4:
	s_waitcnt vmcnt(0) lgkmcnt(0)
	v_cmp_eq_f64_e32 vcc, 0, v[68:69]
	v_cmp_eq_f64_e64 s[0:1], 0, v[70:71]
	s_and_b64 s[4:5], vcc, s[0:1]
	s_mov_b64 s[0:1], -1
	s_and_saveexec_b64 s[2:3], s[4:5]
; %bb.5:
	v_cmp_neq_f64_e32 vcc, 1.0, v[64:65]
	v_cmp_neq_f64_e64 s[0:1], 0, v[66:67]
	s_or_b64 s[0:1], vcc, s[0:1]
	s_orn2_b64 s[0:1], s[0:1], exec
; %bb.6:
	s_or_b64 exec, exec, s[2:3]
	s_and_saveexec_b64 s[2:3], s[0:1]
	s_cbranch_execz .LBB138_12
; %bb.7:
	s_load_dwordx2 s[4:5], s[6:7], 0x20
	s_load_dwordx2 s[0:1], s[6:7], 0x0
	v_lshrrev_b32_e32 v0, 5, v1
	v_lshl_or_b32 v72, s8, 2, v0
	s_mov_b64 s[2:3], 0
	s_waitcnt lgkmcnt(0)
	s_cmp_lg_u64 s[4:5], 0
	s_cbranch_scc0 .LBB138_13
; %bb.8:
	s_load_dword s8, s[6:7], 0x18
                                        ; implicit-def: $vgpr0
	s_waitcnt lgkmcnt(0)
	v_cmp_gt_i32_e32 vcc, s8, v72
	s_and_saveexec_b64 s[8:9], vcc
	s_xor_b64 s[8:9], exec, s[8:9]
	s_cbranch_execz .LBB138_10
; %bb.9:
	v_ashrrev_i32_e32 v73, 31, v72
	v_lshlrev_b64 v[2:3], 2, v[72:73]
	v_mov_b32_e32 v0, s5
	v_add_co_u32_e32 v2, vcc, s4, v2
	v_addc_co_u32_e32 v3, vcc, v0, v3, vcc
	global_load_dword v0, v[2:3], off
	s_mov_b64 s[2:3], exec
	s_waitcnt vmcnt(0)
	v_subrev_u32_e32 v0, s20, v0
.LBB138_10:
	s_or_b64 exec, exec, s[8:9]
	s_branch .LBB138_14
.LBB138_11:
	v_cmp_gt_i32_e32 vcc, s0, v72
	s_andn2_b64 s[2:3], s[2:3], exec
	s_and_b64 s[4:5], vcc, exec
	s_or_b64 s[2:3], s[2:3], s[4:5]
	s_and_b64 exec, exec, s[2:3]
	s_cbranch_execnz .LBB138_15
.LBB138_12:
	s_endpgm
.LBB138_13:
                                        ; implicit-def: $vgpr0
	s_cbranch_execnz .LBB138_11
.LBB138_14:
	v_mov_b32_e32 v72, v0
	s_and_b64 exec, exec, s[2:3]
	s_cbranch_execz .LBB138_12
.LBB138_15:
	s_load_dwordx8 s[8:15], s[6:7], 0x28
	v_ashrrev_i32_e32 v73, 31, v72
	v_lshlrev_b64 v[2:3], 2, v[72:73]
	v_and_b32_e32 v73, 31, v1
	s_waitcnt lgkmcnt(0)
	v_mov_b32_e32 v0, s9
	v_add_co_u32_e32 v4, vcc, s8, v2
	v_addc_co_u32_e32 v5, vcc, v0, v3, vcc
	v_add_co_u32_e32 v0, vcc, 4, v4
	global_load_dword v99, v[4:5], off
	v_addc_co_u32_e32 v4, vcc, 0, v5, vcc
	v_mov_b32_e32 v5, s11
	v_add_co_u32_e32 v2, vcc, s10, v2
	s_cmp_eq_u64 s[10:11], 0
	v_addc_co_u32_e32 v3, vcc, v5, v3, vcc
	s_cselect_b64 vcc, -1, 0
	v_cndmask_b32_e32 v3, v3, v4, vcc
	v_cndmask_b32_e32 v2, v2, v0, vcc
	global_load_dword v0, v[2:3], off
	s_load_dwordx2 s[8:9], s[6:7], 0x48
	v_mov_b32_e32 v2, s15
	s_cmp_eq_u32 s1, 1
	s_waitcnt vmcnt(1)
	v_subrev_u32_e32 v1, s20, v99
	v_add_u32_e32 v88, v1, v73
	v_ashrrev_i32_e32 v89, 31, v88
	s_waitcnt vmcnt(0)
	v_subrev_u32_e32 v98, s20, v0
	v_lshlrev_b64 v[0:1], 7, v[88:89]
	v_add_co_u32_e32 v90, vcc, s14, v0
	v_addc_co_u32_e32 v91, vcc, v2, v1, vcc
	v_cmp_lt_i32_e64 s[0:1], v88, v98
	s_cbranch_scc1 .LBB138_27
; %bb.16:
	v_pk_mov_b32 v[84:85], 0, 0
	s_mov_b64 s[10:11], 0
	v_pk_mov_b32 v[92:93], v[84:85], v[84:85] op_sel:[0,1]
	v_pk_mov_b32 v[82:83], v[84:85], v[84:85] op_sel:[0,1]
	;; [unrolled: 1-line block ×7, first 2 shown]
	s_and_saveexec_b64 s[14:15], s[0:1]
	s_cbranch_execz .LBB138_26
; %bb.17:
	v_add_u32_e32 v0, v99, v73
	v_subrev_u32_e32 v0, s20, v0
	v_add_u32_e32 v0, 32, v0
	v_max_i32_e32 v0, v0, v98
	v_not_b32_e32 v1, v99
	v_add3_u32 v0, v0, s20, v1
	v_sub_u32_e32 v0, v0, v73
	v_lshrrev_b32_e32 v1, 5, v0
	v_add_u32_e32 v1, 1, v1
	v_and_b32_e32 v1, 3, v1
	v_pk_mov_b32 v[76:77], 0, 0
	v_cmp_ne_u32_e32 vcc, 0, v1
	v_pk_mov_b32 v[74:75], v[76:77], v[76:77] op_sel:[0,1]
	v_pk_mov_b32 v[80:81], v[76:77], v[76:77] op_sel:[0,1]
	;; [unrolled: 1-line block ×8, first 2 shown]
	v_mov_b32_e32 v94, v88
	s_and_saveexec_b64 s[2:3], vcc
	s_cbranch_execz .LBB138_21
; %bb.18:
	v_pk_mov_b32 v[84:85], 0, 0
	v_lshlrev_b32_e32 v1, 7, v1
	s_mov_b64 s[4:5], 0
	v_mov_b32_e32 v2, s13
	s_waitcnt lgkmcnt(0)
	v_mov_b32_e32 v3, s9
	v_mov_b32_e32 v94, v88
	v_pk_mov_b32 v[96:97], v[90:91], v[90:91] op_sel:[0,1]
	v_pk_mov_b32 v[92:93], v[84:85], v[84:85] op_sel:[0,1]
	;; [unrolled: 1-line block ×8, first 2 shown]
.LBB138_19:                             ; =>This Inner Loop Header: Depth=1
	v_ashrrev_i32_e32 v95, 31, v94
	v_lshlrev_b64 v[4:5], 2, v[94:95]
	v_add_co_u32_e32 v36, vcc, s12, v4
	v_addc_co_u32_e32 v37, vcc, v2, v5, vcc
	global_load_dword v38, v[36:37], off
	global_load_dwordx4 v[4:7], v[96:97], off offset:48
	global_load_dwordx4 v[8:11], v[96:97], off offset:32
	;; [unrolled: 1-line block ×3, first 2 shown]
	global_load_dwordx4 v[16:19], v[96:97], off
	global_load_dwordx4 v[20:23], v[96:97], off offset:112
	global_load_dwordx4 v[24:27], v[96:97], off offset:96
	;; [unrolled: 1-line block ×4, first 2 shown]
	v_add_u32_e32 v1, 0xffffff80, v1
	v_add_u32_e32 v94, 32, v94
	s_waitcnt vmcnt(8)
	v_subrev_u32_e32 v36, s20, v38
	v_lshlrev_b32_e32 v36, 2, v36
	v_ashrrev_i32_e32 v37, 31, v36
	v_lshlrev_b64 v[36:37], 4, v[36:37]
	v_add_co_u32_e32 v52, vcc, s8, v36
	v_addc_co_u32_e32 v53, vcc, v3, v37, vcc
	global_load_dwordx4 v[36:39], v[52:53], off
	global_load_dwordx4 v[40:43], v[52:53], off offset:16
	global_load_dwordx4 v[44:47], v[52:53], off offset:32
	;; [unrolled: 1-line block ×3, first 2 shown]
	v_add_co_u32_e32 v96, vcc, 0x1000, v96
	v_addc_co_u32_e32 v97, vcc, 0, v97, vcc
	v_cmp_eq_u32_e32 vcc, 0, v1
	s_or_b64 s[4:5], vcc, s[4:5]
	s_waitcnt vmcnt(3)
	v_fmac_f64_e32 v[92:93], v[16:17], v[36:37]
	v_fmac_f64_e32 v[84:85], 0, v[36:37]
	v_fmac_f64_e32 v[86:87], v[8:9], v[36:37]
	v_fmac_f64_e32 v[82:83], 0, v[36:37]
	v_fmac_f64_e32 v[80:81], v[28:29], v[36:37]
	v_fmac_f64_e32 v[78:79], 0, v[36:37]
	v_fmac_f64_e32 v[76:77], v[24:25], v[36:37]
	v_fmac_f64_e32 v[74:75], 0, v[36:37]
	v_fmac_f64_e32 v[92:93], 0x80000000, v[38:39]
	v_fmac_f64_e32 v[84:85], v[16:17], v[38:39]
	v_fmac_f64_e32 v[86:87], 0x80000000, v[38:39]
	v_fmac_f64_e32 v[82:83], v[8:9], v[38:39]
	v_fmac_f64_e32 v[80:81], 0x80000000, v[38:39]
	v_fmac_f64_e32 v[78:79], v[28:29], v[38:39]
	v_fmac_f64_e32 v[76:77], 0x80000000, v[38:39]
	v_fmac_f64_e32 v[74:75], v[24:25], v[38:39]
	s_waitcnt vmcnt(2)
	v_fmac_f64_e32 v[92:93], v[18:19], v[40:41]
	v_fmac_f64_e32 v[84:85], 0, v[40:41]
	v_fmac_f64_e32 v[86:87], v[10:11], v[40:41]
	v_fmac_f64_e32 v[82:83], 0, v[40:41]
	v_fmac_f64_e32 v[80:81], v[30:31], v[40:41]
	v_fmac_f64_e32 v[78:79], 0, v[40:41]
	v_fmac_f64_e32 v[76:77], v[26:27], v[40:41]
	v_fmac_f64_e32 v[74:75], 0, v[40:41]
	v_fmac_f64_e32 v[84:85], v[18:19], v[42:43]
	v_fmac_f64_e32 v[82:83], v[10:11], v[42:43]
	v_fmac_f64_e32 v[92:93], 0x80000000, v[42:43]
	v_fmac_f64_e32 v[86:87], 0x80000000, v[42:43]
	v_fmac_f64_e32 v[80:81], 0x80000000, v[42:43]
	v_fmac_f64_e32 v[78:79], v[30:31], v[42:43]
	v_fmac_f64_e32 v[76:77], 0x80000000, v[42:43]
	v_fmac_f64_e32 v[74:75], v[26:27], v[42:43]
	;; [unrolled: 17-line block ×4, first 2 shown]
	s_andn2_b64 exec, exec, s[4:5]
	s_cbranch_execnz .LBB138_19
; %bb.20:
	s_or_b64 exec, exec, s[4:5]
.LBB138_21:
	s_or_b64 exec, exec, s[2:3]
	s_movk_i32 s2, 0x5f
	v_cmp_lt_u32_e32 vcc, s2, v0
	s_and_saveexec_b64 s[16:17], vcc
	s_cbranch_execz .LBB138_25
; %bb.22:
	s_mov_b64 s[18:19], 0
	v_mov_b32_e32 v89, s13
	s_waitcnt lgkmcnt(0)
	v_mov_b32_e32 v100, s9
	s_movk_i32 s21, 0x1000
	s_movk_i32 s22, 0x2000
	;; [unrolled: 1-line block ×3, first 2 shown]
.LBB138_23:                             ; =>This Inner Loop Header: Depth=1
	v_ashrrev_i32_e32 v95, 31, v94
	v_add_co_u32_e32 v56, vcc, s23, v96
	v_addc_co_u32_e32 v57, vcc, 0, v97, vcc
	v_lshlrev_b64 v[42:43], 2, v[94:95]
	v_add_co_u32_e64 v40, s[4:5], s21, v96
	v_add_co_u32_e32 v60, vcc, s12, v42
	v_addc_co_u32_e64 v41, s[4:5], 0, v97, s[4:5]
	v_addc_co_u32_e32 v61, vcc, v89, v43, vcc
	global_load_dwordx4 v[8:11], v[96:97], off offset:32
	global_load_dwordx4 v[4:7], v[96:97], off offset:16
	global_load_dwordx4 v[0:3], v[96:97], off
	global_load_dwordx4 v[12:15], v[96:97], off offset:112
	global_load_dwordx4 v[24:27], v[96:97], off offset:96
	;; [unrolled: 1-line block ×9, first 2 shown]
	global_load_dword v42, v[60:61], off
	v_add_co_u32_e64 v58, s[2:3], s22, v96
	v_addc_co_u32_e64 v59, s[2:3], 0, v97, s[2:3]
	global_load_dwordx4 v[52:55], v[40:41], off offset:80
	v_add_u32_e32 v94, 0x80, v94
	v_cmp_ge_i32_e64 s[2:3], v94, v98
	s_or_b64 s[18:19], s[2:3], s[18:19]
	s_waitcnt vmcnt(1)
	v_subrev_u32_e32 v42, s20, v42
	v_lshlrev_b32_e32 v42, 2, v42
	v_ashrrev_i32_e32 v43, 31, v42
	v_lshlrev_b64 v[42:43], 4, v[42:43]
	v_add_co_u32_e32 v42, vcc, s8, v42
	v_addc_co_u32_e32 v43, vcc, v100, v43, vcc
	global_load_dwordx4 v[48:51], v[42:43], off
	s_waitcnt vmcnt(0)
	v_fmac_f64_e32 v[92:93], v[0:1], v[48:49]
	v_fmac_f64_e32 v[84:85], 0, v[48:49]
	;; [unrolled: 1-line block ×16, first 2 shown]
	global_load_dwordx4 v[48:51], v[42:43], off offset:16
	s_waitcnt vmcnt(0)
	v_fmac_f64_e32 v[82:83], 0, v[48:49]
	v_fmac_f64_e32 v[86:87], v[10:11], v[48:49]
	;; [unrolled: 1-line block ×3, first 2 shown]
	global_load_dwordx4 v[8:11], v[42:43], off offset:32
	v_fmac_f64_e32 v[92:93], v[2:3], v[48:49]
	v_fmac_f64_e32 v[84:85], 0, v[48:49]
	;; [unrolled: 1-line block ×13, first 2 shown]
	global_load_dwordx4 v[0:3], v[58:59], off offset:112
	global_load_dwordx4 v[28:31], v[40:41], off offset:48
	;; [unrolled: 1-line block ×3, first 2 shown]
	s_waitcnt vmcnt(3)
	v_fmac_f64_e32 v[92:93], v[4:5], v[8:9]
	v_fmac_f64_e32 v[84:85], 0, v[8:9]
	;; [unrolled: 1-line block ×16, first 2 shown]
	global_load_dwordx4 v[8:11], v[58:59], off offset:-4096
	global_load_dwordx4 v[48:51], v[42:43], off offset:48
	global_load_dword v4, v[60:61], off offset:128
	global_load_dwordx4 v[106:109], v[58:59], off
	global_load_dwordx4 v[110:113], v[58:59], off offset:32
	s_waitcnt vmcnt(3)
	v_fmac_f64_e32 v[84:85], 0, v[48:49]
	s_waitcnt vmcnt(2)
	v_subrev_u32_e32 v4, s20, v4
	v_lshlrev_b32_e32 v4, 2, v4
	v_ashrrev_i32_e32 v5, 31, v4
	v_lshlrev_b64 v[4:5], 4, v[4:5]
	v_add_co_u32_e32 v16, vcc, s8, v4
	v_addc_co_u32_e32 v17, vcc, v100, v5, vcc
	v_fmac_f64_e32 v[92:93], v[6:7], v[48:49]
	v_fmac_f64_e32 v[84:85], v[6:7], v[50:51]
	global_load_dwordx4 v[4:7], v[16:17], off
	v_fmac_f64_e32 v[74:75], 0, v[48:49]
	v_fmac_f64_e32 v[76:77], v[14:15], v[48:49]
	;; [unrolled: 1-line block ×3, first 2 shown]
	global_load_dwordx4 v[12:15], v[16:17], off offset:16
	v_fmac_f64_e32 v[86:87], v[22:23], v[48:49]
	v_fmac_f64_e32 v[82:83], 0, v[48:49]
	;; [unrolled: 1-line block ×10, first 2 shown]
	global_load_dwordx4 v[40:43], v[58:59], off offset:16
	global_load_dwordx4 v[48:51], v[58:59], off offset:96
	s_waitcnt vmcnt(3)
	v_fmac_f64_e32 v[92:93], v[8:9], v[4:5]
	v_fmac_f64_e32 v[84:85], 0, v[4:5]
	;; [unrolled: 1-line block ×16, first 2 shown]
	s_waitcnt vmcnt(2)
	v_fmac_f64_e32 v[92:93], v[10:11], v[12:13]
	v_fmac_f64_e32 v[84:85], 0, v[12:13]
	;; [unrolled: 1-line block ×10, first 2 shown]
	global_load_dwordx4 v[8:11], v[58:59], off offset:80
	v_fmac_f64_e32 v[78:79], v[26:27], v[14:15]
	global_load_dwordx4 v[44:47], v[58:59], off offset:48
	global_load_dwordx4 v[114:117], v[58:59], off offset:64
	v_fmac_f64_e32 v[74:75], v[104:105], v[14:15]
	v_fmac_f64_e32 v[92:93], 0x80000000, v[14:15]
	;; [unrolled: 1-line block ×5, first 2 shown]
	global_load_dwordx4 v[12:15], v[16:17], off offset:32
	global_load_dwordx4 v[102:105], v[16:17], off offset:48
	global_load_dwordx4 v[4:7], v[56:57], off
	global_load_dwordx4 v[20:23], v[56:57], off offset:16
	global_load_dwordx4 v[24:27], v[56:57], off offset:32
	s_waitcnt vmcnt(4)
	v_fmac_f64_e32 v[92:93], v[36:37], v[12:13]
	v_fmac_f64_e32 v[84:85], 0, v[12:13]
	;; [unrolled: 1-line block ×8, first 2 shown]
	global_load_dword v12, v[60:61], off offset:256
	v_fmac_f64_e32 v[82:83], v[28:29], v[14:15]
	v_fmac_f64_e32 v[86:87], 0x80000000, v[14:15]
	s_waitcnt vmcnt(4)
	v_fmac_f64_e32 v[82:83], 0, v[102:103]
	v_fmac_f64_e32 v[86:87], v[30:31], v[102:103]
	;; [unrolled: 1-line block ×22, first 2 shown]
	global_load_dwordx4 v[16:19], v[56:57], off offset:112
	global_load_dwordx4 v[32:35], v[56:57], off offset:96
	s_waitcnt vmcnt(2)
	v_subrev_u32_e32 v12, s20, v12
	v_lshlrev_b32_e32 v12, 2, v12
	v_ashrrev_i32_e32 v13, 31, v12
	v_lshlrev_b64 v[12:13], 4, v[12:13]
	v_add_co_u32_e32 v58, vcc, s8, v12
	v_addc_co_u32_e32 v59, vcc, v100, v13, vcc
	global_load_dwordx4 v[28:31], v[58:59], off
	global_load_dwordx4 v[52:55], v[58:59], off offset:16
	global_load_dwordx4 v[12:15], v[56:57], off offset:48
	s_waitcnt vmcnt(2)
	v_fmac_f64_e32 v[92:93], v[106:107], v[28:29]
	v_fmac_f64_e32 v[84:85], 0, v[28:29]
	;; [unrolled: 1-line block ×16, first 2 shown]
	global_load_dwordx4 v[28:31], v[56:57], off offset:80
	global_load_dwordx4 v[36:39], v[56:57], off offset:64
	global_load_dword v48, v[60:61], off offset:384
	s_waitcnt vmcnt(4)
	v_fmac_f64_e32 v[74:75], 0, v[52:53]
	v_fmac_f64_e32 v[76:77], v[50:51], v[52:53]
	;; [unrolled: 1-line block ×16, first 2 shown]
	s_waitcnt vmcnt(0)
	v_subrev_u32_e32 v48, s20, v48
	v_lshlrev_b32_e32 v48, 2, v48
	v_ashrrev_i32_e32 v49, 31, v48
	v_lshlrev_b64 v[48:49], 4, v[48:49]
	v_add_co_u32_e32 v102, vcc, s8, v48
	v_addc_co_u32_e32 v103, vcc, v100, v49, vcc
	global_load_dwordx4 v[48:51], v[58:59], off offset:32
	global_load_dwordx4 v[60:63], v[58:59], off offset:48
	global_load_dwordx4 v[52:55], v[102:103], off
	v_add_co_u32_e32 v96, vcc, 0x4000, v96
	global_load_dwordx4 v[56:59], v[102:103], off offset:16
	v_addc_co_u32_e32 v97, vcc, 0, v97, vcc
	s_waitcnt vmcnt(3)
	v_fmac_f64_e32 v[92:93], v[40:41], v[48:49]
	v_fmac_f64_e32 v[84:85], 0, v[48:49]
	;; [unrolled: 1-line block ×16, first 2 shown]
	global_load_dwordx4 v[48:51], v[102:103], off offset:32
	s_waitcnt vmcnt(3)
	v_fmac_f64_e32 v[84:85], 0, v[60:61]
	v_fmac_f64_e32 v[92:93], v[42:43], v[60:61]
	;; [unrolled: 1-line block ×3, first 2 shown]
	global_load_dwordx4 v[40:43], v[102:103], off offset:48
	v_fmac_f64_e32 v[86:87], v[46:47], v[60:61]
	v_fmac_f64_e32 v[82:83], 0, v[60:61]
	v_fmac_f64_e32 v[80:81], v[10:11], v[60:61]
	v_fmac_f64_e32 v[78:79], 0, v[60:61]
	v_fmac_f64_e32 v[76:77], v[2:3], v[60:61]
	v_fmac_f64_e32 v[74:75], 0, v[60:61]
	v_fmac_f64_e32 v[82:83], v[46:47], v[62:63]
	v_fmac_f64_e32 v[92:93], 0x80000000, v[62:63]
	v_fmac_f64_e32 v[86:87], 0x80000000, v[62:63]
	v_fmac_f64_e32 v[80:81], 0x80000000, v[62:63]
	v_fmac_f64_e32 v[78:79], v[10:11], v[62:63]
	v_fmac_f64_e32 v[76:77], 0x80000000, v[62:63]
	v_fmac_f64_e32 v[74:75], v[2:3], v[62:63]
	s_waitcnt vmcnt(3)
	v_fmac_f64_e32 v[92:93], v[4:5], v[52:53]
	v_fmac_f64_e32 v[84:85], 0, v[52:53]
	v_fmac_f64_e32 v[86:87], v[24:25], v[52:53]
	v_fmac_f64_e32 v[82:83], 0, v[52:53]
	v_fmac_f64_e32 v[80:81], v[36:37], v[52:53]
	v_fmac_f64_e32 v[78:79], 0, v[52:53]
	v_fmac_f64_e32 v[76:77], v[32:33], v[52:53]
	v_fmac_f64_e32 v[74:75], 0, v[52:53]
	v_fmac_f64_e32 v[92:93], 0x80000000, v[54:55]
	v_fmac_f64_e32 v[84:85], v[4:5], v[54:55]
	v_fmac_f64_e32 v[86:87], 0x80000000, v[54:55]
	v_fmac_f64_e32 v[82:83], v[24:25], v[54:55]
	v_fmac_f64_e32 v[80:81], 0x80000000, v[54:55]
	v_fmac_f64_e32 v[78:79], v[36:37], v[54:55]
	v_fmac_f64_e32 v[76:77], 0x80000000, v[54:55]
	v_fmac_f64_e32 v[74:75], v[32:33], v[54:55]
	s_waitcnt vmcnt(2)
	v_fmac_f64_e32 v[92:93], v[6:7], v[56:57]
	v_fmac_f64_e32 v[84:85], 0, v[56:57]
	v_fmac_f64_e32 v[86:87], v[26:27], v[56:57]
	;; [unrolled: 17-line block ×4, first 2 shown]
	v_fmac_f64_e32 v[82:83], 0, v[40:41]
	v_fmac_f64_e32 v[80:81], v[30:31], v[40:41]
	;; [unrolled: 1-line block ×13, first 2 shown]
	s_andn2_b64 exec, exec, s[18:19]
	s_cbranch_execnz .LBB138_23
; %bb.24:
	s_or_b64 exec, exec, s[18:19]
.LBB138_25:
	s_or_b64 exec, exec, s[16:17]
.LBB138_26:
	s_or_b64 exec, exec, s[14:15]
	s_andn2_b64 vcc, exec, s[10:11]
	s_cbranch_vccz .LBB138_28
	s_branch .LBB138_39
.LBB138_27:
                                        ; implicit-def: $vgpr84_vgpr85
                                        ; implicit-def: $vgpr92_vgpr93
                                        ; implicit-def: $vgpr82_vgpr83
                                        ; implicit-def: $vgpr86_vgpr87
                                        ; implicit-def: $vgpr78_vgpr79
                                        ; implicit-def: $vgpr80_vgpr81
                                        ; implicit-def: $vgpr74_vgpr75
                                        ; implicit-def: $vgpr76_vgpr77
.LBB138_28:
	v_pk_mov_b32 v[84:85], 0, 0
	v_pk_mov_b32 v[92:93], v[84:85], v[84:85] op_sel:[0,1]
	v_pk_mov_b32 v[82:83], v[84:85], v[84:85] op_sel:[0,1]
	;; [unrolled: 1-line block ×7, first 2 shown]
	s_and_saveexec_b64 s[2:3], s[0:1]
	s_cbranch_execz .LBB138_38
; %bb.29:
	v_add_u32_e32 v0, v99, v73
	v_subrev_u32_e32 v0, s20, v0
	v_add_u32_e32 v0, 32, v0
	v_max_i32_e32 v0, v0, v98
	v_not_b32_e32 v1, v99
	v_add3_u32 v0, v0, s20, v1
	v_sub_u32_e32 v0, v0, v73
	v_lshrrev_b32_e32 v1, 5, v0
	v_add_u32_e32 v1, 1, v1
	v_and_b32_e32 v1, 3, v1
	v_pk_mov_b32 v[76:77], 0, 0
	v_cmp_ne_u32_e32 vcc, 0, v1
	v_pk_mov_b32 v[74:75], v[76:77], v[76:77] op_sel:[0,1]
	v_pk_mov_b32 v[80:81], v[76:77], v[76:77] op_sel:[0,1]
	;; [unrolled: 1-line block ×7, first 2 shown]
	s_and_saveexec_b64 s[0:1], vcc
	s_cbranch_execz .LBB138_33
; %bb.30:
	v_pk_mov_b32 v[84:85], 0, 0
	v_lshlrev_b32_e32 v1, 7, v1
	s_mov_b64 s[4:5], 0
	v_mov_b32_e32 v2, s13
	s_waitcnt lgkmcnt(0)
	v_mov_b32_e32 v3, s9
	v_pk_mov_b32 v[92:93], v[84:85], v[84:85] op_sel:[0,1]
	v_pk_mov_b32 v[82:83], v[84:85], v[84:85] op_sel:[0,1]
	;; [unrolled: 1-line block ×7, first 2 shown]
.LBB138_31:                             ; =>This Inner Loop Header: Depth=1
	v_ashrrev_i32_e32 v89, 31, v88
	v_lshlrev_b64 v[4:5], 2, v[88:89]
	v_add_co_u32_e32 v36, vcc, s12, v4
	v_addc_co_u32_e32 v37, vcc, v2, v5, vcc
	global_load_dword v38, v[36:37], off
	global_load_dwordx4 v[4:7], v[90:91], off offset:48
	global_load_dwordx4 v[8:11], v[90:91], off offset:32
	;; [unrolled: 1-line block ×3, first 2 shown]
	global_load_dwordx4 v[16:19], v[90:91], off
	global_load_dwordx4 v[20:23], v[90:91], off offset:80
	global_load_dwordx4 v[24:27], v[90:91], off offset:64
	;; [unrolled: 1-line block ×4, first 2 shown]
	v_add_u32_e32 v1, 0xffffff80, v1
	v_add_u32_e32 v88, 32, v88
	s_waitcnt vmcnt(8)
	v_subrev_u32_e32 v36, s20, v38
	v_lshlrev_b32_e32 v36, 2, v36
	v_ashrrev_i32_e32 v37, 31, v36
	v_lshlrev_b64 v[36:37], 4, v[36:37]
	v_add_co_u32_e32 v52, vcc, s8, v36
	v_addc_co_u32_e32 v53, vcc, v3, v37, vcc
	global_load_dwordx4 v[36:39], v[52:53], off
	global_load_dwordx4 v[40:43], v[52:53], off offset:16
	global_load_dwordx4 v[44:47], v[52:53], off offset:32
	;; [unrolled: 1-line block ×3, first 2 shown]
	v_add_co_u32_e32 v90, vcc, 0x1000, v90
	v_addc_co_u32_e32 v91, vcc, 0, v91, vcc
	v_cmp_eq_u32_e32 vcc, 0, v1
	s_or_b64 s[4:5], vcc, s[4:5]
	s_waitcnt vmcnt(3)
	v_fmac_f64_e32 v[92:93], v[16:17], v[36:37]
	v_fmac_f64_e32 v[84:85], 0, v[36:37]
	v_fmac_f64_e32 v[86:87], v[18:19], v[36:37]
	v_fmac_f64_e32 v[82:83], 0, v[36:37]
	v_fmac_f64_e32 v[80:81], v[12:13], v[36:37]
	v_fmac_f64_e32 v[78:79], 0, v[36:37]
	v_fmac_f64_e32 v[76:77], v[14:15], v[36:37]
	v_fmac_f64_e32 v[74:75], 0, v[36:37]
	v_fmac_f64_e32 v[84:85], v[16:17], v[38:39]
	v_fmac_f64_e32 v[82:83], v[18:19], v[38:39]
	v_fmac_f64_e32 v[92:93], 0x80000000, v[38:39]
	v_fmac_f64_e32 v[86:87], 0x80000000, v[38:39]
	v_fmac_f64_e32 v[80:81], 0x80000000, v[38:39]
	v_fmac_f64_e32 v[78:79], v[12:13], v[38:39]
	v_fmac_f64_e32 v[76:77], 0x80000000, v[38:39]
	v_fmac_f64_e32 v[74:75], v[14:15], v[38:39]
	s_waitcnt vmcnt(2)
	v_fmac_f64_e32 v[92:93], v[8:9], v[40:41]
	v_fmac_f64_e32 v[84:85], 0, v[40:41]
	v_fmac_f64_e32 v[86:87], v[10:11], v[40:41]
	v_fmac_f64_e32 v[82:83], 0, v[40:41]
	v_fmac_f64_e32 v[80:81], v[4:5], v[40:41]
	v_fmac_f64_e32 v[78:79], 0, v[40:41]
	v_fmac_f64_e32 v[76:77], v[6:7], v[40:41]
	v_fmac_f64_e32 v[74:75], 0, v[40:41]
	v_fmac_f64_e32 v[92:93], 0x80000000, v[42:43]
	v_fmac_f64_e32 v[84:85], v[8:9], v[42:43]
	v_fmac_f64_e32 v[86:87], 0x80000000, v[42:43]
	v_fmac_f64_e32 v[82:83], v[10:11], v[42:43]
	v_fmac_f64_e32 v[80:81], 0x80000000, v[42:43]
	v_fmac_f64_e32 v[78:79], v[4:5], v[42:43]
	v_fmac_f64_e32 v[76:77], 0x80000000, v[42:43]
	v_fmac_f64_e32 v[74:75], v[6:7], v[42:43]
	;; [unrolled: 17-line block ×4, first 2 shown]
	s_andn2_b64 exec, exec, s[4:5]
	s_cbranch_execnz .LBB138_31
; %bb.32:
	s_or_b64 exec, exec, s[4:5]
.LBB138_33:
	s_or_b64 exec, exec, s[0:1]
	s_movk_i32 s0, 0x5f
	v_cmp_lt_u32_e32 vcc, s0, v0
	s_and_saveexec_b64 s[4:5], vcc
	s_cbranch_execz .LBB138_37
; %bb.34:
	s_mov_b64 s[10:11], 0
	v_mov_b32_e32 v54, s13
	s_waitcnt lgkmcnt(0)
	v_mov_b32_e32 v55, s9
	s_movk_i32 s9, 0x1000
	s_movk_i32 s13, 0x2000
	;; [unrolled: 1-line block ×3, first 2 shown]
.LBB138_35:                             ; =>This Inner Loop Header: Depth=1
	v_add_co_u32_e32 v32, vcc, s9, v90
	v_addc_co_u32_e32 v33, vcc, 0, v91, vcc
	v_add_co_u32_e32 v40, vcc, s13, v90
	v_addc_co_u32_e32 v41, vcc, 0, v91, vcc
	v_ashrrev_i32_e32 v89, 31, v88
	v_add_co_u32_e32 v52, vcc, s14, v90
	v_addc_co_u32_e32 v53, vcc, 0, v91, vcc
	v_lshlrev_b64 v[38:39], 2, v[88:89]
	v_add_co_u32_e32 v38, vcc, s12, v38
	v_addc_co_u32_e32 v39, vcc, v54, v39, vcc
	global_load_dwordx4 v[0:3], v[90:91], off offset:32
	global_load_dwordx4 v[4:7], v[90:91], off offset:16
	;; [unrolled: 1-line block ×7, first 2 shown]
	global_load_dwordx4 v[34:37], v[90:91], off
	global_load_dwordx4 v[20:23], v[40:41], off offset:112
	global_load_dword v42, v[38:39], off
	global_load_dword v48, v[38:39], off offset:128
	global_load_dword v49, v[38:39], off offset:256
	;; [unrolled: 1-line block ×3, first 2 shown]
	v_add_u32_e32 v88, 0x80, v88
	v_cmp_ge_i32_e64 s[0:1], v88, v98
	s_or_b64 s[10:11], s[0:1], s[10:11]
	s_waitcnt vmcnt(3)
	v_subrev_u32_e32 v38, s20, v42
	v_lshlrev_b32_e32 v38, 2, v38
	v_ashrrev_i32_e32 v39, 31, v38
	v_lshlrev_b64 v[38:39], 4, v[38:39]
	v_add_co_u32_e32 v38, vcc, s8, v38
	v_addc_co_u32_e32 v39, vcc, v55, v39, vcc
	global_load_dwordx4 v[42:45], v[38:39], off
	global_load_dwordx4 v[56:59], v[38:39], off offset:16
	s_waitcnt vmcnt(1)
	v_fmac_f64_e32 v[84:85], 0, v[42:43]
	v_fmac_f64_e32 v[82:83], 0, v[42:43]
	;; [unrolled: 1-line block ×8, first 2 shown]
	s_waitcnt vmcnt(0)
	v_fmac_f64_e32 v[84:85], 0, v[56:57]
	v_fmac_f64_e32 v[82:83], 0, v[56:57]
	;; [unrolled: 1-line block ×6, first 2 shown]
	global_load_dwordx4 v[0:3], v[38:39], off offset:32
	v_fmac_f64_e32 v[80:81], v[4:5], v[42:43]
	v_fmac_f64_e32 v[78:79], 0, v[42:43]
	v_fmac_f64_e32 v[76:77], v[6:7], v[42:43]
	v_fmac_f64_e32 v[74:75], 0, v[42:43]
	v_fmac_f64_e32 v[78:79], v[4:5], v[44:45]
	v_fmac_f64_e32 v[74:75], v[6:7], v[44:45]
	v_fmac_f64_e32 v[80:81], 0x80000000, v[44:45]
	v_fmac_f64_e32 v[76:77], 0x80000000, v[44:45]
	v_fmac_f64_e32 v[80:81], v[28:29], v[56:57]
	v_fmac_f64_e32 v[78:79], 0, v[56:57]
	v_fmac_f64_e32 v[76:77], v[30:31], v[56:57]
	v_fmac_f64_e32 v[74:75], 0, v[56:57]
	v_fmac_f64_e32 v[78:79], v[28:29], v[58:59]
	v_fmac_f64_e32 v[74:75], v[30:31], v[58:59]
	v_fmac_f64_e32 v[92:93], 0x80000000, v[58:59]
	v_fmac_f64_e32 v[86:87], 0x80000000, v[58:59]
	v_fmac_f64_e32 v[80:81], 0x80000000, v[58:59]
	v_fmac_f64_e32 v[76:77], 0x80000000, v[58:59]
	global_load_dwordx4 v[34:37], v[32:33], off offset:32
	global_load_dwordx4 v[4:7], v[32:33], off offset:16
	;; [unrolled: 1-line block ×5, first 2 shown]
	s_waitcnt vmcnt(5)
	v_fmac_f64_e32 v[92:93], v[24:25], v[0:1]
	v_fmac_f64_e32 v[84:85], 0, v[0:1]
	;; [unrolled: 1-line block ×8, first 2 shown]
	v_subrev_u32_e32 v0, s20, v48
	v_lshlrev_b32_e32 v0, 2, v0
	v_ashrrev_i32_e32 v1, 31, v0
	v_lshlrev_b64 v[0:1], 4, v[0:1]
	v_add_co_u32_e32 v104, vcc, s8, v0
	v_fmac_f64_e32 v[84:85], v[24:25], v[2:3]
	v_fmac_f64_e32 v[82:83], v[26:27], v[2:3]
	;; [unrolled: 1-line block ×4, first 2 shown]
	global_load_dwordx4 v[16:19], v[32:33], off offset:48
	global_load_dwordx4 v[60:63], v[32:33], off offset:64
	v_fmac_f64_e32 v[92:93], 0x80000000, v[2:3]
	v_fmac_f64_e32 v[86:87], 0x80000000, v[2:3]
	;; [unrolled: 1-line block ×4, first 2 shown]
	v_addc_co_u32_e32 v105, vcc, v55, v1, vcc
	global_load_dwordx4 v[0:3], v[38:39], off offset:48
	global_load_dwordx4 v[100:103], v[40:41], off offset:32
	;; [unrolled: 1-line block ×3, first 2 shown]
	global_load_dwordx4 v[94:97], v[40:41], off
	s_waitcnt vmcnt(3)
	v_fmac_f64_e32 v[92:93], v[12:13], v[0:1]
	v_fmac_f64_e32 v[84:85], 0, v[0:1]
	;; [unrolled: 1-line block ×10, first 2 shown]
	global_load_dwordx4 v[12:15], v[40:41], off offset:-4096
	v_fmac_f64_e32 v[78:79], v[8:9], v[2:3]
	v_fmac_f64_e32 v[74:75], v[10:11], v[2:3]
	;; [unrolled: 1-line block ×6, first 2 shown]
	global_load_dwordx4 v[0:3], v[104:105], off
	global_load_dwordx4 v[8:11], v[52:53], off offset:32
	s_waitcnt vmcnt(1)
	v_fmac_f64_e32 v[92:93], v[12:13], v[0:1]
	v_fmac_f64_e32 v[84:85], 0, v[0:1]
	;; [unrolled: 1-line block ×16, first 2 shown]
	global_load_dwordx4 v[0:3], v[104:105], off offset:16
	v_subrev_u32_e32 v4, s20, v49
	v_lshlrev_b32_e32 v4, 2, v4
	v_ashrrev_i32_e32 v5, 31, v4
	v_lshlrev_b64 v[4:5], 4, v[4:5]
	v_add_co_u32_e32 v48, vcc, s8, v4
	v_addc_co_u32_e32 v49, vcc, v55, v5, vcc
	global_load_dwordx4 v[12:15], v[40:41], off offset:16
	global_load_dwordx4 v[4:7], v[52:53], off offset:48
	s_waitcnt vmcnt(2)
	v_fmac_f64_e32 v[92:93], v[34:35], v[0:1]
	v_fmac_f64_e32 v[84:85], 0, v[0:1]
	v_fmac_f64_e32 v[86:87], v[36:37], v[0:1]
	v_fmac_f64_e32 v[82:83], 0, v[0:1]
	v_fmac_f64_e32 v[80:81], v[16:17], v[0:1]
	v_fmac_f64_e32 v[78:79], 0, v[0:1]
	v_fmac_f64_e32 v[76:77], v[18:19], v[0:1]
	v_fmac_f64_e32 v[74:75], 0, v[0:1]
	v_fmac_f64_e32 v[84:85], v[34:35], v[2:3]
	v_fmac_f64_e32 v[82:83], v[36:37], v[2:3]
	v_fmac_f64_e32 v[78:79], v[16:17], v[2:3]
	v_fmac_f64_e32 v[74:75], v[18:19], v[2:3]
	v_fmac_f64_e32 v[92:93], 0x80000000, v[2:3]
	v_fmac_f64_e32 v[86:87], 0x80000000, v[2:3]
	v_fmac_f64_e32 v[80:81], 0x80000000, v[2:3]
	v_fmac_f64_e32 v[76:77], 0x80000000, v[2:3]
	global_load_dwordx4 v[0:3], v[104:105], off offset:32
	global_load_dwordx4 v[16:19], v[104:105], off offset:48
	;; [unrolled: 1-line block ×4, first 2 shown]
	s_waitcnt vmcnt(3)
	v_fmac_f64_e32 v[84:85], 0, v[0:1]
	v_fmac_f64_e32 v[82:83], 0, v[0:1]
	;; [unrolled: 1-line block ×10, first 2 shown]
	s_waitcnt vmcnt(2)
	v_fmac_f64_e32 v[84:85], 0, v[16:17]
	v_fmac_f64_e32 v[82:83], 0, v[16:17]
	;; [unrolled: 1-line block ×10, first 2 shown]
	global_load_dwordx4 v[28:31], v[48:49], off
	v_fmac_f64_e32 v[80:81], 0x80000000, v[2:3]
	v_fmac_f64_e32 v[76:77], 0x80000000, v[2:3]
	;; [unrolled: 1-line block ×8, first 2 shown]
	global_load_dwordx4 v[44:47], v[48:49], off offset:16
	global_load_dwordx4 v[56:59], v[48:49], off offset:32
	v_fmac_f64_e32 v[92:93], 0x80000000, v[18:19]
	global_load_dwordx4 v[40:43], v[40:41], off offset:64
	v_fmac_f64_e32 v[86:87], 0x80000000, v[18:19]
	v_fmac_f64_e32 v[80:81], 0x80000000, v[18:19]
	;; [unrolled: 1-line block ×3, first 2 shown]
	global_load_dwordx4 v[0:3], v[52:53], off
	global_load_dwordx4 v[16:19], v[52:53], off offset:16
	s_waitcnt vmcnt(5)
	v_fmac_f64_e32 v[84:85], 0, v[28:29]
	v_fmac_f64_e32 v[92:93], v[94:95], v[28:29]
	;; [unrolled: 1-line block ×10, first 2 shown]
	s_waitcnt vmcnt(4)
	v_fmac_f64_e32 v[84:85], 0, v[44:45]
	v_fmac_f64_e32 v[82:83], v[96:97], v[30:31]
	;; [unrolled: 1-line block ×15, first 2 shown]
	v_subrev_u32_e32 v44, s20, v50
	v_fmac_f64_e32 v[92:93], 0x80000000, v[46:47]
	s_waitcnt vmcnt(3)
	v_fmac_f64_e32 v[84:85], 0, v[56:57]
	v_fmac_f64_e32 v[82:83], v[102:103], v[46:47]
	;; [unrolled: 1-line block ×7, first 2 shown]
	s_waitcnt vmcnt(2)
	v_fmac_f64_e32 v[92:93], v[40:41], v[56:57]
	v_fmac_f64_e32 v[84:85], v[40:41], v[58:59]
	v_lshlrev_b32_e32 v40, 2, v44
	global_load_dwordx4 v[44:47], v[48:49], off offset:48
	v_ashrrev_i32_e32 v41, 31, v40
	v_lshlrev_b64 v[40:41], 4, v[40:41]
	v_add_co_u32_e32 v60, vcc, s8, v40
	v_fmac_f64_e32 v[82:83], 0, v[56:57]
	v_addc_co_u32_e32 v61, vcc, v55, v41, vcc
	v_fmac_f64_e32 v[86:87], v[42:43], v[56:57]
	v_fmac_f64_e32 v[82:83], v[42:43], v[58:59]
	global_load_dwordx4 v[40:43], v[60:61], off
	v_fmac_f64_e32 v[78:79], 0, v[56:57]
	v_fmac_f64_e32 v[74:75], 0, v[56:57]
	;; [unrolled: 1-line block ×6, first 2 shown]
	global_load_dwordx4 v[32:35], v[60:61], off offset:16
	v_fmac_f64_e32 v[92:93], 0x80000000, v[58:59]
	v_fmac_f64_e32 v[86:87], 0x80000000, v[58:59]
	global_load_dwordx4 v[28:31], v[52:53], off offset:80
	global_load_dwordx4 v[36:39], v[52:53], off offset:64
	v_fmac_f64_e32 v[80:81], 0x80000000, v[58:59]
	v_fmac_f64_e32 v[76:77], 0x80000000, v[58:59]
	global_load_dwordx4 v[12:15], v[52:53], off offset:96
	v_add_co_u32_e32 v90, vcc, 0x4000, v90
	v_addc_co_u32_e32 v91, vcc, 0, v91, vcc
	s_waitcnt vmcnt(5)
	v_fmac_f64_e32 v[84:85], 0, v[44:45]
	v_fmac_f64_e32 v[82:83], 0, v[44:45]
	;; [unrolled: 1-line block ×6, first 2 shown]
	global_load_dwordx4 v[24:27], v[60:61], off offset:32
	v_fmac_f64_e32 v[78:79], 0, v[44:45]
	v_fmac_f64_e32 v[74:75], 0, v[44:45]
	;; [unrolled: 1-line block ×6, first 2 shown]
	global_load_dwordx4 v[20:23], v[60:61], off offset:48
	global_load_dwordx4 v[48:51], v[52:53], off offset:112
	v_fmac_f64_e32 v[92:93], 0x80000000, v[46:47]
	v_fmac_f64_e32 v[86:87], 0x80000000, v[46:47]
	v_fmac_f64_e32 v[80:81], 0x80000000, v[46:47]
	v_fmac_f64_e32 v[76:77], 0x80000000, v[46:47]
	s_waitcnt vmcnt(7)
	v_fmac_f64_e32 v[92:93], v[0:1], v[40:41]
	v_fmac_f64_e32 v[84:85], 0, v[40:41]
	v_fmac_f64_e32 v[86:87], v[2:3], v[40:41]
	v_fmac_f64_e32 v[82:83], 0, v[40:41]
	v_fmac_f64_e32 v[80:81], v[16:17], v[40:41]
	v_fmac_f64_e32 v[78:79], 0, v[40:41]
	v_fmac_f64_e32 v[76:77], v[18:19], v[40:41]
	v_fmac_f64_e32 v[74:75], 0, v[40:41]
	v_fmac_f64_e32 v[92:93], 0x80000000, v[42:43]
	v_fmac_f64_e32 v[84:85], v[0:1], v[42:43]
	v_fmac_f64_e32 v[86:87], 0x80000000, v[42:43]
	v_fmac_f64_e32 v[82:83], v[2:3], v[42:43]
	v_fmac_f64_e32 v[80:81], 0x80000000, v[42:43]
	v_fmac_f64_e32 v[78:79], v[16:17], v[42:43]
	v_fmac_f64_e32 v[76:77], 0x80000000, v[42:43]
	v_fmac_f64_e32 v[74:75], v[18:19], v[42:43]
	s_waitcnt vmcnt(6)
	v_fmac_f64_e32 v[92:93], v[8:9], v[32:33]
	v_fmac_f64_e32 v[84:85], 0, v[32:33]
	v_fmac_f64_e32 v[86:87], v[10:11], v[32:33]
	v_fmac_f64_e32 v[82:83], 0, v[32:33]
	v_fmac_f64_e32 v[80:81], v[4:5], v[32:33]
	v_fmac_f64_e32 v[78:79], 0, v[32:33]
	v_fmac_f64_e32 v[76:77], v[6:7], v[32:33]
	v_fmac_f64_e32 v[74:75], 0, v[32:33]
	v_fmac_f64_e32 v[92:93], 0x80000000, v[34:35]
	v_fmac_f64_e32 v[84:85], v[8:9], v[34:35]
	v_fmac_f64_e32 v[86:87], 0x80000000, v[34:35]
	v_fmac_f64_e32 v[82:83], v[10:11], v[34:35]
	;; [unrolled: 17-line block ×3, first 2 shown]
	v_fmac_f64_e32 v[80:81], 0x80000000, v[26:27]
	v_fmac_f64_e32 v[78:79], v[28:29], v[26:27]
	;; [unrolled: 1-line block ×4, first 2 shown]
	s_waitcnt vmcnt(1)
	v_fmac_f64_e32 v[92:93], v[12:13], v[20:21]
	v_fmac_f64_e32 v[84:85], 0, v[20:21]
	;; [unrolled: 1-line block ×4, first 2 shown]
	s_waitcnt vmcnt(0)
	v_fmac_f64_e32 v[80:81], v[48:49], v[20:21]
	v_fmac_f64_e32 v[78:79], 0, v[20:21]
	;; [unrolled: 1-line block ×12, first 2 shown]
	s_andn2_b64 exec, exec, s[10:11]
	s_cbranch_execnz .LBB138_35
; %bb.36:
	s_or_b64 exec, exec, s[10:11]
.LBB138_37:
	s_or_b64 exec, exec, s[4:5]
.LBB138_38:
	s_or_b64 exec, exec, s[2:3]
.LBB138_39:
	v_mov_b32_dpp v0, v92 row_shr:1 row_mask:0xf bank_mask:0xf
	v_mov_b32_dpp v1, v93 row_shr:1 row_mask:0xf bank_mask:0xf
	v_mov_b32_dpp v4, v84 row_shr:1 row_mask:0xf bank_mask:0xf
	v_mov_b32_dpp v5, v85 row_shr:1 row_mask:0xf bank_mask:0xf
	v_mov_b32_dpp v8, v86 row_shr:1 row_mask:0xf bank_mask:0xf
	v_mov_b32_dpp v9, v87 row_shr:1 row_mask:0xf bank_mask:0xf
	v_mov_b32_dpp v12, v82 row_shr:1 row_mask:0xf bank_mask:0xf
	v_mov_b32_dpp v13, v83 row_shr:1 row_mask:0xf bank_mask:0xf
	v_mov_b32_dpp v16, v80 row_shr:1 row_mask:0xf bank_mask:0xf
	v_mov_b32_dpp v17, v81 row_shr:1 row_mask:0xf bank_mask:0xf
	v_mov_b32_dpp v20, v78 row_shr:1 row_mask:0xf bank_mask:0xf
	v_mov_b32_dpp v21, v79 row_shr:1 row_mask:0xf bank_mask:0xf
	v_mov_b32_dpp v24, v76 row_shr:1 row_mask:0xf bank_mask:0xf
	v_mov_b32_dpp v25, v77 row_shr:1 row_mask:0xf bank_mask:0xf
	v_mov_b32_dpp v28, v74 row_shr:1 row_mask:0xf bank_mask:0xf
	v_mov_b32_dpp v29, v75 row_shr:1 row_mask:0xf bank_mask:0xf
	v_add_f64 v[0:1], v[92:93], v[0:1]
	v_add_f64 v[4:5], v[84:85], v[4:5]
	v_add_f64 v[8:9], v[86:87], v[8:9]
	v_add_f64 v[12:13], v[82:83], v[12:13]
	v_add_f64 v[16:17], v[80:81], v[16:17]
	v_add_f64 v[20:21], v[78:79], v[20:21]
	v_add_f64 v[24:25], v[76:77], v[24:25]
	v_add_f64 v[28:29], v[74:75], v[28:29]
	v_mov_b32_dpp v2, v0 row_shr:2 row_mask:0xf bank_mask:0xf
	v_mov_b32_dpp v3, v1 row_shr:2 row_mask:0xf bank_mask:0xf
	v_mov_b32_dpp v6, v4 row_shr:2 row_mask:0xf bank_mask:0xf
	v_mov_b32_dpp v7, v5 row_shr:2 row_mask:0xf bank_mask:0xf
	v_mov_b32_dpp v10, v8 row_shr:2 row_mask:0xf bank_mask:0xf
	v_mov_b32_dpp v11, v9 row_shr:2 row_mask:0xf bank_mask:0xf
	v_mov_b32_dpp v14, v12 row_shr:2 row_mask:0xf bank_mask:0xf
	v_mov_b32_dpp v15, v13 row_shr:2 row_mask:0xf bank_mask:0xf
	v_mov_b32_dpp v18, v16 row_shr:2 row_mask:0xf bank_mask:0xf
	v_mov_b32_dpp v19, v17 row_shr:2 row_mask:0xf bank_mask:0xf
	v_mov_b32_dpp v22, v20 row_shr:2 row_mask:0xf bank_mask:0xf
	v_mov_b32_dpp v23, v21 row_shr:2 row_mask:0xf bank_mask:0xf
	v_mov_b32_dpp v26, v24 row_shr:2 row_mask:0xf bank_mask:0xf
	v_mov_b32_dpp v27, v25 row_shr:2 row_mask:0xf bank_mask:0xf
	v_mov_b32_dpp v30, v28 row_shr:2 row_mask:0xf bank_mask:0xf
	v_mov_b32_dpp v31, v29 row_shr:2 row_mask:0xf bank_mask:0xf
	v_add_f64 v[0:1], v[0:1], v[2:3]
	v_add_f64 v[4:5], v[4:5], v[6:7]
	v_add_f64 v[8:9], v[8:9], v[10:11]
	v_add_f64 v[12:13], v[12:13], v[14:15]
	v_add_f64 v[16:17], v[16:17], v[18:19]
	v_add_f64 v[20:21], v[20:21], v[22:23]
	v_add_f64 v[24:25], v[24:25], v[26:27]
	v_add_f64 v[28:29], v[28:29], v[30:31]
	;; [unrolled: 24-line block ×4, first 2 shown]
	v_mov_b32_dpp v2, v0 row_bcast:15 row_mask:0xa bank_mask:0xf
	v_mov_b32_dpp v3, v1 row_bcast:15 row_mask:0xa bank_mask:0xf
	;; [unrolled: 1-line block ×16, first 2 shown]
	v_cmp_eq_u32_e32 vcc, 31, v73
	s_and_b64 exec, exec, vcc
	s_cbranch_execz .LBB138_12
; %bb.40:
	s_load_dwordx2 s[2:3], s[6:7], 0x60
	v_add_f64 v[32:33], v[0:1], v[2:3]
	v_add_f64 v[0:1], v[4:5], v[6:7]
	;; [unrolled: 1-line block ×8, first 2 shown]
	v_cmp_eq_f64_e32 vcc, 0, v[64:65]
	v_cmp_eq_f64_e64 s[0:1], 0, v[66:67]
	v_mul_f64 v[12:13], v[0:1], -v[70:71]
	v_mul_f64 v[14:15], v[68:69], v[0:1]
	v_mul_f64 v[8:9], v[2:3], -v[70:71]
	v_mul_f64 v[10:11], v[68:69], v[2:3]
	;; [unrolled: 2-line block ×4, first 2 shown]
	s_and_b64 s[0:1], vcc, s[0:1]
	v_fmac_f64_e32 v[12:13], v[68:69], v[32:33]
	v_fmac_f64_e32 v[14:15], v[70:71], v[32:33]
	v_lshlrev_b32_e32 v16, 2, v72
	v_fmac_f64_e32 v[8:9], v[68:69], v[34:35]
	v_fmac_f64_e32 v[10:11], v[70:71], v[34:35]
	;; [unrolled: 1-line block ×6, first 2 shown]
	s_and_saveexec_b64 s[4:5], s[0:1]
	s_xor_b64 s[0:1], exec, s[4:5]
	s_cbranch_execz .LBB138_42
; %bb.41:
	v_ashrrev_i32_e32 v17, 31, v16
	v_lshlrev_b64 v[16:17], 4, v[16:17]
	s_waitcnt lgkmcnt(0)
	v_mov_b32_e32 v18, s3
	v_add_co_u32_e32 v16, vcc, s2, v16
	v_addc_co_u32_e32 v17, vcc, v18, v17, vcc
	global_store_dwordx4 v[16:17], v[12:15], off
	global_store_dwordx4 v[16:17], v[8:11], off offset:16
	global_store_dwordx4 v[16:17], v[4:7], off offset:32
	;; [unrolled: 1-line block ×3, first 2 shown]
                                        ; implicit-def: $vgpr64_vgpr65
                                        ; implicit-def: $vgpr66_vgpr67
                                        ; implicit-def: $vgpr12_vgpr13
                                        ; implicit-def: $vgpr16
                                        ; implicit-def: $vgpr8_vgpr9
                                        ; implicit-def: $vgpr4_vgpr5
                                        ; implicit-def: $vgpr0_vgpr1
.LBB138_42:
	s_andn2_saveexec_b64 s[0:1], s[0:1]
	s_cbranch_execz .LBB138_12
; %bb.43:
	v_ashrrev_i32_e32 v17, 31, v16
	v_lshlrev_b64 v[16:17], 4, v[16:17]
	s_waitcnt lgkmcnt(0)
	v_mov_b32_e32 v18, s3
	v_add_co_u32_e32 v32, vcc, s2, v16
	v_addc_co_u32_e32 v33, vcc, v18, v17, vcc
	global_load_dwordx4 v[16:19], v[32:33], off
	global_load_dwordx4 v[20:23], v[32:33], off offset:16
	global_load_dwordx4 v[24:27], v[32:33], off offset:32
	;; [unrolled: 1-line block ×3, first 2 shown]
	s_waitcnt vmcnt(3)
	v_fmac_f64_e32 v[12:13], v[64:65], v[16:17]
	v_fmac_f64_e32 v[14:15], v[66:67], v[16:17]
	s_waitcnt vmcnt(2)
	v_fmac_f64_e32 v[8:9], v[64:65], v[20:21]
	v_fmac_f64_e32 v[10:11], v[66:67], v[20:21]
	s_waitcnt vmcnt(1)
	v_fmac_f64_e32 v[4:5], v[64:65], v[24:25]
	v_fmac_f64_e32 v[6:7], v[66:67], v[24:25]
	s_waitcnt vmcnt(0)
	v_fmac_f64_e32 v[0:1], v[64:65], v[28:29]
	v_fmac_f64_e32 v[2:3], v[66:67], v[28:29]
	v_fma_f64 v[12:13], -v[66:67], v[18:19], v[12:13]
	v_fmac_f64_e32 v[14:15], v[64:65], v[18:19]
	v_fma_f64 v[8:9], -v[66:67], v[22:23], v[8:9]
	v_fmac_f64_e32 v[10:11], v[64:65], v[22:23]
	;; [unrolled: 2-line block ×4, first 2 shown]
	global_store_dwordx4 v[32:33], v[12:15], off
	global_store_dwordx4 v[32:33], v[8:11], off offset:16
	global_store_dwordx4 v[32:33], v[4:7], off offset:32
	;; [unrolled: 1-line block ×3, first 2 shown]
	s_endpgm
	.section	.rodata,"a",@progbits
	.p2align	6, 0x0
	.amdhsa_kernel _ZN9rocsparseL18bsrxmvn_4x4_kernelILj128ELj32E21rocsparse_complex_numIdEiidS2_S2_EEvT3_20rocsparse_direction_NS_24const_host_device_scalarIT1_EES3_PKS3_PKT2_SC_S9_PKT4_PKT5_S7_PT6_21rocsparse_index_base_b
		.amdhsa_group_segment_fixed_size 2048
		.amdhsa_private_segment_fixed_size 0
		.amdhsa_kernarg_size 112
		.amdhsa_user_sgpr_count 8
		.amdhsa_user_sgpr_private_segment_buffer 1
		.amdhsa_user_sgpr_dispatch_ptr 1
		.amdhsa_user_sgpr_queue_ptr 0
		.amdhsa_user_sgpr_kernarg_segment_ptr 1
		.amdhsa_user_sgpr_dispatch_id 0
		.amdhsa_user_sgpr_flat_scratch_init 0
		.amdhsa_user_sgpr_kernarg_preload_length 0
		.amdhsa_user_sgpr_kernarg_preload_offset 0
		.amdhsa_user_sgpr_private_segment_size 0
		.amdhsa_uses_dynamic_stack 0
		.amdhsa_system_sgpr_private_segment_wavefront_offset 0
		.amdhsa_system_sgpr_workgroup_id_x 1
		.amdhsa_system_sgpr_workgroup_id_y 0
		.amdhsa_system_sgpr_workgroup_id_z 0
		.amdhsa_system_sgpr_workgroup_info 0
		.amdhsa_system_vgpr_workitem_id 2
		.amdhsa_next_free_vgpr 118
		.amdhsa_next_free_sgpr 24
		.amdhsa_accum_offset 120
		.amdhsa_reserve_vcc 1
		.amdhsa_reserve_flat_scratch 0
		.amdhsa_float_round_mode_32 0
		.amdhsa_float_round_mode_16_64 0
		.amdhsa_float_denorm_mode_32 3
		.amdhsa_float_denorm_mode_16_64 3
		.amdhsa_dx10_clamp 1
		.amdhsa_ieee_mode 1
		.amdhsa_fp16_overflow 0
		.amdhsa_tg_split 0
		.amdhsa_exception_fp_ieee_invalid_op 0
		.amdhsa_exception_fp_denorm_src 0
		.amdhsa_exception_fp_ieee_div_zero 0
		.amdhsa_exception_fp_ieee_overflow 0
		.amdhsa_exception_fp_ieee_underflow 0
		.amdhsa_exception_fp_ieee_inexact 0
		.amdhsa_exception_int_div_zero 0
	.end_amdhsa_kernel
	.section	.text._ZN9rocsparseL18bsrxmvn_4x4_kernelILj128ELj32E21rocsparse_complex_numIdEiidS2_S2_EEvT3_20rocsparse_direction_NS_24const_host_device_scalarIT1_EES3_PKS3_PKT2_SC_S9_PKT4_PKT5_S7_PT6_21rocsparse_index_base_b,"axG",@progbits,_ZN9rocsparseL18bsrxmvn_4x4_kernelILj128ELj32E21rocsparse_complex_numIdEiidS2_S2_EEvT3_20rocsparse_direction_NS_24const_host_device_scalarIT1_EES3_PKS3_PKT2_SC_S9_PKT4_PKT5_S7_PT6_21rocsparse_index_base_b,comdat
.Lfunc_end138:
	.size	_ZN9rocsparseL18bsrxmvn_4x4_kernelILj128ELj32E21rocsparse_complex_numIdEiidS2_S2_EEvT3_20rocsparse_direction_NS_24const_host_device_scalarIT1_EES3_PKS3_PKT2_SC_S9_PKT4_PKT5_S7_PT6_21rocsparse_index_base_b, .Lfunc_end138-_ZN9rocsparseL18bsrxmvn_4x4_kernelILj128ELj32E21rocsparse_complex_numIdEiidS2_S2_EEvT3_20rocsparse_direction_NS_24const_host_device_scalarIT1_EES3_PKS3_PKT2_SC_S9_PKT4_PKT5_S7_PT6_21rocsparse_index_base_b
                                        ; -- End function
	.section	.AMDGPU.csdata,"",@progbits
; Kernel info:
; codeLenInByte = 7756
; NumSgprs: 28
; NumVgprs: 118
; NumAgprs: 0
; TotalNumVgprs: 118
; ScratchSize: 0
; MemoryBound: 0
; FloatMode: 240
; IeeeMode: 1
; LDSByteSize: 2048 bytes/workgroup (compile time only)
; SGPRBlocks: 3
; VGPRBlocks: 14
; NumSGPRsForWavesPerEU: 28
; NumVGPRsForWavesPerEU: 118
; AccumOffset: 120
; Occupancy: 4
; WaveLimiterHint : 1
; COMPUTE_PGM_RSRC2:SCRATCH_EN: 0
; COMPUTE_PGM_RSRC2:USER_SGPR: 8
; COMPUTE_PGM_RSRC2:TRAP_HANDLER: 0
; COMPUTE_PGM_RSRC2:TGID_X_EN: 1
; COMPUTE_PGM_RSRC2:TGID_Y_EN: 0
; COMPUTE_PGM_RSRC2:TGID_Z_EN: 0
; COMPUTE_PGM_RSRC2:TIDIG_COMP_CNT: 2
; COMPUTE_PGM_RSRC3_GFX90A:ACCUM_OFFSET: 29
; COMPUTE_PGM_RSRC3_GFX90A:TG_SPLIT: 0
	.section	.text._ZN9rocsparseL18bsrxmvn_4x4_kernelILj128ELj64E21rocsparse_complex_numIdEiidS2_S2_EEvT3_20rocsparse_direction_NS_24const_host_device_scalarIT1_EES3_PKS3_PKT2_SC_S9_PKT4_PKT5_S7_PT6_21rocsparse_index_base_b,"axG",@progbits,_ZN9rocsparseL18bsrxmvn_4x4_kernelILj128ELj64E21rocsparse_complex_numIdEiidS2_S2_EEvT3_20rocsparse_direction_NS_24const_host_device_scalarIT1_EES3_PKS3_PKT2_SC_S9_PKT4_PKT5_S7_PT6_21rocsparse_index_base_b,comdat
	.globl	_ZN9rocsparseL18bsrxmvn_4x4_kernelILj128ELj64E21rocsparse_complex_numIdEiidS2_S2_EEvT3_20rocsparse_direction_NS_24const_host_device_scalarIT1_EES3_PKS3_PKT2_SC_S9_PKT4_PKT5_S7_PT6_21rocsparse_index_base_b ; -- Begin function _ZN9rocsparseL18bsrxmvn_4x4_kernelILj128ELj64E21rocsparse_complex_numIdEiidS2_S2_EEvT3_20rocsparse_direction_NS_24const_host_device_scalarIT1_EES3_PKS3_PKT2_SC_S9_PKT4_PKT5_S7_PT6_21rocsparse_index_base_b
	.p2align	8
	.type	_ZN9rocsparseL18bsrxmvn_4x4_kernelILj128ELj64E21rocsparse_complex_numIdEiidS2_S2_EEvT3_20rocsparse_direction_NS_24const_host_device_scalarIT1_EES3_PKS3_PKT2_SC_S9_PKT4_PKT5_S7_PT6_21rocsparse_index_base_b,@function
_ZN9rocsparseL18bsrxmvn_4x4_kernelILj128ELj64E21rocsparse_complex_numIdEiidS2_S2_EEvT3_20rocsparse_direction_NS_24const_host_device_scalarIT1_EES3_PKS3_PKT2_SC_S9_PKT4_PKT5_S7_PT6_21rocsparse_index_base_b: ; @_ZN9rocsparseL18bsrxmvn_4x4_kernelILj128ELj64E21rocsparse_complex_numIdEiidS2_S2_EEvT3_20rocsparse_direction_NS_24const_host_device_scalarIT1_EES3_PKS3_PKT2_SC_S9_PKT4_PKT5_S7_PT6_21rocsparse_index_base_b
; %bb.0:
	s_load_dwordx2 s[20:21], s[6:7], 0x68
	s_load_dwordx4 s[12:15], s[6:7], 0x8
	s_load_dwordx2 s[10:11], s[4:5], 0x4
	s_load_dwordx4 s[16:19], s[6:7], 0x50
	s_mov_b64 s[2:3], src_shared_base
	v_bfe_u32 v2, v0, 10, 10
	s_waitcnt lgkmcnt(0)
	s_bitcmp1_b32 s21, 0
	s_cselect_b64 s[0:1], -1, 0
	s_and_b64 vcc, s[0:1], exec
	s_cselect_b32 s2, s3, s13
	s_lshr_b32 s4, s10, 16
	v_and_b32_e32 v1, 0x3ff, v0
	s_mul_i32 s4, s4, s11
	v_mul_u32_u24_e32 v2, s11, v2
	v_mad_u32_u24 v2, s4, v1, v2
	v_bfe_u32 v0, v0, 20, 10
	v_add_lshl_u32 v0, v2, v0, 3
	v_mov_b32_e32 v6, s12
	v_add_u32_e32 v7, 0x400, v0
	v_pk_mov_b32 v[2:3], s[12:13], s[12:13] op_sel:[0,1]
	v_pk_mov_b32 v[4:5], s[16:17], s[16:17] op_sel:[0,1]
	ds_write2st64_b64 v0, v[4:5], v[2:3] offset1:2
	v_cndmask_b32_e64 v2, v6, v7, s[0:1]
	v_mov_b32_e32 v3, s2
	flat_load_dwordx2 v[64:65], v[2:3]
	s_xor_b64 s[4:5], s[0:1], -1
	v_pk_mov_b32 v[66:67], s[14:15], s[14:15] op_sel:[0,1]
	s_cbranch_vccnz .LBB139_2
; %bb.1:
	v_pk_mov_b32 v[2:3], s[12:13], s[12:13] op_sel:[0,1]
	flat_load_dwordx2 v[66:67], v[2:3] offset:8
.LBB139_2:
	s_and_b64 s[10:11], s[0:1], exec
	s_cselect_b32 s2, s3, s17
	v_mov_b32_e32 v2, s16
	v_cndmask_b32_e64 v2, v2, v0, s[0:1]
	v_mov_b32_e32 v3, s2
	flat_load_dwordx2 v[60:61], v[2:3]
	s_andn2_b64 vcc, exec, s[4:5]
	v_pk_mov_b32 v[62:63], s[18:19], s[18:19] op_sel:[0,1]
	s_cbranch_vccnz .LBB139_4
; %bb.3:
	v_pk_mov_b32 v[2:3], s[16:17], s[16:17] op_sel:[0,1]
	flat_load_dwordx2 v[62:63], v[2:3] offset:8
.LBB139_4:
	s_waitcnt vmcnt(0) lgkmcnt(0)
	v_cmp_eq_f64_e32 vcc, 0, v[64:65]
	v_cmp_eq_f64_e64 s[0:1], 0, v[66:67]
	s_and_b64 s[4:5], vcc, s[0:1]
	s_mov_b64 s[0:1], -1
	s_and_saveexec_b64 s[2:3], s[4:5]
; %bb.5:
	v_cmp_neq_f64_e32 vcc, 1.0, v[60:61]
	v_cmp_neq_f64_e64 s[0:1], 0, v[62:63]
	s_or_b64 s[0:1], vcc, s[0:1]
	s_orn2_b64 s[0:1], s[0:1], exec
; %bb.6:
	s_or_b64 exec, exec, s[2:3]
	s_and_saveexec_b64 s[2:3], s[0:1]
	s_cbranch_execz .LBB139_12
; %bb.7:
	s_load_dwordx2 s[4:5], s[6:7], 0x20
	s_load_dwordx2 s[0:1], s[6:7], 0x0
	v_lshrrev_b32_e32 v0, 6, v1
	v_lshl_or_b32 v68, s8, 1, v0
	s_mov_b64 s[2:3], 0
	s_waitcnt lgkmcnt(0)
	s_cmp_lg_u64 s[4:5], 0
	s_cbranch_scc0 .LBB139_13
; %bb.8:
	s_load_dword s8, s[6:7], 0x18
                                        ; implicit-def: $vgpr0
	s_waitcnt lgkmcnt(0)
	v_cmp_gt_i32_e32 vcc, s8, v68
	s_and_saveexec_b64 s[8:9], vcc
	s_xor_b64 s[8:9], exec, s[8:9]
	s_cbranch_execz .LBB139_10
; %bb.9:
	v_ashrrev_i32_e32 v69, 31, v68
	v_lshlrev_b64 v[2:3], 2, v[68:69]
	v_mov_b32_e32 v0, s5
	v_add_co_u32_e32 v2, vcc, s4, v2
	v_addc_co_u32_e32 v3, vcc, v0, v3, vcc
	global_load_dword v0, v[2:3], off
	s_mov_b64 s[2:3], exec
	s_waitcnt vmcnt(0)
	v_subrev_u32_e32 v0, s20, v0
.LBB139_10:
	s_or_b64 exec, exec, s[8:9]
	s_branch .LBB139_14
.LBB139_11:
	v_cmp_gt_i32_e32 vcc, s0, v68
	s_andn2_b64 s[2:3], s[2:3], exec
	s_and_b64 s[4:5], vcc, exec
	s_or_b64 s[2:3], s[2:3], s[4:5]
	s_and_b64 exec, exec, s[2:3]
	s_cbranch_execnz .LBB139_15
.LBB139_12:
	s_endpgm
.LBB139_13:
                                        ; implicit-def: $vgpr0
	s_cbranch_execnz .LBB139_11
.LBB139_14:
	v_mov_b32_e32 v68, v0
	s_and_b64 exec, exec, s[2:3]
	s_cbranch_execz .LBB139_12
.LBB139_15:
	s_load_dwordx8 s[8:15], s[6:7], 0x28
	v_ashrrev_i32_e32 v69, 31, v68
	v_lshlrev_b64 v[2:3], 2, v[68:69]
	v_and_b32_e32 v69, 63, v1
	s_waitcnt lgkmcnt(0)
	v_mov_b32_e32 v0, s9
	v_add_co_u32_e32 v4, vcc, s8, v2
	v_addc_co_u32_e32 v5, vcc, v0, v3, vcc
	v_add_co_u32_e32 v0, vcc, 4, v4
	global_load_dword v95, v[4:5], off
	v_addc_co_u32_e32 v4, vcc, 0, v5, vcc
	v_mov_b32_e32 v5, s11
	v_add_co_u32_e32 v2, vcc, s10, v2
	s_cmp_eq_u64 s[10:11], 0
	v_addc_co_u32_e32 v3, vcc, v5, v3, vcc
	s_cselect_b64 vcc, -1, 0
	v_cndmask_b32_e32 v3, v3, v4, vcc
	v_cndmask_b32_e32 v2, v2, v0, vcc
	global_load_dword v0, v[2:3], off
	s_load_dwordx2 s[8:9], s[6:7], 0x48
	v_mov_b32_e32 v2, s15
	s_cmp_eq_u32 s1, 1
	s_waitcnt vmcnt(1)
	v_subrev_u32_e32 v1, s20, v95
	v_add_u32_e32 v84, v1, v69
	v_ashrrev_i32_e32 v85, 31, v84
	s_waitcnt vmcnt(0)
	v_subrev_u32_e32 v94, s20, v0
	v_lshlrev_b64 v[0:1], 7, v[84:85]
	v_add_co_u32_e32 v86, vcc, s14, v0
	v_addc_co_u32_e32 v87, vcc, v2, v1, vcc
	v_cmp_lt_i32_e64 s[0:1], v84, v94
	s_cbranch_scc1 .LBB139_27
; %bb.16:
	v_pk_mov_b32 v[82:83], 0, 0
	s_mov_b64 s[10:11], 0
	v_pk_mov_b32 v[88:89], v[82:83], v[82:83] op_sel:[0,1]
	v_pk_mov_b32 v[78:79], v[82:83], v[82:83] op_sel:[0,1]
	;; [unrolled: 1-line block ×7, first 2 shown]
	s_and_saveexec_b64 s[14:15], s[0:1]
	s_cbranch_execz .LBB139_26
; %bb.17:
	v_add_u32_e32 v0, v95, v69
	v_subrev_u32_e32 v0, s20, v0
	v_add_u32_e32 v0, 64, v0
	v_max_i32_e32 v0, v0, v94
	v_not_b32_e32 v1, v95
	v_add3_u32 v0, v0, s20, v1
	v_sub_u32_e32 v0, v0, v69
	v_lshrrev_b32_e32 v1, 6, v0
	v_add_u32_e32 v1, 1, v1
	v_and_b32_e32 v1, 3, v1
	v_pk_mov_b32 v[72:73], 0, 0
	v_cmp_ne_u32_e32 vcc, 0, v1
	v_pk_mov_b32 v[70:71], v[72:73], v[72:73] op_sel:[0,1]
	v_pk_mov_b32 v[76:77], v[72:73], v[72:73] op_sel:[0,1]
	v_pk_mov_b32 v[74:75], v[72:73], v[72:73] op_sel:[0,1]
	v_pk_mov_b32 v[80:81], v[72:73], v[72:73] op_sel:[0,1]
	v_pk_mov_b32 v[78:79], v[72:73], v[72:73] op_sel:[0,1]
	v_pk_mov_b32 v[88:89], v[72:73], v[72:73] op_sel:[0,1]
	v_pk_mov_b32 v[82:83], v[72:73], v[72:73] op_sel:[0,1]
	v_pk_mov_b32 v[92:93], v[86:87], v[86:87] op_sel:[0,1]
	v_mov_b32_e32 v90, v84
	s_and_saveexec_b64 s[2:3], vcc
	s_cbranch_execz .LBB139_21
; %bb.18:
	v_pk_mov_b32 v[82:83], 0, 0
	v_lshlrev_b32_e32 v1, 7, v1
	s_mov_b64 s[4:5], 0
	v_mov_b32_e32 v2, s13
	s_waitcnt lgkmcnt(0)
	v_mov_b32_e32 v3, s9
	v_mov_b32_e32 v90, v84
	v_pk_mov_b32 v[92:93], v[86:87], v[86:87] op_sel:[0,1]
	v_pk_mov_b32 v[88:89], v[82:83], v[82:83] op_sel:[0,1]
	;; [unrolled: 1-line block ×8, first 2 shown]
.LBB139_19:                             ; =>This Inner Loop Header: Depth=1
	v_ashrrev_i32_e32 v91, 31, v90
	v_lshlrev_b64 v[4:5], 2, v[90:91]
	v_add_co_u32_e32 v36, vcc, s12, v4
	v_addc_co_u32_e32 v37, vcc, v2, v5, vcc
	global_load_dword v38, v[36:37], off
	global_load_dwordx4 v[4:7], v[92:93], off offset:48
	global_load_dwordx4 v[8:11], v[92:93], off offset:32
	;; [unrolled: 1-line block ×3, first 2 shown]
	global_load_dwordx4 v[16:19], v[92:93], off
	global_load_dwordx4 v[20:23], v[92:93], off offset:112
	global_load_dwordx4 v[24:27], v[92:93], off offset:96
	;; [unrolled: 1-line block ×4, first 2 shown]
	v_add_u32_e32 v1, 0xffffff80, v1
	v_add_u32_e32 v90, 64, v90
	s_waitcnt vmcnt(8)
	v_subrev_u32_e32 v36, s20, v38
	v_lshlrev_b32_e32 v36, 2, v36
	v_ashrrev_i32_e32 v37, 31, v36
	v_lshlrev_b64 v[36:37], 4, v[36:37]
	v_add_co_u32_e32 v52, vcc, s8, v36
	v_addc_co_u32_e32 v53, vcc, v3, v37, vcc
	global_load_dwordx4 v[36:39], v[52:53], off
	global_load_dwordx4 v[40:43], v[52:53], off offset:16
	global_load_dwordx4 v[44:47], v[52:53], off offset:32
	;; [unrolled: 1-line block ×3, first 2 shown]
	v_add_co_u32_e32 v92, vcc, 0x2000, v92
	v_addc_co_u32_e32 v93, vcc, 0, v93, vcc
	v_cmp_eq_u32_e32 vcc, 0, v1
	s_or_b64 s[4:5], vcc, s[4:5]
	s_waitcnt vmcnt(3)
	v_fmac_f64_e32 v[88:89], v[16:17], v[36:37]
	v_fmac_f64_e32 v[82:83], 0, v[36:37]
	v_fmac_f64_e32 v[80:81], v[8:9], v[36:37]
	v_fmac_f64_e32 v[78:79], 0, v[36:37]
	v_fmac_f64_e32 v[76:77], v[28:29], v[36:37]
	v_fmac_f64_e32 v[74:75], 0, v[36:37]
	v_fmac_f64_e32 v[72:73], v[24:25], v[36:37]
	v_fmac_f64_e32 v[70:71], 0, v[36:37]
	v_fmac_f64_e32 v[88:89], 0x80000000, v[38:39]
	v_fmac_f64_e32 v[82:83], v[16:17], v[38:39]
	v_fmac_f64_e32 v[80:81], 0x80000000, v[38:39]
	v_fmac_f64_e32 v[78:79], v[8:9], v[38:39]
	v_fmac_f64_e32 v[76:77], 0x80000000, v[38:39]
	v_fmac_f64_e32 v[74:75], v[28:29], v[38:39]
	v_fmac_f64_e32 v[72:73], 0x80000000, v[38:39]
	v_fmac_f64_e32 v[70:71], v[24:25], v[38:39]
	s_waitcnt vmcnt(2)
	v_fmac_f64_e32 v[88:89], v[18:19], v[40:41]
	v_fmac_f64_e32 v[82:83], 0, v[40:41]
	v_fmac_f64_e32 v[80:81], v[10:11], v[40:41]
	v_fmac_f64_e32 v[78:79], 0, v[40:41]
	v_fmac_f64_e32 v[76:77], v[30:31], v[40:41]
	v_fmac_f64_e32 v[74:75], 0, v[40:41]
	v_fmac_f64_e32 v[72:73], v[26:27], v[40:41]
	v_fmac_f64_e32 v[70:71], 0, v[40:41]
	v_fmac_f64_e32 v[82:83], v[18:19], v[42:43]
	v_fmac_f64_e32 v[78:79], v[10:11], v[42:43]
	v_fmac_f64_e32 v[88:89], 0x80000000, v[42:43]
	v_fmac_f64_e32 v[80:81], 0x80000000, v[42:43]
	v_fmac_f64_e32 v[76:77], 0x80000000, v[42:43]
	v_fmac_f64_e32 v[74:75], v[30:31], v[42:43]
	v_fmac_f64_e32 v[72:73], 0x80000000, v[42:43]
	v_fmac_f64_e32 v[70:71], v[26:27], v[42:43]
	;; [unrolled: 17-line block ×4, first 2 shown]
	s_andn2_b64 exec, exec, s[4:5]
	s_cbranch_execnz .LBB139_19
; %bb.20:
	s_or_b64 exec, exec, s[4:5]
.LBB139_21:
	s_or_b64 exec, exec, s[2:3]
	s_movk_i32 s2, 0xbf
	v_cmp_lt_u32_e32 vcc, s2, v0
	s_and_saveexec_b64 s[16:17], vcc
	s_cbranch_execz .LBB139_25
; %bb.22:
	s_mov_b64 s[18:19], 0
	v_mov_b32_e32 v85, s13
	s_waitcnt lgkmcnt(0)
	v_mov_b32_e32 v96, s9
	s_movk_i32 s21, 0x2000
	s_movk_i32 s22, 0x4000
	;; [unrolled: 1-line block ×3, first 2 shown]
.LBB139_23:                             ; =>This Inner Loop Header: Depth=1
	v_ashrrev_i32_e32 v91, 31, v90
	v_add_co_u32_e32 v40, vcc, s23, v92
	v_addc_co_u32_e32 v41, vcc, 0, v93, vcc
	v_lshlrev_b64 v[54:55], 2, v[90:91]
	v_add_co_u32_e64 v34, s[4:5], s21, v92
	v_add_co_u32_e32 v58, vcc, s12, v54
	v_addc_co_u32_e64 v35, s[4:5], 0, v93, s[4:5]
	v_addc_co_u32_e32 v59, vcc, v85, v55, vcc
	global_load_dwordx4 v[0:3], v[92:93], off offset:48
	global_load_dwordx4 v[8:11], v[92:93], off offset:32
	;; [unrolled: 1-line block ×3, first 2 shown]
	global_load_dwordx4 v[12:15], v[92:93], off
	global_load_dwordx4 v[16:19], v[92:93], off offset:112
	global_load_dwordx4 v[24:27], v[92:93], off offset:96
	;; [unrolled: 1-line block ×6, first 2 shown]
	global_load_dwordx4 v[46:49], v[34:35], off
	global_load_dwordx4 v[50:53], v[34:35], off offset:16
	global_load_dword v54, v[58:59], off
	v_add_co_u32_e64 v32, s[2:3], s22, v92
	v_addc_co_u32_e64 v33, s[2:3], 0, v93, s[2:3]
	global_load_dwordx4 v[98:101], v[34:35], off offset:112
	v_add_u32_e32 v90, 0x100, v90
	s_waitcnt vmcnt(1)
	v_subrev_u32_e32 v54, s20, v54
	v_lshlrev_b32_e32 v54, 2, v54
	v_ashrrev_i32_e32 v55, 31, v54
	v_lshlrev_b64 v[54:55], 4, v[54:55]
	v_add_co_u32_e32 v106, vcc, s8, v54
	v_addc_co_u32_e32 v107, vcc, v96, v55, vcc
	global_load_dwordx4 v[54:57], v[106:107], off
	s_waitcnt vmcnt(0)
	v_fmac_f64_e32 v[88:89], v[12:13], v[54:55]
	v_fmac_f64_e32 v[82:83], 0, v[54:55]
	v_fmac_f64_e32 v[80:81], v[8:9], v[54:55]
	v_fmac_f64_e32 v[78:79], 0, v[54:55]
	v_fmac_f64_e32 v[76:77], v[28:29], v[54:55]
	v_fmac_f64_e32 v[74:75], 0, v[54:55]
	v_fmac_f64_e32 v[72:73], v[24:25], v[54:55]
	v_fmac_f64_e32 v[70:71], 0, v[54:55]
	v_fmac_f64_e32 v[88:89], 0x80000000, v[56:57]
	v_fmac_f64_e32 v[82:83], v[12:13], v[56:57]
	v_fmac_f64_e32 v[80:81], 0x80000000, v[56:57]
	v_fmac_f64_e32 v[78:79], v[8:9], v[56:57]
	v_fmac_f64_e32 v[76:77], 0x80000000, v[56:57]
	v_fmac_f64_e32 v[74:75], v[28:29], v[56:57]
	v_fmac_f64_e32 v[72:73], 0x80000000, v[56:57]
	v_fmac_f64_e32 v[70:71], v[24:25], v[56:57]
	global_load_dwordx4 v[54:57], v[106:107], off offset:16
	s_waitcnt vmcnt(0)
	v_fmac_f64_e32 v[74:75], 0, v[54:55]
	v_fmac_f64_e32 v[76:77], v[30:31], v[54:55]
	;; [unrolled: 1-line block ×3, first 2 shown]
	global_load_dwordx4 v[28:31], v[106:107], off offset:32
	v_fmac_f64_e32 v[88:89], v[14:15], v[54:55]
	v_fmac_f64_e32 v[82:83], 0, v[54:55]
	;; [unrolled: 1-line block ×8, first 2 shown]
	global_load_dwordx4 v[8:11], v[34:35], off offset:96
	v_fmac_f64_e32 v[70:71], v[26:27], v[56:57]
	v_fmac_f64_e32 v[88:89], 0x80000000, v[56:57]
	v_fmac_f64_e32 v[80:81], 0x80000000, v[56:57]
	v_fmac_f64_e32 v[76:77], 0x80000000, v[56:57]
	v_fmac_f64_e32 v[72:73], 0x80000000, v[56:57]
	global_load_dwordx4 v[12:15], v[34:35], off offset:80
	global_load_dwordx4 v[24:27], v[34:35], off offset:64
	s_waitcnt vmcnt(3)
	v_fmac_f64_e32 v[88:89], v[4:5], v[28:29]
	v_fmac_f64_e32 v[82:83], 0, v[28:29]
	;; [unrolled: 1-line block ×16, first 2 shown]
	global_load_dwordx4 v[102:105], v[32:33], off offset:48
	global_load_dwordx4 v[28:31], v[106:107], off offset:48
	global_load_dword v0, v[58:59], off offset:256
	global_load_dwordx4 v[54:57], v[32:33], off offset:32
	global_load_dwordx4 v[110:113], v[32:33], off offset:16
	s_waitcnt vmcnt(3)
	v_fmac_f64_e32 v[88:89], v[6:7], v[28:29]
	s_waitcnt vmcnt(2)
	v_subrev_u32_e32 v0, s20, v0
	v_lshlrev_b32_e32 v0, 2, v0
	v_ashrrev_i32_e32 v1, 31, v0
	v_lshlrev_b64 v[0:1], 4, v[0:1]
	v_fmac_f64_e32 v[82:83], 0, v[28:29]
	v_fmac_f64_e32 v[80:81], v[2:3], v[28:29]
	;; [unrolled: 1-line block ×7, first 2 shown]
	v_add_co_u32_e32 v28, vcc, s8, v0
	v_addc_co_u32_e32 v29, vcc, v96, v1, vcc
	v_fmac_f64_e32 v[78:79], v[2:3], v[30:31]
	global_load_dwordx4 v[0:3], v[28:29], off
	v_fmac_f64_e32 v[82:83], v[6:7], v[30:31]
	v_fmac_f64_e32 v[74:75], v[22:23], v[30:31]
	v_fmac_f64_e32 v[70:71], v[18:19], v[30:31]
	v_fmac_f64_e32 v[88:89], 0x80000000, v[30:31]
	v_fmac_f64_e32 v[80:81], 0x80000000, v[30:31]
	v_fmac_f64_e32 v[76:77], 0x80000000, v[30:31]
	v_fmac_f64_e32 v[72:73], 0x80000000, v[30:31]
	global_load_dwordx4 v[106:109], v[32:33], off
	global_load_dwordx4 v[16:19], v[32:33], off offset:112
	s_waitcnt vmcnt(2)
	v_fmac_f64_e32 v[88:89], v[46:47], v[0:1]
	v_fmac_f64_e32 v[82:83], 0, v[0:1]
	;; [unrolled: 1-line block ×16, first 2 shown]
	global_load_dwordx4 v[0:3], v[28:29], off offset:16
	s_waitcnt vmcnt(0)
	v_fmac_f64_e32 v[88:89], v[48:49], v[0:1]
	v_fmac_f64_e32 v[82:83], 0, v[0:1]
	;; [unrolled: 1-line block ×10, first 2 shown]
	global_load_dwordx4 v[42:45], v[32:33], off offset:96
	v_fmac_f64_e32 v[74:75], v[26:27], v[2:3]
	global_load_dwordx4 v[20:23], v[32:33], off offset:80
	global_load_dwordx4 v[46:49], v[32:33], off offset:64
	v_fmac_f64_e32 v[70:71], v[10:11], v[2:3]
	v_fmac_f64_e32 v[88:89], 0x80000000, v[2:3]
	;; [unrolled: 1-line block ×5, first 2 shown]
	global_load_dwordx4 v[0:3], v[28:29], off offset:32
	global_load_dwordx4 v[4:7], v[40:41], off
	global_load_dwordx4 v[8:11], v[40:41], off offset:112
	global_load_dwordx4 v[32:35], v[40:41], off offset:96
	;; [unrolled: 1-line block ×3, first 2 shown]
	s_waitcnt vmcnt(4)
	v_fmac_f64_e32 v[88:89], v[50:51], v[0:1]
	v_fmac_f64_e32 v[82:83], 0, v[0:1]
	;; [unrolled: 1-line block ×8, first 2 shown]
	global_load_dword v0, v[58:59], off offset:512
	v_fmac_f64_e32 v[88:89], 0x80000000, v[2:3]
	global_load_dwordx4 v[28:31], v[28:29], off offset:48
	v_fmac_f64_e32 v[82:83], v[50:51], v[2:3]
	v_fmac_f64_e32 v[80:81], 0x80000000, v[2:3]
	;; [unrolled: 1-line block ×7, first 2 shown]
	s_waitcnt vmcnt(1)
	v_subrev_u32_e32 v0, s20, v0
	v_lshlrev_b32_e32 v0, 2, v0
	v_ashrrev_i32_e32 v1, 31, v0
	v_lshlrev_b64 v[0:1], 4, v[0:1]
	v_add_co_u32_e32 v98, vcc, s8, v0
	v_addc_co_u32_e32 v99, vcc, v96, v1, vcc
	s_waitcnt vmcnt(0)
	v_fmac_f64_e32 v[88:89], v[52:53], v[28:29]
	v_fmac_f64_e32 v[82:83], 0, v[28:29]
	;; [unrolled: 1-line block ×16, first 2 shown]
	global_load_dwordx4 v[28:31], v[98:99], off
	global_load_dwordx4 v[50:53], v[98:99], off offset:16
	global_load_dwordx4 v[0:3], v[40:41], off offset:48
	;; [unrolled: 1-line block ×3, first 2 shown]
	s_waitcnt vmcnt(3)
	v_fmac_f64_e32 v[88:89], v[106:107], v[28:29]
	v_fmac_f64_e32 v[82:83], 0, v[28:29]
	;; [unrolled: 1-line block ×16, first 2 shown]
	global_load_dwordx4 v[28:31], v[40:41], off offset:80
	global_load_dwordx4 v[36:39], v[40:41], off offset:64
	global_load_dword v42, v[58:59], off offset:768
	s_waitcnt vmcnt(5)
	v_fmac_f64_e32 v[78:79], 0, v[50:51]
	v_fmac_f64_e32 v[80:81], v[56:57], v[50:51]
	;; [unrolled: 1-line block ×16, first 2 shown]
	s_waitcnt vmcnt(0)
	v_subrev_u32_e32 v40, s20, v42
	v_lshlrev_b32_e32 v40, 2, v40
	v_ashrrev_i32_e32 v41, 31, v40
	v_lshlrev_b64 v[40:41], 4, v[40:41]
	v_add_co_u32_e32 v100, vcc, s8, v40
	v_addc_co_u32_e32 v101, vcc, v96, v41, vcc
	global_load_dwordx4 v[40:43], v[98:99], off offset:32
	global_load_dwordx4 v[56:59], v[98:99], off offset:48
	global_load_dwordx4 v[48:51], v[100:101], off
	global_load_dwordx4 v[52:55], v[100:101], off offset:16
	global_load_dwordx4 v[44:47], v[100:101], off offset:32
	v_add_co_u32_e32 v92, vcc, 0x8000, v92
	v_addc_co_u32_e32 v93, vcc, 0, v93, vcc
	v_cmp_ge_i32_e32 vcc, v90, v94
	s_or_b64 s[18:19], vcc, s[18:19]
	s_waitcnt vmcnt(4)
	v_fmac_f64_e32 v[88:89], v[110:111], v[40:41]
	v_fmac_f64_e32 v[82:83], 0, v[40:41]
	;; [unrolled: 1-line block ×16, first 2 shown]
	global_load_dwordx4 v[40:43], v[100:101], off offset:48
	s_waitcnt vmcnt(4)
	v_fmac_f64_e32 v[88:89], v[112:113], v[56:57]
	v_fmac_f64_e32 v[82:83], 0, v[56:57]
	v_fmac_f64_e32 v[80:81], v[104:105], v[56:57]
	v_fmac_f64_e32 v[78:79], 0, v[56:57]
	v_fmac_f64_e32 v[76:77], v[22:23], v[56:57]
	v_fmac_f64_e32 v[74:75], 0, v[56:57]
	v_fmac_f64_e32 v[72:73], v[18:19], v[56:57]
	v_fmac_f64_e32 v[70:71], 0, v[56:57]
	v_fmac_f64_e32 v[82:83], v[112:113], v[58:59]
	v_fmac_f64_e32 v[78:79], v[104:105], v[58:59]
	v_fmac_f64_e32 v[88:89], 0x80000000, v[58:59]
	v_fmac_f64_e32 v[80:81], 0x80000000, v[58:59]
	v_fmac_f64_e32 v[76:77], 0x80000000, v[58:59]
	v_fmac_f64_e32 v[74:75], v[22:23], v[58:59]
	v_fmac_f64_e32 v[72:73], 0x80000000, v[58:59]
	v_fmac_f64_e32 v[70:71], v[18:19], v[58:59]
	s_waitcnt vmcnt(3)
	v_fmac_f64_e32 v[88:89], v[4:5], v[48:49]
	v_fmac_f64_e32 v[82:83], 0, v[48:49]
	v_fmac_f64_e32 v[80:81], v[24:25], v[48:49]
	v_fmac_f64_e32 v[78:79], 0, v[48:49]
	v_fmac_f64_e32 v[76:77], v[36:37], v[48:49]
	v_fmac_f64_e32 v[74:75], 0, v[48:49]
	v_fmac_f64_e32 v[72:73], v[32:33], v[48:49]
	v_fmac_f64_e32 v[70:71], 0, v[48:49]
	v_fmac_f64_e32 v[88:89], 0x80000000, v[50:51]
	v_fmac_f64_e32 v[82:83], v[4:5], v[50:51]
	v_fmac_f64_e32 v[80:81], 0x80000000, v[50:51]
	v_fmac_f64_e32 v[78:79], v[24:25], v[50:51]
	v_fmac_f64_e32 v[76:77], 0x80000000, v[50:51]
	v_fmac_f64_e32 v[74:75], v[36:37], v[50:51]
	v_fmac_f64_e32 v[72:73], 0x80000000, v[50:51]
	v_fmac_f64_e32 v[70:71], v[32:33], v[50:51]
	;; [unrolled: 17-line block ×5, first 2 shown]
	s_andn2_b64 exec, exec, s[18:19]
	s_cbranch_execnz .LBB139_23
; %bb.24:
	s_or_b64 exec, exec, s[18:19]
.LBB139_25:
	s_or_b64 exec, exec, s[16:17]
.LBB139_26:
	s_or_b64 exec, exec, s[14:15]
	s_andn2_b64 vcc, exec, s[10:11]
	s_cbranch_vccz .LBB139_28
	s_branch .LBB139_39
.LBB139_27:
                                        ; implicit-def: $vgpr82_vgpr83
                                        ; implicit-def: $vgpr88_vgpr89
                                        ; implicit-def: $vgpr78_vgpr79
                                        ; implicit-def: $vgpr80_vgpr81
                                        ; implicit-def: $vgpr74_vgpr75
                                        ; implicit-def: $vgpr76_vgpr77
                                        ; implicit-def: $vgpr70_vgpr71
                                        ; implicit-def: $vgpr72_vgpr73
.LBB139_28:
	v_pk_mov_b32 v[82:83], 0, 0
	v_pk_mov_b32 v[88:89], v[82:83], v[82:83] op_sel:[0,1]
	v_pk_mov_b32 v[78:79], v[82:83], v[82:83] op_sel:[0,1]
	;; [unrolled: 1-line block ×7, first 2 shown]
	s_and_saveexec_b64 s[2:3], s[0:1]
	s_cbranch_execz .LBB139_38
; %bb.29:
	v_add_u32_e32 v0, v95, v69
	v_subrev_u32_e32 v0, s20, v0
	v_add_u32_e32 v0, 64, v0
	v_max_i32_e32 v0, v0, v94
	v_not_b32_e32 v1, v95
	v_add3_u32 v0, v0, s20, v1
	v_sub_u32_e32 v0, v0, v69
	v_lshrrev_b32_e32 v1, 6, v0
	v_add_u32_e32 v1, 1, v1
	v_and_b32_e32 v1, 3, v1
	v_pk_mov_b32 v[72:73], 0, 0
	v_cmp_ne_u32_e32 vcc, 0, v1
	v_pk_mov_b32 v[70:71], v[72:73], v[72:73] op_sel:[0,1]
	v_pk_mov_b32 v[76:77], v[72:73], v[72:73] op_sel:[0,1]
	v_pk_mov_b32 v[74:75], v[72:73], v[72:73] op_sel:[0,1]
	v_pk_mov_b32 v[80:81], v[72:73], v[72:73] op_sel:[0,1]
	v_pk_mov_b32 v[78:79], v[72:73], v[72:73] op_sel:[0,1]
	v_pk_mov_b32 v[88:89], v[72:73], v[72:73] op_sel:[0,1]
	v_pk_mov_b32 v[82:83], v[72:73], v[72:73] op_sel:[0,1]
	s_and_saveexec_b64 s[0:1], vcc
	s_cbranch_execz .LBB139_33
; %bb.30:
	v_pk_mov_b32 v[82:83], 0, 0
	v_lshlrev_b32_e32 v1, 7, v1
	s_mov_b64 s[4:5], 0
	v_mov_b32_e32 v2, s13
	s_waitcnt lgkmcnt(0)
	v_mov_b32_e32 v3, s9
	v_pk_mov_b32 v[88:89], v[82:83], v[82:83] op_sel:[0,1]
	v_pk_mov_b32 v[78:79], v[82:83], v[82:83] op_sel:[0,1]
	;; [unrolled: 1-line block ×7, first 2 shown]
.LBB139_31:                             ; =>This Inner Loop Header: Depth=1
	v_ashrrev_i32_e32 v85, 31, v84
	v_lshlrev_b64 v[4:5], 2, v[84:85]
	v_add_co_u32_e32 v36, vcc, s12, v4
	v_addc_co_u32_e32 v37, vcc, v2, v5, vcc
	global_load_dword v38, v[36:37], off
	global_load_dwordx4 v[4:7], v[86:87], off offset:48
	global_load_dwordx4 v[8:11], v[86:87], off offset:32
	;; [unrolled: 1-line block ×3, first 2 shown]
	global_load_dwordx4 v[16:19], v[86:87], off
	global_load_dwordx4 v[20:23], v[86:87], off offset:80
	global_load_dwordx4 v[24:27], v[86:87], off offset:64
	;; [unrolled: 1-line block ×4, first 2 shown]
	v_add_u32_e32 v1, 0xffffff80, v1
	v_add_u32_e32 v84, 64, v84
	s_waitcnt vmcnt(8)
	v_subrev_u32_e32 v36, s20, v38
	v_lshlrev_b32_e32 v36, 2, v36
	v_ashrrev_i32_e32 v37, 31, v36
	v_lshlrev_b64 v[36:37], 4, v[36:37]
	v_add_co_u32_e32 v52, vcc, s8, v36
	v_addc_co_u32_e32 v53, vcc, v3, v37, vcc
	global_load_dwordx4 v[36:39], v[52:53], off
	global_load_dwordx4 v[40:43], v[52:53], off offset:16
	global_load_dwordx4 v[44:47], v[52:53], off offset:32
	;; [unrolled: 1-line block ×3, first 2 shown]
	v_add_co_u32_e32 v86, vcc, 0x2000, v86
	v_addc_co_u32_e32 v87, vcc, 0, v87, vcc
	v_cmp_eq_u32_e32 vcc, 0, v1
	s_or_b64 s[4:5], vcc, s[4:5]
	s_waitcnt vmcnt(3)
	v_fmac_f64_e32 v[88:89], v[16:17], v[36:37]
	v_fmac_f64_e32 v[82:83], 0, v[36:37]
	v_fmac_f64_e32 v[80:81], v[18:19], v[36:37]
	v_fmac_f64_e32 v[78:79], 0, v[36:37]
	v_fmac_f64_e32 v[76:77], v[12:13], v[36:37]
	v_fmac_f64_e32 v[74:75], 0, v[36:37]
	v_fmac_f64_e32 v[72:73], v[14:15], v[36:37]
	v_fmac_f64_e32 v[70:71], 0, v[36:37]
	v_fmac_f64_e32 v[82:83], v[16:17], v[38:39]
	v_fmac_f64_e32 v[78:79], v[18:19], v[38:39]
	v_fmac_f64_e32 v[88:89], 0x80000000, v[38:39]
	v_fmac_f64_e32 v[80:81], 0x80000000, v[38:39]
	v_fmac_f64_e32 v[76:77], 0x80000000, v[38:39]
	v_fmac_f64_e32 v[74:75], v[12:13], v[38:39]
	v_fmac_f64_e32 v[72:73], 0x80000000, v[38:39]
	v_fmac_f64_e32 v[70:71], v[14:15], v[38:39]
	s_waitcnt vmcnt(2)
	v_fmac_f64_e32 v[88:89], v[8:9], v[40:41]
	v_fmac_f64_e32 v[82:83], 0, v[40:41]
	v_fmac_f64_e32 v[80:81], v[10:11], v[40:41]
	v_fmac_f64_e32 v[78:79], 0, v[40:41]
	v_fmac_f64_e32 v[76:77], v[4:5], v[40:41]
	v_fmac_f64_e32 v[74:75], 0, v[40:41]
	v_fmac_f64_e32 v[72:73], v[6:7], v[40:41]
	v_fmac_f64_e32 v[70:71], 0, v[40:41]
	v_fmac_f64_e32 v[88:89], 0x80000000, v[42:43]
	v_fmac_f64_e32 v[82:83], v[8:9], v[42:43]
	v_fmac_f64_e32 v[80:81], 0x80000000, v[42:43]
	v_fmac_f64_e32 v[78:79], v[10:11], v[42:43]
	v_fmac_f64_e32 v[76:77], 0x80000000, v[42:43]
	v_fmac_f64_e32 v[74:75], v[4:5], v[42:43]
	v_fmac_f64_e32 v[72:73], 0x80000000, v[42:43]
	v_fmac_f64_e32 v[70:71], v[6:7], v[42:43]
	s_waitcnt vmcnt(1)
	v_fmac_f64_e32 v[88:89], v[24:25], v[44:45]
	v_fmac_f64_e32 v[82:83], 0, v[44:45]
	v_fmac_f64_e32 v[80:81], v[26:27], v[44:45]
	v_fmac_f64_e32 v[78:79], 0, v[44:45]
	v_fmac_f64_e32 v[76:77], v[20:21], v[44:45]
	v_fmac_f64_e32 v[74:75], 0, v[44:45]
	v_fmac_f64_e32 v[72:73], v[22:23], v[44:45]
	v_fmac_f64_e32 v[70:71], 0, v[44:45]
	v_fmac_f64_e32 v[88:89], 0x80000000, v[46:47]
	v_fmac_f64_e32 v[82:83], v[24:25], v[46:47]
	v_fmac_f64_e32 v[80:81], 0x80000000, v[46:47]
	v_fmac_f64_e32 v[78:79], v[26:27], v[46:47]
	v_fmac_f64_e32 v[76:77], 0x80000000, v[46:47]
	v_fmac_f64_e32 v[74:75], v[20:21], v[46:47]
	v_fmac_f64_e32 v[72:73], 0x80000000, v[46:47]
	v_fmac_f64_e32 v[70:71], v[22:23], v[46:47]
	s_waitcnt vmcnt(0)
	v_fmac_f64_e32 v[88:89], v[28:29], v[48:49]
	v_fmac_f64_e32 v[82:83], 0, v[48:49]
	v_fmac_f64_e32 v[80:81], v[30:31], v[48:49]
	v_fmac_f64_e32 v[78:79], 0, v[48:49]
	v_fmac_f64_e32 v[76:77], v[32:33], v[48:49]
	v_fmac_f64_e32 v[74:75], 0, v[48:49]
	v_fmac_f64_e32 v[72:73], v[34:35], v[48:49]
	v_fmac_f64_e32 v[70:71], 0, v[48:49]
	v_fmac_f64_e32 v[88:89], 0x80000000, v[50:51]
	v_fmac_f64_e32 v[82:83], v[28:29], v[50:51]
	v_fmac_f64_e32 v[80:81], 0x80000000, v[50:51]
	v_fmac_f64_e32 v[78:79], v[30:31], v[50:51]
	v_fmac_f64_e32 v[76:77], 0x80000000, v[50:51]
	v_fmac_f64_e32 v[74:75], v[32:33], v[50:51]
	v_fmac_f64_e32 v[72:73], 0x80000000, v[50:51]
	v_fmac_f64_e32 v[70:71], v[34:35], v[50:51]
	s_andn2_b64 exec, exec, s[4:5]
	s_cbranch_execnz .LBB139_31
; %bb.32:
	s_or_b64 exec, exec, s[4:5]
.LBB139_33:
	s_or_b64 exec, exec, s[0:1]
	s_movk_i32 s0, 0xbf
	v_cmp_lt_u32_e32 vcc, s0, v0
	s_and_saveexec_b64 s[0:1], vcc
	s_cbranch_execz .LBB139_37
; %bb.34:
	s_mov_b64 s[4:5], 0
	v_mov_b32_e32 v54, s13
	s_waitcnt lgkmcnt(0)
	v_mov_b32_e32 v55, s9
	s_movk_i32 s9, 0x2000
	s_movk_i32 s10, 0x4000
	;; [unrolled: 1-line block ×3, first 2 shown]
.LBB139_35:                             ; =>This Inner Loop Header: Depth=1
	v_add_co_u32_e32 v32, vcc, s9, v86
	v_addc_co_u32_e32 v33, vcc, 0, v87, vcc
	v_add_co_u32_e32 v34, vcc, s10, v86
	v_addc_co_u32_e32 v35, vcc, 0, v87, vcc
	v_ashrrev_i32_e32 v85, 31, v84
	v_add_co_u32_e32 v52, vcc, s11, v86
	v_addc_co_u32_e32 v53, vcc, 0, v87, vcc
	v_lshlrev_b64 v[40:41], 2, v[84:85]
	v_add_co_u32_e32 v40, vcc, s12, v40
	v_addc_co_u32_e32 v41, vcc, v54, v41, vcc
	global_load_dwordx4 v[0:3], v[86:87], off offset:48
	global_load_dwordx4 v[4:7], v[86:87], off offset:32
	;; [unrolled: 1-line block ×3, first 2 shown]
	global_load_dwordx4 v[12:15], v[86:87], off
	global_load_dwordx4 v[16:19], v[86:87], off offset:112
	global_load_dwordx4 v[20:23], v[86:87], off offset:96
	;; [unrolled: 1-line block ×5, first 2 shown]
	global_load_dword v42, v[40:41], off
	global_load_dword v50, v[40:41], off offset:256
	global_load_dword v85, v[40:41], off offset:512
	;; [unrolled: 1-line block ×3, first 2 shown]
	v_add_u32_e32 v84, 0x100, v84
	s_waitcnt vmcnt(3)
	v_subrev_u32_e32 v40, s20, v42
	v_lshlrev_b32_e32 v40, 2, v40
	v_ashrrev_i32_e32 v41, 31, v40
	v_lshlrev_b64 v[40:41], 4, v[40:41]
	v_add_co_u32_e32 v48, vcc, s8, v40
	v_addc_co_u32_e32 v49, vcc, v55, v41, vcc
	global_load_dwordx4 v[40:43], v[48:49], off
	s_waitcnt vmcnt(0)
	v_fmac_f64_e32 v[88:89], v[12:13], v[40:41]
	v_fmac_f64_e32 v[82:83], 0, v[40:41]
	;; [unrolled: 1-line block ×16, first 2 shown]
	global_load_dwordx4 v[40:43], v[48:49], off offset:16
	global_load_dwordx4 v[12:15], v[32:33], off offset:32
	global_load_dwordx4 v[8:11], v[32:33], off
	s_waitcnt vmcnt(2)
	v_fmac_f64_e32 v[88:89], v[4:5], v[40:41]
	v_fmac_f64_e32 v[82:83], 0, v[40:41]
	;; [unrolled: 1-line block ×10, first 2 shown]
	global_load_dwordx4 v[4:7], v[32:33], off offset:16
	v_fmac_f64_e32 v[74:75], v[0:1], v[42:43]
	v_fmac_f64_e32 v[70:71], v[2:3], v[42:43]
	;; [unrolled: 1-line block ×6, first 2 shown]
	global_load_dwordx4 v[40:43], v[48:49], off offset:32
	global_load_dwordx4 v[0:3], v[32:33], off offset:112
	s_waitcnt vmcnt(1)
	v_fmac_f64_e32 v[88:89], v[28:29], v[40:41]
	v_fmac_f64_e32 v[82:83], 0, v[40:41]
	;; [unrolled: 1-line block ×10, first 2 shown]
	global_load_dwordx4 v[28:31], v[32:33], off offset:96
	v_fmac_f64_e32 v[74:75], v[24:25], v[42:43]
	v_fmac_f64_e32 v[70:71], v[26:27], v[42:43]
	global_load_dwordx4 v[24:27], v[32:33], off offset:80
	global_load_dwordx4 v[44:47], v[32:33], off offset:64
	v_fmac_f64_e32 v[88:89], 0x80000000, v[42:43]
	v_fmac_f64_e32 v[80:81], 0x80000000, v[42:43]
	;; [unrolled: 1-line block ×4, first 2 shown]
	global_load_dwordx4 v[40:43], v[48:49], off offset:48
	v_subrev_u32_e32 v32, s20, v50
	v_lshlrev_b32_e32 v32, 2, v32
	v_ashrrev_i32_e32 v33, 31, v32
	v_lshlrev_b64 v[32:33], 4, v[32:33]
	v_add_co_u32_e32 v96, vcc, s8, v32
	v_addc_co_u32_e32 v97, vcc, v55, v33, vcc
	global_load_dwordx4 v[48:51], v[34:35], off
	global_load_dwordx4 v[56:59], v[34:35], off offset:16
	global_load_dwordx4 v[90:93], v[34:35], off offset:112
	s_waitcnt vmcnt(3)
	v_fmac_f64_e32 v[88:89], v[20:21], v[40:41]
	v_fmac_f64_e32 v[82:83], 0, v[40:41]
	;; [unrolled: 1-line block ×16, first 2 shown]
	global_load_dwordx4 v[40:43], v[96:97], off
	global_load_dwordx4 v[20:23], v[34:35], off offset:48
	global_load_dwordx4 v[16:19], v[34:35], off offset:32
	s_waitcnt vmcnt(2)
	v_fmac_f64_e32 v[74:75], 0, v[40:41]
	v_fmac_f64_e32 v[70:71], 0, v[40:41]
	;; [unrolled: 1-line block ×6, first 2 shown]
	global_load_dwordx4 v[4:7], v[96:97], off offset:16
	v_fmac_f64_e32 v[88:89], v[8:9], v[40:41]
	v_fmac_f64_e32 v[82:83], 0, v[40:41]
	v_fmac_f64_e32 v[80:81], v[10:11], v[40:41]
	v_fmac_f64_e32 v[78:79], 0, v[40:41]
	v_fmac_f64_e32 v[82:83], v[8:9], v[42:43]
	v_fmac_f64_e32 v[78:79], v[10:11], v[42:43]
	v_fmac_f64_e32 v[88:89], 0x80000000, v[42:43]
	v_fmac_f64_e32 v[80:81], 0x80000000, v[42:43]
	v_fmac_f64_e32 v[76:77], 0x80000000, v[42:43]
	v_fmac_f64_e32 v[72:73], 0x80000000, v[42:43]
	global_load_dwordx4 v[40:43], v[34:35], off offset:80
	global_load_dwordx4 v[8:11], v[52:53], off
	s_waitcnt vmcnt(2)
	v_fmac_f64_e32 v[88:89], v[12:13], v[4:5]
	v_fmac_f64_e32 v[82:83], 0, v[4:5]
	;; [unrolled: 1-line block ×16, first 2 shown]
	global_load_dwordx4 v[4:7], v[96:97], off offset:32
	global_load_dwordx4 v[36:39], v[34:35], off offset:96
	;; [unrolled: 1-line block ×3, first 2 shown]
	s_waitcnt vmcnt(2)
	v_fmac_f64_e32 v[74:75], 0, v[4:5]
	v_fmac_f64_e32 v[70:71], 0, v[4:5]
	;; [unrolled: 1-line block ×6, first 2 shown]
	global_load_dwordx4 v[24:27], v[96:97], off offset:48
	v_fmac_f64_e32 v[88:89], v[44:45], v[4:5]
	v_fmac_f64_e32 v[82:83], 0, v[4:5]
	;; [unrolled: 1-line block ×4, first 2 shown]
	v_subrev_u32_e32 v4, s20, v85
	v_lshlrev_b32_e32 v4, 2, v4
	v_ashrrev_i32_e32 v5, 31, v4
	v_lshlrev_b64 v[4:5], 4, v[4:5]
	v_fmac_f64_e32 v[82:83], v[44:45], v[6:7]
	v_fmac_f64_e32 v[78:79], v[46:47], v[6:7]
	v_add_co_u32_e32 v44, vcc, s8, v4
	v_fmac_f64_e32 v[88:89], 0x80000000, v[6:7]
	v_fmac_f64_e32 v[80:81], 0x80000000, v[6:7]
	v_addc_co_u32_e32 v45, vcc, v55, v5, vcc
	v_fmac_f64_e32 v[76:77], 0x80000000, v[6:7]
	v_fmac_f64_e32 v[72:73], 0x80000000, v[6:7]
	global_load_dwordx4 v[32:35], v[34:35], off offset:64
	v_subrev_u32_e32 v46, s20, v95
	global_load_dwordx4 v[4:7], v[52:53], off offset:48
	s_waitcnt vmcnt(2)
	v_fmac_f64_e32 v[82:83], 0, v[24:25]
	v_fmac_f64_e32 v[78:79], 0, v[24:25]
	v_fmac_f64_e32 v[88:89], v[28:29], v[24:25]
	v_fmac_f64_e32 v[80:81], v[30:31], v[24:25]
	v_fmac_f64_e32 v[82:83], v[28:29], v[26:27]
	v_fmac_f64_e32 v[78:79], v[30:31], v[26:27]
	global_load_dwordx4 v[28:31], v[44:45], off
	v_fmac_f64_e32 v[76:77], v[0:1], v[24:25]
	v_fmac_f64_e32 v[74:75], 0, v[24:25]
	;; [unrolled: 1-line block ×10, first 2 shown]
	global_load_dwordx4 v[24:27], v[52:53], off offset:16
	global_load_dwordx4 v[0:3], v[52:53], off offset:96
	s_waitcnt vmcnt(2)
	v_fmac_f64_e32 v[88:89], v[48:49], v[28:29]
	v_fmac_f64_e32 v[82:83], 0, v[28:29]
	;; [unrolled: 1-line block ×16, first 2 shown]
	global_load_dwordx4 v[28:31], v[44:45], off offset:16
	global_load_dwordx4 v[48:51], v[44:45], off offset:48
	s_waitcnt vmcnt(1)
	v_fmac_f64_e32 v[88:89], v[16:17], v[28:29]
	v_fmac_f64_e32 v[82:83], 0, v[28:29]
	;; [unrolled: 1-line block ×16, first 2 shown]
	global_load_dwordx4 v[28:31], v[44:45], off offset:32
	global_load_dwordx4 v[16:19], v[52:53], off offset:80
	;; [unrolled: 1-line block ×3, first 2 shown]
	s_waitcnt vmcnt(2)
	v_fmac_f64_e32 v[82:83], 0, v[28:29]
	v_fmac_f64_e32 v[88:89], v[32:33], v[28:29]
	;; [unrolled: 1-line block ×3, first 2 shown]
	v_lshlrev_b32_e32 v32, 2, v46
	v_ashrrev_i32_e32 v33, 31, v32
	v_lshlrev_b64 v[32:33], 4, v[32:33]
	v_add_co_u32_e32 v56, vcc, s8, v32
	v_addc_co_u32_e32 v57, vcc, v55, v33, vcc
	global_load_dwordx4 v[44:47], v[56:57], off
	v_fmac_f64_e32 v[78:79], 0, v[28:29]
	v_fmac_f64_e32 v[74:75], 0, v[28:29]
	;; [unrolled: 1-line block ×9, first 2 shown]
	global_load_dwordx4 v[40:43], v[56:57], off offset:16
	v_fmac_f64_e32 v[88:89], 0x80000000, v[30:31]
	v_fmac_f64_e32 v[80:81], 0x80000000, v[30:31]
	;; [unrolled: 1-line block ×8, first 2 shown]
	global_load_dwordx4 v[36:39], v[56:57], off offset:32
	v_fmac_f64_e32 v[76:77], 0x80000000, v[30:31]
	v_fmac_f64_e32 v[72:73], 0x80000000, v[30:31]
	global_load_dwordx4 v[28:31], v[56:57], off offset:48
	global_load_dwordx4 v[32:35], v[52:53], off offset:112
	v_fmac_f64_e32 v[76:77], v[90:91], v[48:49]
	v_fmac_f64_e32 v[74:75], 0, v[48:49]
	v_fmac_f64_e32 v[72:73], v[92:93], v[48:49]
	v_fmac_f64_e32 v[70:71], 0, v[48:49]
	v_fmac_f64_e32 v[74:75], v[90:91], v[50:51]
	v_fmac_f64_e32 v[70:71], v[92:93], v[50:51]
	v_fmac_f64_e32 v[88:89], 0x80000000, v[50:51]
	v_fmac_f64_e32 v[80:81], 0x80000000, v[50:51]
	v_fmac_f64_e32 v[76:77], 0x80000000, v[50:51]
	v_fmac_f64_e32 v[72:73], 0x80000000, v[50:51]
	v_add_co_u32_e32 v86, vcc, 0x8000, v86
	v_addc_co_u32_e32 v87, vcc, 0, v87, vcc
	v_cmp_ge_i32_e32 vcc, v84, v94
	s_or_b64 s[4:5], vcc, s[4:5]
	s_waitcnt vmcnt(4)
	v_fmac_f64_e32 v[88:89], v[8:9], v[44:45]
	v_fmac_f64_e32 v[82:83], 0, v[44:45]
	v_fmac_f64_e32 v[80:81], v[10:11], v[44:45]
	v_fmac_f64_e32 v[78:79], 0, v[44:45]
	v_fmac_f64_e32 v[76:77], v[24:25], v[44:45]
	v_fmac_f64_e32 v[74:75], 0, v[44:45]
	v_fmac_f64_e32 v[72:73], v[26:27], v[44:45]
	v_fmac_f64_e32 v[70:71], 0, v[44:45]
	v_fmac_f64_e32 v[88:89], 0x80000000, v[46:47]
	v_fmac_f64_e32 v[82:83], v[8:9], v[46:47]
	v_fmac_f64_e32 v[80:81], 0x80000000, v[46:47]
	v_fmac_f64_e32 v[78:79], v[10:11], v[46:47]
	v_fmac_f64_e32 v[76:77], 0x80000000, v[46:47]
	v_fmac_f64_e32 v[74:75], v[24:25], v[46:47]
	v_fmac_f64_e32 v[72:73], 0x80000000, v[46:47]
	v_fmac_f64_e32 v[70:71], v[26:27], v[46:47]
	s_waitcnt vmcnt(3)
	v_fmac_f64_e32 v[88:89], v[12:13], v[40:41]
	v_fmac_f64_e32 v[82:83], 0, v[40:41]
	v_fmac_f64_e32 v[80:81], v[14:15], v[40:41]
	v_fmac_f64_e32 v[78:79], 0, v[40:41]
	v_fmac_f64_e32 v[76:77], v[4:5], v[40:41]
	v_fmac_f64_e32 v[74:75], 0, v[40:41]
	v_fmac_f64_e32 v[72:73], v[6:7], v[40:41]
	v_fmac_f64_e32 v[70:71], 0, v[40:41]
	v_fmac_f64_e32 v[88:89], 0x80000000, v[42:43]
	v_fmac_f64_e32 v[82:83], v[12:13], v[42:43]
	v_fmac_f64_e32 v[80:81], 0x80000000, v[42:43]
	v_fmac_f64_e32 v[78:79], v[14:15], v[42:43]
	v_fmac_f64_e32 v[76:77], 0x80000000, v[42:43]
	v_fmac_f64_e32 v[74:75], v[4:5], v[42:43]
	v_fmac_f64_e32 v[72:73], 0x80000000, v[42:43]
	v_fmac_f64_e32 v[70:71], v[6:7], v[42:43]
	;; [unrolled: 17-line block ×3, first 2 shown]
	s_waitcnt vmcnt(1)
	v_fmac_f64_e32 v[88:89], v[0:1], v[28:29]
	v_fmac_f64_e32 v[82:83], 0, v[28:29]
	;; [unrolled: 1-line block ×4, first 2 shown]
	s_waitcnt vmcnt(0)
	v_fmac_f64_e32 v[76:77], v[32:33], v[28:29]
	v_fmac_f64_e32 v[74:75], 0, v[28:29]
	v_fmac_f64_e32 v[72:73], v[34:35], v[28:29]
	v_fmac_f64_e32 v[70:71], 0, v[28:29]
	v_fmac_f64_e32 v[88:89], 0x80000000, v[30:31]
	v_fmac_f64_e32 v[82:83], v[0:1], v[30:31]
	v_fmac_f64_e32 v[80:81], 0x80000000, v[30:31]
	v_fmac_f64_e32 v[78:79], v[2:3], v[30:31]
	v_fmac_f64_e32 v[76:77], 0x80000000, v[30:31]
	v_fmac_f64_e32 v[74:75], v[32:33], v[30:31]
	v_fmac_f64_e32 v[72:73], 0x80000000, v[30:31]
	v_fmac_f64_e32 v[70:71], v[34:35], v[30:31]
	s_andn2_b64 exec, exec, s[4:5]
	s_cbranch_execnz .LBB139_35
; %bb.36:
	s_or_b64 exec, exec, s[4:5]
.LBB139_37:
	s_or_b64 exec, exec, s[0:1]
.LBB139_38:
	s_or_b64 exec, exec, s[2:3]
.LBB139_39:
	v_mov_b32_dpp v0, v88 row_shr:1 row_mask:0xf bank_mask:0xf
	v_mov_b32_dpp v1, v89 row_shr:1 row_mask:0xf bank_mask:0xf
	v_mov_b32_dpp v4, v82 row_shr:1 row_mask:0xf bank_mask:0xf
	v_mov_b32_dpp v5, v83 row_shr:1 row_mask:0xf bank_mask:0xf
	v_mov_b32_dpp v8, v80 row_shr:1 row_mask:0xf bank_mask:0xf
	v_mov_b32_dpp v9, v81 row_shr:1 row_mask:0xf bank_mask:0xf
	v_mov_b32_dpp v12, v78 row_shr:1 row_mask:0xf bank_mask:0xf
	v_mov_b32_dpp v13, v79 row_shr:1 row_mask:0xf bank_mask:0xf
	v_mov_b32_dpp v16, v76 row_shr:1 row_mask:0xf bank_mask:0xf
	v_mov_b32_dpp v17, v77 row_shr:1 row_mask:0xf bank_mask:0xf
	v_mov_b32_dpp v20, v74 row_shr:1 row_mask:0xf bank_mask:0xf
	v_mov_b32_dpp v21, v75 row_shr:1 row_mask:0xf bank_mask:0xf
	v_mov_b32_dpp v24, v72 row_shr:1 row_mask:0xf bank_mask:0xf
	v_mov_b32_dpp v25, v73 row_shr:1 row_mask:0xf bank_mask:0xf
	v_mov_b32_dpp v28, v70 row_shr:1 row_mask:0xf bank_mask:0xf
	v_mov_b32_dpp v29, v71 row_shr:1 row_mask:0xf bank_mask:0xf
	v_add_f64 v[0:1], v[88:89], v[0:1]
	v_add_f64 v[4:5], v[82:83], v[4:5]
	v_add_f64 v[8:9], v[80:81], v[8:9]
	v_add_f64 v[12:13], v[78:79], v[12:13]
	v_add_f64 v[16:17], v[76:77], v[16:17]
	v_add_f64 v[20:21], v[74:75], v[20:21]
	v_add_f64 v[24:25], v[72:73], v[24:25]
	v_add_f64 v[28:29], v[70:71], v[28:29]
	v_mov_b32_dpp v2, v0 row_shr:2 row_mask:0xf bank_mask:0xf
	v_mov_b32_dpp v3, v1 row_shr:2 row_mask:0xf bank_mask:0xf
	v_mov_b32_dpp v6, v4 row_shr:2 row_mask:0xf bank_mask:0xf
	v_mov_b32_dpp v7, v5 row_shr:2 row_mask:0xf bank_mask:0xf
	v_mov_b32_dpp v10, v8 row_shr:2 row_mask:0xf bank_mask:0xf
	v_mov_b32_dpp v11, v9 row_shr:2 row_mask:0xf bank_mask:0xf
	v_mov_b32_dpp v14, v12 row_shr:2 row_mask:0xf bank_mask:0xf
	v_mov_b32_dpp v15, v13 row_shr:2 row_mask:0xf bank_mask:0xf
	v_mov_b32_dpp v18, v16 row_shr:2 row_mask:0xf bank_mask:0xf
	v_mov_b32_dpp v19, v17 row_shr:2 row_mask:0xf bank_mask:0xf
	v_mov_b32_dpp v22, v20 row_shr:2 row_mask:0xf bank_mask:0xf
	v_mov_b32_dpp v23, v21 row_shr:2 row_mask:0xf bank_mask:0xf
	v_mov_b32_dpp v26, v24 row_shr:2 row_mask:0xf bank_mask:0xf
	v_mov_b32_dpp v27, v25 row_shr:2 row_mask:0xf bank_mask:0xf
	v_mov_b32_dpp v30, v28 row_shr:2 row_mask:0xf bank_mask:0xf
	v_mov_b32_dpp v31, v29 row_shr:2 row_mask:0xf bank_mask:0xf
	v_add_f64 v[0:1], v[0:1], v[2:3]
	v_add_f64 v[4:5], v[4:5], v[6:7]
	v_add_f64 v[8:9], v[8:9], v[10:11]
	v_add_f64 v[12:13], v[12:13], v[14:15]
	v_add_f64 v[16:17], v[16:17], v[18:19]
	v_add_f64 v[20:21], v[20:21], v[22:23]
	v_add_f64 v[24:25], v[24:25], v[26:27]
	v_add_f64 v[28:29], v[28:29], v[30:31]
	;; [unrolled: 24-line block ×4, first 2 shown]
	v_mov_b32_dpp v2, v0 row_bcast:15 row_mask:0xa bank_mask:0xf
	v_mov_b32_dpp v3, v1 row_bcast:15 row_mask:0xa bank_mask:0xf
	;; [unrolled: 1-line block ×16, first 2 shown]
	v_add_f64 v[0:1], v[0:1], v[2:3]
	v_add_f64 v[4:5], v[4:5], v[6:7]
	;; [unrolled: 1-line block ×8, first 2 shown]
	v_mov_b32_dpp v2, v0 row_bcast:31 row_mask:0xc bank_mask:0xf
	v_mov_b32_dpp v3, v1 row_bcast:31 row_mask:0xc bank_mask:0xf
	;; [unrolled: 1-line block ×16, first 2 shown]
	v_cmp_eq_u32_e32 vcc, 63, v69
	s_and_b64 exec, exec, vcc
	s_cbranch_execz .LBB139_12
; %bb.40:
	s_load_dwordx2 s[2:3], s[6:7], 0x60
	v_add_f64 v[32:33], v[0:1], v[2:3]
	v_add_f64 v[0:1], v[4:5], v[6:7]
	v_add_f64 v[2:3], v[12:13], v[14:15]
	v_add_f64 v[18:19], v[16:17], v[18:19]
	v_add_f64 v[6:7], v[20:21], v[22:23]
	v_add_f64 v[16:17], v[28:29], v[30:31]
	v_add_f64 v[34:35], v[8:9], v[10:11]
	v_add_f64 v[20:21], v[24:25], v[26:27]
	v_cmp_eq_f64_e32 vcc, 0, v[60:61]
	v_cmp_eq_f64_e64 s[0:1], 0, v[62:63]
	v_mul_f64 v[12:13], v[0:1], -v[66:67]
	v_mul_f64 v[14:15], v[64:65], v[0:1]
	v_mul_f64 v[8:9], v[2:3], -v[66:67]
	v_mul_f64 v[10:11], v[64:65], v[2:3]
	;; [unrolled: 2-line block ×4, first 2 shown]
	s_and_b64 s[0:1], vcc, s[0:1]
	v_fmac_f64_e32 v[12:13], v[64:65], v[32:33]
	v_fmac_f64_e32 v[14:15], v[66:67], v[32:33]
	v_lshlrev_b32_e32 v16, 2, v68
	v_fmac_f64_e32 v[8:9], v[64:65], v[34:35]
	v_fmac_f64_e32 v[10:11], v[66:67], v[34:35]
	;; [unrolled: 1-line block ×6, first 2 shown]
	s_and_saveexec_b64 s[4:5], s[0:1]
	s_xor_b64 s[0:1], exec, s[4:5]
	s_cbranch_execz .LBB139_42
; %bb.41:
	v_ashrrev_i32_e32 v17, 31, v16
	v_lshlrev_b64 v[16:17], 4, v[16:17]
	s_waitcnt lgkmcnt(0)
	v_mov_b32_e32 v18, s3
	v_add_co_u32_e32 v16, vcc, s2, v16
	v_addc_co_u32_e32 v17, vcc, v18, v17, vcc
	global_store_dwordx4 v[16:17], v[12:15], off
	global_store_dwordx4 v[16:17], v[8:11], off offset:16
	global_store_dwordx4 v[16:17], v[4:7], off offset:32
	;; [unrolled: 1-line block ×3, first 2 shown]
                                        ; implicit-def: $vgpr60_vgpr61
                                        ; implicit-def: $vgpr62_vgpr63
                                        ; implicit-def: $vgpr12_vgpr13
                                        ; implicit-def: $vgpr16
                                        ; implicit-def: $vgpr8_vgpr9
                                        ; implicit-def: $vgpr4_vgpr5
                                        ; implicit-def: $vgpr0_vgpr1
.LBB139_42:
	s_andn2_saveexec_b64 s[0:1], s[0:1]
	s_cbranch_execz .LBB139_12
; %bb.43:
	v_ashrrev_i32_e32 v17, 31, v16
	v_lshlrev_b64 v[16:17], 4, v[16:17]
	s_waitcnt lgkmcnt(0)
	v_mov_b32_e32 v18, s3
	v_add_co_u32_e32 v32, vcc, s2, v16
	v_addc_co_u32_e32 v33, vcc, v18, v17, vcc
	global_load_dwordx4 v[16:19], v[32:33], off
	global_load_dwordx4 v[20:23], v[32:33], off offset:16
	global_load_dwordx4 v[24:27], v[32:33], off offset:32
	global_load_dwordx4 v[28:31], v[32:33], off offset:48
	s_waitcnt vmcnt(3)
	v_fmac_f64_e32 v[12:13], v[60:61], v[16:17]
	v_fmac_f64_e32 v[14:15], v[62:63], v[16:17]
	s_waitcnt vmcnt(2)
	v_fmac_f64_e32 v[8:9], v[60:61], v[20:21]
	v_fmac_f64_e32 v[10:11], v[62:63], v[20:21]
	;; [unrolled: 3-line block ×4, first 2 shown]
	v_fma_f64 v[12:13], -v[62:63], v[18:19], v[12:13]
	v_fmac_f64_e32 v[14:15], v[60:61], v[18:19]
	v_fma_f64 v[8:9], -v[62:63], v[22:23], v[8:9]
	v_fmac_f64_e32 v[10:11], v[60:61], v[22:23]
	;; [unrolled: 2-line block ×4, first 2 shown]
	global_store_dwordx4 v[32:33], v[12:15], off
	global_store_dwordx4 v[32:33], v[8:11], off offset:16
	global_store_dwordx4 v[32:33], v[4:7], off offset:32
	;; [unrolled: 1-line block ×3, first 2 shown]
	s_endpgm
	.section	.rodata,"a",@progbits
	.p2align	6, 0x0
	.amdhsa_kernel _ZN9rocsparseL18bsrxmvn_4x4_kernelILj128ELj64E21rocsparse_complex_numIdEiidS2_S2_EEvT3_20rocsparse_direction_NS_24const_host_device_scalarIT1_EES3_PKS3_PKT2_SC_S9_PKT4_PKT5_S7_PT6_21rocsparse_index_base_b
		.amdhsa_group_segment_fixed_size 2048
		.amdhsa_private_segment_fixed_size 0
		.amdhsa_kernarg_size 112
		.amdhsa_user_sgpr_count 8
		.amdhsa_user_sgpr_private_segment_buffer 1
		.amdhsa_user_sgpr_dispatch_ptr 1
		.amdhsa_user_sgpr_queue_ptr 0
		.amdhsa_user_sgpr_kernarg_segment_ptr 1
		.amdhsa_user_sgpr_dispatch_id 0
		.amdhsa_user_sgpr_flat_scratch_init 0
		.amdhsa_user_sgpr_kernarg_preload_length 0
		.amdhsa_user_sgpr_kernarg_preload_offset 0
		.amdhsa_user_sgpr_private_segment_size 0
		.amdhsa_uses_dynamic_stack 0
		.amdhsa_system_sgpr_private_segment_wavefront_offset 0
		.amdhsa_system_sgpr_workgroup_id_x 1
		.amdhsa_system_sgpr_workgroup_id_y 0
		.amdhsa_system_sgpr_workgroup_id_z 0
		.amdhsa_system_sgpr_workgroup_info 0
		.amdhsa_system_vgpr_workitem_id 2
		.amdhsa_next_free_vgpr 114
		.amdhsa_next_free_sgpr 24
		.amdhsa_accum_offset 116
		.amdhsa_reserve_vcc 1
		.amdhsa_reserve_flat_scratch 0
		.amdhsa_float_round_mode_32 0
		.amdhsa_float_round_mode_16_64 0
		.amdhsa_float_denorm_mode_32 3
		.amdhsa_float_denorm_mode_16_64 3
		.amdhsa_dx10_clamp 1
		.amdhsa_ieee_mode 1
		.amdhsa_fp16_overflow 0
		.amdhsa_tg_split 0
		.amdhsa_exception_fp_ieee_invalid_op 0
		.amdhsa_exception_fp_denorm_src 0
		.amdhsa_exception_fp_ieee_div_zero 0
		.amdhsa_exception_fp_ieee_overflow 0
		.amdhsa_exception_fp_ieee_underflow 0
		.amdhsa_exception_fp_ieee_inexact 0
		.amdhsa_exception_int_div_zero 0
	.end_amdhsa_kernel
	.section	.text._ZN9rocsparseL18bsrxmvn_4x4_kernelILj128ELj64E21rocsparse_complex_numIdEiidS2_S2_EEvT3_20rocsparse_direction_NS_24const_host_device_scalarIT1_EES3_PKS3_PKT2_SC_S9_PKT4_PKT5_S7_PT6_21rocsparse_index_base_b,"axG",@progbits,_ZN9rocsparseL18bsrxmvn_4x4_kernelILj128ELj64E21rocsparse_complex_numIdEiidS2_S2_EEvT3_20rocsparse_direction_NS_24const_host_device_scalarIT1_EES3_PKS3_PKT2_SC_S9_PKT4_PKT5_S7_PT6_21rocsparse_index_base_b,comdat
.Lfunc_end139:
	.size	_ZN9rocsparseL18bsrxmvn_4x4_kernelILj128ELj64E21rocsparse_complex_numIdEiidS2_S2_EEvT3_20rocsparse_direction_NS_24const_host_device_scalarIT1_EES3_PKS3_PKT2_SC_S9_PKT4_PKT5_S7_PT6_21rocsparse_index_base_b, .Lfunc_end139-_ZN9rocsparseL18bsrxmvn_4x4_kernelILj128ELj64E21rocsparse_complex_numIdEiidS2_S2_EEvT3_20rocsparse_direction_NS_24const_host_device_scalarIT1_EES3_PKS3_PKT2_SC_S9_PKT4_PKT5_S7_PT6_21rocsparse_index_base_b
                                        ; -- End function
	.section	.AMDGPU.csdata,"",@progbits
; Kernel info:
; codeLenInByte = 7932
; NumSgprs: 28
; NumVgprs: 114
; NumAgprs: 0
; TotalNumVgprs: 114
; ScratchSize: 0
; MemoryBound: 0
; FloatMode: 240
; IeeeMode: 1
; LDSByteSize: 2048 bytes/workgroup (compile time only)
; SGPRBlocks: 3
; VGPRBlocks: 14
; NumSGPRsForWavesPerEU: 28
; NumVGPRsForWavesPerEU: 114
; AccumOffset: 116
; Occupancy: 4
; WaveLimiterHint : 1
; COMPUTE_PGM_RSRC2:SCRATCH_EN: 0
; COMPUTE_PGM_RSRC2:USER_SGPR: 8
; COMPUTE_PGM_RSRC2:TRAP_HANDLER: 0
; COMPUTE_PGM_RSRC2:TGID_X_EN: 1
; COMPUTE_PGM_RSRC2:TGID_Y_EN: 0
; COMPUTE_PGM_RSRC2:TGID_Z_EN: 0
; COMPUTE_PGM_RSRC2:TIDIG_COMP_CNT: 2
; COMPUTE_PGM_RSRC3_GFX90A:ACCUM_OFFSET: 28
; COMPUTE_PGM_RSRC3_GFX90A:TG_SPLIT: 0
	.section	.text._ZN9rocsparseL18bsrxmvn_4x4_kernelILj128ELj4E21rocsparse_complex_numIdElidS2_S2_EEvT3_20rocsparse_direction_NS_24const_host_device_scalarIT1_EES3_PKS3_PKT2_SC_S9_PKT4_PKT5_S7_PT6_21rocsparse_index_base_b,"axG",@progbits,_ZN9rocsparseL18bsrxmvn_4x4_kernelILj128ELj4E21rocsparse_complex_numIdElidS2_S2_EEvT3_20rocsparse_direction_NS_24const_host_device_scalarIT1_EES3_PKS3_PKT2_SC_S9_PKT4_PKT5_S7_PT6_21rocsparse_index_base_b,comdat
	.globl	_ZN9rocsparseL18bsrxmvn_4x4_kernelILj128ELj4E21rocsparse_complex_numIdElidS2_S2_EEvT3_20rocsparse_direction_NS_24const_host_device_scalarIT1_EES3_PKS3_PKT2_SC_S9_PKT4_PKT5_S7_PT6_21rocsparse_index_base_b ; -- Begin function _ZN9rocsparseL18bsrxmvn_4x4_kernelILj128ELj4E21rocsparse_complex_numIdElidS2_S2_EEvT3_20rocsparse_direction_NS_24const_host_device_scalarIT1_EES3_PKS3_PKT2_SC_S9_PKT4_PKT5_S7_PT6_21rocsparse_index_base_b
	.p2align	8
	.type	_ZN9rocsparseL18bsrxmvn_4x4_kernelILj128ELj4E21rocsparse_complex_numIdElidS2_S2_EEvT3_20rocsparse_direction_NS_24const_host_device_scalarIT1_EES3_PKS3_PKT2_SC_S9_PKT4_PKT5_S7_PT6_21rocsparse_index_base_b,@function
_ZN9rocsparseL18bsrxmvn_4x4_kernelILj128ELj4E21rocsparse_complex_numIdElidS2_S2_EEvT3_20rocsparse_direction_NS_24const_host_device_scalarIT1_EES3_PKS3_PKT2_SC_S9_PKT4_PKT5_S7_PT6_21rocsparse_index_base_b: ; @_ZN9rocsparseL18bsrxmvn_4x4_kernelILj128ELj4E21rocsparse_complex_numIdElidS2_S2_EEvT3_20rocsparse_direction_NS_24const_host_device_scalarIT1_EES3_PKS3_PKT2_SC_S9_PKT4_PKT5_S7_PT6_21rocsparse_index_base_b
; %bb.0:
	s_load_dwordx2 s[20:21], s[6:7], 0x68
	s_load_dwordx4 s[12:15], s[6:7], 0x8
	s_load_dwordx2 s[10:11], s[4:5], 0x4
	s_load_dwordx4 s[16:19], s[6:7], 0x50
	s_mov_b64 s[2:3], src_shared_base
	v_bfe_u32 v2, v0, 10, 10
	s_waitcnt lgkmcnt(0)
	s_bitcmp1_b32 s21, 0
	s_cselect_b64 s[0:1], -1, 0
	s_and_b64 vcc, s[0:1], exec
	s_cselect_b32 s2, s3, s13
	s_lshr_b32 s4, s10, 16
	v_and_b32_e32 v1, 0x3ff, v0
	s_mul_i32 s4, s4, s11
	v_mul_u32_u24_e32 v2, s11, v2
	v_mad_u32_u24 v2, s4, v1, v2
	v_bfe_u32 v0, v0, 20, 10
	v_add_lshl_u32 v0, v2, v0, 3
	v_mov_b32_e32 v6, s12
	v_add_u32_e32 v7, 0x400, v0
	v_pk_mov_b32 v[2:3], s[12:13], s[12:13] op_sel:[0,1]
	v_pk_mov_b32 v[4:5], s[16:17], s[16:17] op_sel:[0,1]
	ds_write2st64_b64 v0, v[4:5], v[2:3] offset1:2
	v_cndmask_b32_e64 v2, v6, v7, s[0:1]
	v_mov_b32_e32 v3, s2
	flat_load_dwordx2 v[60:61], v[2:3]
	s_xor_b64 s[4:5], s[0:1], -1
	v_pk_mov_b32 v[62:63], s[14:15], s[14:15] op_sel:[0,1]
	s_cbranch_vccnz .LBB140_2
; %bb.1:
	v_pk_mov_b32 v[2:3], s[12:13], s[12:13] op_sel:[0,1]
	flat_load_dwordx2 v[62:63], v[2:3] offset:8
.LBB140_2:
	s_and_b64 s[10:11], s[0:1], exec
	s_cselect_b32 s2, s3, s17
	v_mov_b32_e32 v2, s16
	v_cndmask_b32_e64 v2, v2, v0, s[0:1]
	v_mov_b32_e32 v3, s2
	flat_load_dwordx2 v[56:57], v[2:3]
	s_andn2_b64 vcc, exec, s[4:5]
	v_pk_mov_b32 v[58:59], s[18:19], s[18:19] op_sel:[0,1]
	s_cbranch_vccnz .LBB140_4
; %bb.3:
	v_pk_mov_b32 v[2:3], s[16:17], s[16:17] op_sel:[0,1]
	flat_load_dwordx2 v[58:59], v[2:3] offset:8
.LBB140_4:
	s_waitcnt vmcnt(0) lgkmcnt(0)
	v_cmp_eq_f64_e32 vcc, 0, v[60:61]
	v_cmp_eq_f64_e64 s[0:1], 0, v[62:63]
	s_and_b64 s[4:5], vcc, s[0:1]
	s_mov_b64 s[0:1], -1
	s_and_saveexec_b64 s[2:3], s[4:5]
; %bb.5:
	v_cmp_neq_f64_e32 vcc, 1.0, v[56:57]
	v_cmp_neq_f64_e64 s[0:1], 0, v[58:59]
	s_or_b64 s[0:1], vcc, s[0:1]
	s_orn2_b64 s[0:1], s[0:1], exec
; %bb.6:
	s_or_b64 exec, exec, s[2:3]
	s_and_saveexec_b64 s[2:3], s[0:1]
	s_cbranch_execz .LBB140_12
; %bb.7:
	s_load_dwordx2 s[4:5], s[6:7], 0x20
	s_load_dwordx2 s[0:1], s[6:7], 0x0
	v_lshrrev_b32_e32 v0, 2, v1
	v_lshl_or_b32 v64, s8, 5, v0
	s_mov_b64 s[2:3], 0
	s_waitcnt lgkmcnt(0)
	s_cmp_lg_u64 s[4:5], 0
	s_cbranch_scc0 .LBB140_13
; %bb.8:
	s_load_dword s8, s[6:7], 0x18
                                        ; implicit-def: $vgpr0
	s_waitcnt lgkmcnt(0)
	v_cmp_gt_i32_e32 vcc, s8, v64
	s_and_saveexec_b64 s[8:9], vcc
	s_xor_b64 s[8:9], exec, s[8:9]
	s_cbranch_execz .LBB140_10
; %bb.9:
	v_ashrrev_i32_e32 v65, 31, v64
	v_lshlrev_b64 v[2:3], 2, v[64:65]
	v_mov_b32_e32 v0, s5
	v_add_co_u32_e32 v2, vcc, s4, v2
	v_addc_co_u32_e32 v3, vcc, v0, v3, vcc
	global_load_dword v0, v[2:3], off
	s_mov_b64 s[2:3], exec
	s_waitcnt vmcnt(0)
	v_subrev_u32_e32 v0, s20, v0
.LBB140_10:
	s_or_b64 exec, exec, s[8:9]
	s_branch .LBB140_14
.LBB140_11:
	v_cmp_gt_i32_e32 vcc, s0, v64
	s_andn2_b64 s[2:3], s[2:3], exec
	s_and_b64 s[4:5], vcc, exec
	s_or_b64 s[2:3], s[2:3], s[4:5]
	s_and_b64 exec, exec, s[2:3]
	s_cbranch_execnz .LBB140_15
.LBB140_12:
	s_endpgm
.LBB140_13:
                                        ; implicit-def: $vgpr0
	s_cbranch_execnz .LBB140_11
.LBB140_14:
	v_mov_b32_e32 v64, v0
	s_and_b64 exec, exec, s[2:3]
	s_cbranch_execz .LBB140_12
.LBB140_15:
	s_load_dwordx8 s[8:15], s[6:7], 0x28
	v_ashrrev_i32_e32 v65, 31, v64
	v_lshlrev_b64 v[2:3], 3, v[64:65]
	v_and_b32_e32 v66, 3, v1
	s_load_dwordx2 s[4:5], s[6:7], 0x48
	s_waitcnt lgkmcnt(0)
	v_mov_b32_e32 v0, s9
	v_add_co_u32_e32 v4, vcc, s8, v2
	v_addc_co_u32_e32 v5, vcc, v0, v3, vcc
	v_add_co_u32_e32 v0, vcc, 8, v4
	global_load_dwordx2 v[16:17], v[4:5], off
	v_addc_co_u32_e32 v4, vcc, 0, v5, vcc
	v_mov_b32_e32 v5, s11
	v_add_co_u32_e32 v2, vcc, s10, v2
	s_cmp_eq_u64 s[10:11], 0
	v_addc_co_u32_e32 v3, vcc, v5, v3, vcc
	s_cselect_b64 vcc, -1, 0
	v_cndmask_b32_e32 v3, v3, v4, vcc
	v_cndmask_b32_e32 v2, v2, v0, vcc
	global_load_dwordx2 v[2:3], v[2:3], off
	v_mov_b32_e32 v4, s15
	s_mov_b32 s18, 0
	s_cmp_eq_u32 s1, 1
	s_waitcnt vmcnt(1)
	v_subrev_co_u32_e32 v0, vcc, s20, v16
	v_subbrev_co_u32_e32 v1, vcc, 0, v17, vcc
	v_add_co_u32_e32 v68, vcc, v0, v66
	v_addc_co_u32_e32 v69, vcc, 0, v1, vcc
	v_lshlrev_b64 v[0:1], 7, v[68:69]
	s_waitcnt vmcnt(0)
	v_subrev_co_u32_e32 v70, vcc, s20, v2
	v_subbrev_co_u32_e32 v71, vcc, 0, v3, vcc
	v_add_co_u32_e32 v72, vcc, s14, v0
	v_addc_co_u32_e32 v73, vcc, v4, v1, vcc
	v_cmp_lt_i64_e64 s[0:1], v[68:69], v[70:71]
	s_cbranch_scc1 .LBB140_27
; %bb.16:
	v_pk_mov_b32 v[78:79], 0, 0
	s_mov_b64 s[8:9], 0
	v_pk_mov_b32 v[88:89], v[78:79], v[78:79] op_sel:[0,1]
	v_pk_mov_b32 v[82:83], v[78:79], v[78:79] op_sel:[0,1]
	;; [unrolled: 1-line block ×7, first 2 shown]
	s_and_saveexec_b64 s[10:11], s[0:1]
	s_cbranch_execz .LBB140_26
; %bb.17:
	v_or_b32_e32 v0, 4, v66
	v_mov_b32_e32 v1, s18
	v_subrev_co_u32_e32 v0, vcc, s20, v0
	v_subb_co_u32_e32 v1, vcc, 0, v1, vcc
	v_add_co_u32_e32 v0, vcc, v0, v16
	v_addc_co_u32_e32 v1, vcc, v1, v17, vcc
	v_cmp_gt_i64_e32 vcc, v[0:1], v[70:71]
	v_cndmask_b32_e32 v1, v71, v1, vcc
	v_cndmask_b32_e32 v0, v70, v0, vcc
	v_mov_b32_e32 v4, s18
	v_sub_co_u32_e32 v5, vcc, s20, v66
	v_not_b32_e32 v3, v16
	v_subbrev_co_u32_e32 v4, vcc, 0, v4, vcc
	v_not_b32_e32 v2, v17
	v_add_co_u32_e32 v3, vcc, v5, v3
	v_addc_co_u32_e32 v2, vcc, v4, v2, vcc
	v_add_co_u32_e32 v22, vcc, v3, v0
	v_lshrrev_b32_e32 v0, 2, v22
	v_add_u32_e32 v0, 1, v0
	v_addc_co_u32_e32 v23, vcc, v2, v1, vcc
	v_and_b32_e32 v0, 3, v0
	v_pk_mov_b32 v[74:75], 0, 0
	v_cmp_ne_u32_e32 vcc, 0, v0
	s_mov_b64 s[16:17], 0
	v_pk_mov_b32 v[76:77], v[74:75], v[74:75] op_sel:[0,1]
	v_pk_mov_b32 v[84:85], v[74:75], v[74:75] op_sel:[0,1]
	;; [unrolled: 1-line block ×9, first 2 shown]
	s_and_saveexec_b64 s[14:15], vcc
	s_cbranch_execz .LBB140_21
; %bb.18:
	v_lshlrev_b64 v[2:3], 2, v[68:69]
	v_mov_b32_e32 v1, s13
	v_add_co_u32_e32 v26, vcc, s12, v2
	v_pk_mov_b32 v[78:79], 0, 0
	v_mov_b32_e32 v25, 0
	v_addc_co_u32_e32 v27, vcc, v1, v3, vcc
	v_lshlrev_b32_e32 v24, 2, v0
	s_movk_i32 s19, 0x200
	v_mov_b32_e32 v28, s5
	v_pk_mov_b32 v[20:21], v[68:69], v[68:69] op_sel:[0,1]
	v_pk_mov_b32 v[18:19], v[72:73], v[72:73] op_sel:[0,1]
	;; [unrolled: 1-line block ×9, first 2 shown]
.LBB140_19:                             ; =>This Inner Loop Header: Depth=1
	global_load_dword v29, v[26:27], off
	global_load_dwordx4 v[0:3], v[18:19], off offset:48
	global_load_dwordx4 v[8:11], v[18:19], off offset:32
	;; [unrolled: 1-line block ×3, first 2 shown]
	global_load_dwordx4 v[12:15], v[18:19], off
	global_load_dwordx4 v[30:33], v[18:19], off offset:112
	global_load_dwordx4 v[34:37], v[18:19], off offset:96
	;; [unrolled: 1-line block ×4, first 2 shown]
	v_add_co_u32_e32 v18, vcc, s19, v18
	v_addc_co_u32_e32 v19, vcc, 0, v19, vcc
	s_waitcnt vmcnt(8)
	v_subrev_u32_e32 v29, s20, v29
	v_lshlrev_b32_e32 v46, 2, v29
	v_ashrrev_i32_e32 v47, 31, v46
	v_lshlrev_b64 v[46:47], 4, v[46:47]
	v_add_co_u32_e64 v54, s[2:3], s4, v46
	v_addc_co_u32_e64 v55, s[2:3], v28, v47, s[2:3]
	global_load_dwordx4 v[46:49], v[54:55], off
	global_load_dwordx4 v[50:53], v[54:55], off offset:16
	global_load_dwordx4 v[90:93], v[54:55], off offset:32
	;; [unrolled: 1-line block ×3, first 2 shown]
	v_add_co_u32_e64 v20, s[2:3], 4, v20
	v_addc_co_u32_e64 v21, s[2:3], 0, v21, s[2:3]
	v_add_co_u32_e64 v26, s[2:3], 16, v26
	v_addc_co_u32_e64 v27, s[2:3], 0, v27, s[2:3]
	v_add_co_u32_e64 v24, s[2:3], -4, v24
	v_addc_co_u32_e64 v25, s[2:3], -1, v25, s[2:3]
	v_cmp_eq_u64_e32 vcc, 0, v[24:25]
	s_or_b64 s[16:17], vcc, s[16:17]
	s_waitcnt vmcnt(3)
	v_fmac_f64_e32 v[88:89], v[12:13], v[46:47]
	v_fmac_f64_e32 v[78:79], 0, v[46:47]
	v_fmac_f64_e32 v[86:87], v[8:9], v[46:47]
	v_fmac_f64_e32 v[82:83], 0, v[46:47]
	v_fmac_f64_e32 v[84:85], v[38:39], v[46:47]
	v_fmac_f64_e32 v[80:81], 0, v[46:47]
	v_fmac_f64_e32 v[74:75], v[34:35], v[46:47]
	v_fmac_f64_e32 v[76:77], 0, v[46:47]
	v_fmac_f64_e32 v[88:89], 0x80000000, v[48:49]
	v_fmac_f64_e32 v[78:79], v[12:13], v[48:49]
	v_fmac_f64_e32 v[86:87], 0x80000000, v[48:49]
	v_fmac_f64_e32 v[82:83], v[8:9], v[48:49]
	v_fmac_f64_e32 v[84:85], 0x80000000, v[48:49]
	v_fmac_f64_e32 v[80:81], v[38:39], v[48:49]
	v_fmac_f64_e32 v[74:75], 0x80000000, v[48:49]
	v_fmac_f64_e32 v[76:77], v[34:35], v[48:49]
	s_waitcnt vmcnt(2)
	v_fmac_f64_e32 v[88:89], v[14:15], v[50:51]
	v_fmac_f64_e32 v[78:79], 0, v[50:51]
	v_fmac_f64_e32 v[86:87], v[10:11], v[50:51]
	v_fmac_f64_e32 v[82:83], 0, v[50:51]
	v_fmac_f64_e32 v[84:85], v[40:41], v[50:51]
	v_fmac_f64_e32 v[80:81], 0, v[50:51]
	v_fmac_f64_e32 v[74:75], v[36:37], v[50:51]
	v_fmac_f64_e32 v[76:77], 0, v[50:51]
	v_fmac_f64_e32 v[78:79], v[14:15], v[52:53]
	v_fmac_f64_e32 v[82:83], v[10:11], v[52:53]
	v_fmac_f64_e32 v[80:81], v[40:41], v[52:53]
	v_fmac_f64_e32 v[88:89], 0x80000000, v[52:53]
	v_fmac_f64_e32 v[86:87], 0x80000000, v[52:53]
	v_fmac_f64_e32 v[84:85], 0x80000000, v[52:53]
	v_fmac_f64_e32 v[74:75], 0x80000000, v[52:53]
	v_fmac_f64_e32 v[76:77], v[36:37], v[52:53]
	;; [unrolled: 17-line block ×4, first 2 shown]
	s_andn2_b64 exec, exec, s[16:17]
	s_cbranch_execnz .LBB140_19
; %bb.20:
	s_or_b64 exec, exec, s[16:17]
.LBB140_21:
	s_or_b64 exec, exec, s[14:15]
	v_cmp_lt_u64_e32 vcc, 11, v[22:23]
	s_and_saveexec_b64 s[2:3], vcc
	s_cbranch_execz .LBB140_25
; %bb.22:
	v_lshlrev_b64 v[0:1], 2, v[20:21]
	v_mov_b32_e32 v2, s13
	v_add_co_u32_e32 v0, vcc, s12, v0
	v_addc_co_u32_e32 v1, vcc, v1, v2, vcc
	v_add_co_u32_e32 v22, vcc, 32, v0
	v_addc_co_u32_e32 v23, vcc, 0, v1, vcc
	s_mov_b64 s[14:15], 0
	v_mov_b32_e32 v24, s5
	s_movk_i32 s16, 0x800
.LBB140_23:                             ; =>This Inner Loop Header: Depth=1
	global_load_dword v0, v[22:23], off offset:-32
	s_waitcnt vmcnt(0)
	v_subrev_u32_e32 v0, s20, v0
	v_lshlrev_b32_e32 v26, 2, v0
	v_ashrrev_i32_e32 v27, 31, v26
	v_lshlrev_b64 v[26:27], 4, v[26:27]
	v_add_co_u32_e32 v42, vcc, s4, v26
	v_addc_co_u32_e32 v43, vcc, v24, v27, vcc
	global_load_dwordx4 v[0:3], v[18:19], off offset:48
	global_load_dwordx4 v[4:7], v[18:19], off offset:32
	;; [unrolled: 1-line block ×3, first 2 shown]
	global_load_dwordx4 v[12:15], v[18:19], off
	global_load_dwordx4 v[26:29], v[42:43], off offset:48
	global_load_dwordx4 v[30:33], v[42:43], off offset:32
	;; [unrolled: 1-line block ×3, first 2 shown]
	global_load_dwordx4 v[38:41], v[42:43], off
	s_waitcnt vmcnt(0)
	v_fmac_f64_e32 v[78:79], 0, v[38:39]
	v_fmac_f64_e32 v[82:83], 0, v[38:39]
	;; [unrolled: 1-line block ×30, first 2 shown]
	global_load_dwordx4 v[0:3], v[18:19], off offset:112
	global_load_dwordx4 v[4:7], v[18:19], off offset:96
	;; [unrolled: 1-line block ×4, first 2 shown]
	v_fmac_f64_e32 v[76:77], 0, v[38:39]
	v_fmac_f64_e32 v[80:81], 0, v[38:39]
	;; [unrolled: 1-line block ×4, first 2 shown]
	s_waitcnt vmcnt(2)
	v_fmac_f64_e32 v[74:75], v[4:5], v[38:39]
	v_fmac_f64_e32 v[76:77], v[4:5], v[40:41]
	;; [unrolled: 1-line block ×10, first 2 shown]
	global_load_dword v0, v[22:23], off offset:-16
	s_waitcnt vmcnt(1)
	v_fmac_f64_e32 v[84:85], v[12:13], v[38:39]
	v_fmac_f64_e32 v[84:85], 0x80000000, v[40:41]
	;; [unrolled: 1-line block ×20, first 2 shown]
	s_waitcnt vmcnt(0)
	v_subrev_u32_e32 v0, s20, v0
	v_lshlrev_b32_e32 v26, 2, v0
	v_ashrrev_i32_e32 v27, 31, v26
	v_lshlrev_b64 v[26:27], 4, v[26:27]
	v_add_co_u32_e32 v42, vcc, s4, v26
	v_addc_co_u32_e32 v43, vcc, v24, v27, vcc
	global_load_dwordx4 v[0:3], v[18:19], off offset:560
	global_load_dwordx4 v[4:7], v[18:19], off offset:544
	;; [unrolled: 1-line block ×7, first 2 shown]
	global_load_dwordx4 v[38:41], v[42:43], off
	s_waitcnt vmcnt(0)
	v_fmac_f64_e32 v[78:79], 0, v[38:39]
	v_fmac_f64_e32 v[82:83], 0, v[38:39]
	;; [unrolled: 1-line block ×30, first 2 shown]
	global_load_dwordx4 v[0:3], v[18:19], off offset:624
	global_load_dwordx4 v[4:7], v[18:19], off offset:608
	global_load_dwordx4 v[8:11], v[18:19], off offset:592
	global_load_dwordx4 v[12:15], v[18:19], off offset:576
	v_fmac_f64_e32 v[76:77], 0, v[38:39]
	v_fmac_f64_e32 v[80:81], 0, v[38:39]
	;; [unrolled: 1-line block ×4, first 2 shown]
	s_waitcnt vmcnt(2)
	v_fmac_f64_e32 v[74:75], v[4:5], v[38:39]
	v_fmac_f64_e32 v[76:77], v[4:5], v[40:41]
	;; [unrolled: 1-line block ×10, first 2 shown]
	global_load_dword v0, v[22:23], off
	s_waitcnt vmcnt(1)
	v_fmac_f64_e32 v[84:85], v[12:13], v[38:39]
	v_fmac_f64_e32 v[84:85], 0x80000000, v[40:41]
	;; [unrolled: 1-line block ×20, first 2 shown]
	s_waitcnt vmcnt(0)
	v_subrev_u32_e32 v0, s20, v0
	v_lshlrev_b32_e32 v26, 2, v0
	v_ashrrev_i32_e32 v27, 31, v26
	v_lshlrev_b64 v[26:27], 4, v[26:27]
	v_add_co_u32_e32 v42, vcc, s4, v26
	v_addc_co_u32_e32 v43, vcc, v24, v27, vcc
	global_load_dwordx4 v[0:3], v[18:19], off offset:1072
	global_load_dwordx4 v[4:7], v[18:19], off offset:1056
	;; [unrolled: 1-line block ×7, first 2 shown]
	global_load_dwordx4 v[38:41], v[42:43], off
	s_waitcnt vmcnt(0)
	v_fmac_f64_e32 v[78:79], 0, v[38:39]
	v_fmac_f64_e32 v[82:83], 0, v[38:39]
	;; [unrolled: 1-line block ×30, first 2 shown]
	global_load_dwordx4 v[0:3], v[18:19], off offset:1136
	global_load_dwordx4 v[4:7], v[18:19], off offset:1120
	;; [unrolled: 1-line block ×4, first 2 shown]
	v_fmac_f64_e32 v[76:77], 0, v[38:39]
	v_fmac_f64_e32 v[80:81], 0, v[38:39]
	;; [unrolled: 1-line block ×4, first 2 shown]
	s_waitcnt vmcnt(2)
	v_fmac_f64_e32 v[74:75], v[4:5], v[38:39]
	v_fmac_f64_e32 v[76:77], v[4:5], v[40:41]
	;; [unrolled: 1-line block ×10, first 2 shown]
	global_load_dword v0, v[22:23], off offset:16
	s_waitcnt vmcnt(1)
	v_fmac_f64_e32 v[84:85], v[12:13], v[38:39]
	v_fmac_f64_e32 v[84:85], 0x80000000, v[40:41]
	;; [unrolled: 1-line block ×20, first 2 shown]
	global_load_dwordx4 v[26:29], v[18:19], off offset:1584
	global_load_dwordx4 v[30:33], v[18:19], off offset:1568
	;; [unrolled: 1-line block ×4, first 2 shown]
	s_waitcnt vmcnt(4)
	v_subrev_u32_e32 v0, s20, v0
	v_lshlrev_b32_e32 v0, 2, v0
	v_ashrrev_i32_e32 v1, 31, v0
	v_lshlrev_b64 v[0:1], 4, v[0:1]
	v_add_co_u32_e32 v42, vcc, s4, v0
	v_addc_co_u32_e32 v43, vcc, v24, v1, vcc
	global_load_dwordx4 v[0:3], v[42:43], off offset:48
	global_load_dwordx4 v[4:7], v[42:43], off offset:32
	;; [unrolled: 1-line block ×3, first 2 shown]
	global_load_dwordx4 v[12:15], v[42:43], off
	s_waitcnt vmcnt(0)
	v_fmac_f64_e32 v[78:79], 0, v[12:13]
	v_fmac_f64_e32 v[82:83], 0, v[12:13]
	;; [unrolled: 1-line block ×30, first 2 shown]
	global_load_dwordx4 v[26:29], v[18:19], off offset:1648
	global_load_dwordx4 v[30:33], v[18:19], off offset:1632
	;; [unrolled: 1-line block ×4, first 2 shown]
	v_fmac_f64_e32 v[80:81], 0, v[12:13]
	v_fmac_f64_e32 v[76:77], 0, v[12:13]
	v_add_co_u32_e32 v18, vcc, s16, v18
	v_addc_co_u32_e32 v19, vcc, 0, v19, vcc
	v_add_co_u32_e32 v20, vcc, 16, v20
	v_addc_co_u32_e32 v21, vcc, 0, v21, vcc
	;; [unrolled: 2-line block ×3, first 2 shown]
	v_cmp_ge_i64_e32 vcc, v[20:21], v[70:71]
	v_fmac_f64_e32 v[88:89], 0x80000000, v[2:3]
	v_fmac_f64_e32 v[86:87], 0x80000000, v[2:3]
	s_or_b64 s[14:15], vcc, s[14:15]
	s_waitcnt vmcnt(2)
	v_fmac_f64_e32 v[74:75], v[30:31], v[12:13]
	v_fmac_f64_e32 v[74:75], 0x80000000, v[14:15]
	s_waitcnt vmcnt(0)
	v_fmac_f64_e32 v[84:85], v[38:39], v[12:13]
	v_fmac_f64_e32 v[84:85], 0x80000000, v[14:15]
	v_fmac_f64_e32 v[80:81], v[38:39], v[14:15]
	v_fmac_f64_e32 v[76:77], v[30:31], v[14:15]
	v_fmac_f64_e32 v[84:85], v[40:41], v[8:9]
	v_fmac_f64_e32 v[80:81], 0, v[8:9]
	v_fmac_f64_e32 v[74:75], v[32:33], v[8:9]
	v_fmac_f64_e32 v[76:77], 0, v[8:9]
	v_fmac_f64_e32 v[84:85], 0x80000000, v[10:11]
	v_fmac_f64_e32 v[80:81], v[40:41], v[10:11]
	v_fmac_f64_e32 v[74:75], 0x80000000, v[10:11]
	v_fmac_f64_e32 v[76:77], v[32:33], v[10:11]
	v_fmac_f64_e32 v[84:85], v[34:35], v[4:5]
	v_fmac_f64_e32 v[80:81], 0, v[4:5]
	v_fmac_f64_e32 v[74:75], v[26:27], v[4:5]
	v_fmac_f64_e32 v[76:77], 0, v[4:5]
	v_fmac_f64_e32 v[84:85], 0x80000000, v[6:7]
	v_fmac_f64_e32 v[80:81], v[34:35], v[6:7]
	v_fmac_f64_e32 v[74:75], 0x80000000, v[6:7]
	v_fmac_f64_e32 v[76:77], v[26:27], v[6:7]
	v_fmac_f64_e32 v[84:85], v[36:37], v[0:1]
	v_fmac_f64_e32 v[80:81], 0, v[0:1]
	v_fmac_f64_e32 v[74:75], v[28:29], v[0:1]
	v_fmac_f64_e32 v[76:77], 0, v[0:1]
	v_fmac_f64_e32 v[84:85], 0x80000000, v[2:3]
	v_fmac_f64_e32 v[80:81], v[36:37], v[2:3]
	v_fmac_f64_e32 v[74:75], 0x80000000, v[2:3]
	v_fmac_f64_e32 v[76:77], v[28:29], v[2:3]
	s_andn2_b64 exec, exec, s[14:15]
	s_cbranch_execnz .LBB140_23
; %bb.24:
	s_or_b64 exec, exec, s[14:15]
.LBB140_25:
	s_or_b64 exec, exec, s[2:3]
.LBB140_26:
	s_or_b64 exec, exec, s[10:11]
	s_andn2_b64 vcc, exec, s[8:9]
	s_cbranch_vccz .LBB140_28
	s_branch .LBB140_39
.LBB140_27:
                                        ; implicit-def: $vgpr78_vgpr79
                                        ; implicit-def: $vgpr88_vgpr89
                                        ; implicit-def: $vgpr82_vgpr83
                                        ; implicit-def: $vgpr86_vgpr87
                                        ; implicit-def: $vgpr80_vgpr81
                                        ; implicit-def: $vgpr84_vgpr85
                                        ; implicit-def: $vgpr76_vgpr77
                                        ; implicit-def: $vgpr74_vgpr75
.LBB140_28:
	v_pk_mov_b32 v[78:79], 0, 0
	v_pk_mov_b32 v[88:89], v[78:79], v[78:79] op_sel:[0,1]
	v_pk_mov_b32 v[82:83], v[78:79], v[78:79] op_sel:[0,1]
	;; [unrolled: 1-line block ×7, first 2 shown]
	s_and_saveexec_b64 s[8:9], s[0:1]
	s_cbranch_execz .LBB140_38
; %bb.29:
	v_or_b32_e32 v0, 4, v66
	v_mov_b32_e32 v1, s18
	v_subrev_co_u32_e32 v0, vcc, s20, v0
	v_subb_co_u32_e32 v1, vcc, 0, v1, vcc
	v_add_co_u32_e32 v0, vcc, v0, v16
	v_addc_co_u32_e32 v1, vcc, v1, v17, vcc
	v_cmp_gt_i64_e32 vcc, v[0:1], v[70:71]
	v_cndmask_b32_e32 v1, v71, v1, vcc
	v_cndmask_b32_e32 v0, v70, v0, vcc
	v_mov_b32_e32 v4, s18
	v_sub_co_u32_e32 v5, vcc, s20, v66
	v_not_b32_e32 v3, v16
	v_subbrev_co_u32_e32 v4, vcc, 0, v4, vcc
	v_not_b32_e32 v2, v17
	v_add_co_u32_e32 v3, vcc, v5, v3
	v_addc_co_u32_e32 v2, vcc, v4, v2, vcc
	v_add_co_u32_e32 v16, vcc, v3, v0
	v_lshrrev_b32_e32 v0, 2, v16
	v_add_u32_e32 v0, 1, v0
	v_addc_co_u32_e32 v17, vcc, v2, v1, vcc
	v_and_b32_e32 v0, 3, v0
	v_pk_mov_b32 v[74:75], 0, 0
	v_cmp_ne_u32_e32 vcc, 0, v0
	s_mov_b64 s[10:11], 0
	v_pk_mov_b32 v[76:77], v[74:75], v[74:75] op_sel:[0,1]
	v_pk_mov_b32 v[84:85], v[74:75], v[74:75] op_sel:[0,1]
	;; [unrolled: 1-line block ×7, first 2 shown]
	s_and_saveexec_b64 s[2:3], vcc
	s_cbranch_execz .LBB140_33
; %bb.30:
	v_lshlrev_b64 v[2:3], 2, v[68:69]
	v_mov_b32_e32 v1, s13
	v_add_co_u32_e32 v20, vcc, s12, v2
	v_pk_mov_b32 v[78:79], 0, 0
	v_mov_b32_e32 v19, 0
	v_addc_co_u32_e32 v21, vcc, v1, v3, vcc
	v_lshlrev_b32_e32 v18, 2, v0
	s_movk_i32 s14, 0x200
	v_mov_b32_e32 v22, s5
	v_pk_mov_b32 v[88:89], v[78:79], v[78:79] op_sel:[0,1]
	v_pk_mov_b32 v[82:83], v[78:79], v[78:79] op_sel:[0,1]
	;; [unrolled: 1-line block ×7, first 2 shown]
.LBB140_31:                             ; =>This Inner Loop Header: Depth=1
	global_load_dword v23, v[20:21], off
	global_load_dwordx4 v[0:3], v[72:73], off offset:48
	global_load_dwordx4 v[4:7], v[72:73], off offset:32
	;; [unrolled: 1-line block ×3, first 2 shown]
	global_load_dwordx4 v[12:15], v[72:73], off
	global_load_dwordx4 v[24:27], v[72:73], off offset:112
	global_load_dwordx4 v[28:31], v[72:73], off offset:96
	;; [unrolled: 1-line block ×4, first 2 shown]
	v_add_co_u32_e64 v68, s[0:1], 4, v68
	v_addc_co_u32_e64 v69, s[0:1], 0, v69, s[0:1]
	v_add_co_u32_e64 v20, s[0:1], 16, v20
	v_addc_co_u32_e64 v21, s[0:1], 0, v21, s[0:1]
	v_add_co_u32_e64 v18, s[0:1], -4, v18
	v_addc_co_u32_e64 v19, s[0:1], -1, v19, s[0:1]
	s_waitcnt vmcnt(8)
	v_subrev_u32_e32 v23, s20, v23
	v_lshlrev_b32_e32 v40, 2, v23
	v_ashrrev_i32_e32 v41, 31, v40
	v_lshlrev_b64 v[40:41], 4, v[40:41]
	v_add_co_u32_e32 v90, vcc, s4, v40
	v_addc_co_u32_e32 v91, vcc, v22, v41, vcc
	global_load_dwordx4 v[40:43], v[90:91], off
	global_load_dwordx4 v[44:47], v[90:91], off offset:16
	global_load_dwordx4 v[48:51], v[90:91], off offset:32
	;; [unrolled: 1-line block ×3, first 2 shown]
	v_add_co_u32_e32 v72, vcc, s14, v72
	v_addc_co_u32_e32 v73, vcc, 0, v73, vcc
	v_cmp_eq_u64_e32 vcc, 0, v[18:19]
	s_or_b64 s[10:11], vcc, s[10:11]
	s_waitcnt vmcnt(3)
	v_fmac_f64_e32 v[88:89], v[12:13], v[40:41]
	v_fmac_f64_e32 v[78:79], 0, v[40:41]
	v_fmac_f64_e32 v[86:87], v[14:15], v[40:41]
	v_fmac_f64_e32 v[82:83], 0, v[40:41]
	v_fmac_f64_e32 v[84:85], v[8:9], v[40:41]
	v_fmac_f64_e32 v[80:81], 0, v[40:41]
	v_fmac_f64_e32 v[74:75], v[10:11], v[40:41]
	v_fmac_f64_e32 v[76:77], 0, v[40:41]
	v_fmac_f64_e32 v[88:89], 0x80000000, v[42:43]
	v_fmac_f64_e32 v[78:79], v[12:13], v[42:43]
	v_fmac_f64_e32 v[86:87], 0x80000000, v[42:43]
	v_fmac_f64_e32 v[82:83], v[14:15], v[42:43]
	v_fmac_f64_e32 v[84:85], 0x80000000, v[42:43]
	v_fmac_f64_e32 v[80:81], v[8:9], v[42:43]
	v_fmac_f64_e32 v[74:75], 0x80000000, v[42:43]
	v_fmac_f64_e32 v[76:77], v[10:11], v[42:43]
	s_waitcnt vmcnt(2)
	v_fmac_f64_e32 v[88:89], v[4:5], v[44:45]
	v_fmac_f64_e32 v[78:79], 0, v[44:45]
	v_fmac_f64_e32 v[86:87], v[6:7], v[44:45]
	v_fmac_f64_e32 v[82:83], 0, v[44:45]
	v_fmac_f64_e32 v[84:85], v[0:1], v[44:45]
	v_fmac_f64_e32 v[80:81], 0, v[44:45]
	v_fmac_f64_e32 v[74:75], v[2:3], v[44:45]
	v_fmac_f64_e32 v[76:77], 0, v[44:45]
	v_fmac_f64_e32 v[88:89], 0x80000000, v[46:47]
	v_fmac_f64_e32 v[78:79], v[4:5], v[46:47]
	v_fmac_f64_e32 v[86:87], 0x80000000, v[46:47]
	v_fmac_f64_e32 v[82:83], v[6:7], v[46:47]
	v_fmac_f64_e32 v[84:85], 0x80000000, v[46:47]
	v_fmac_f64_e32 v[80:81], v[0:1], v[46:47]
	v_fmac_f64_e32 v[74:75], 0x80000000, v[46:47]
	v_fmac_f64_e32 v[76:77], v[2:3], v[46:47]
	;; [unrolled: 17-line block ×4, first 2 shown]
	s_andn2_b64 exec, exec, s[10:11]
	s_cbranch_execnz .LBB140_31
; %bb.32:
	s_or_b64 exec, exec, s[10:11]
.LBB140_33:
	s_or_b64 exec, exec, s[2:3]
	v_cmp_lt_u64_e32 vcc, 11, v[16:17]
	s_and_saveexec_b64 s[10:11], vcc
	s_cbranch_execz .LBB140_37
; %bb.34:
	v_lshlrev_b64 v[0:1], 2, v[68:69]
	v_mov_b32_e32 v2, s13
	v_add_co_u32_e32 v0, vcc, s12, v0
	v_addc_co_u32_e32 v1, vcc, v1, v2, vcc
	v_add_co_u32_e32 v90, vcc, 32, v0
	v_addc_co_u32_e32 v91, vcc, 0, v1, vcc
	s_mov_b64 s[12:13], 0
	v_mov_b32_e32 v65, s5
	s_movk_i32 s5, 0x800
.LBB140_35:                             ; =>This Inner Loop Header: Depth=1
	global_load_dword v52, v[90:91], off offset:-32
	global_load_dwordx4 v[4:7], v[72:73], off offset:48
	global_load_dwordx4 v[8:11], v[72:73], off offset:32
	;; [unrolled: 1-line block ×3, first 2 shown]
	global_load_dwordx4 v[48:51], v[72:73], off
	global_load_dwordx4 v[12:15], v[72:73], off offset:112
	global_load_dwordx4 v[28:31], v[72:73], off offset:96
	;; [unrolled: 1-line block ×9, first 2 shown]
	v_add_co_u32_e64 v68, s[0:1], 16, v68
	v_addc_co_u32_e64 v69, s[0:1], 0, v69, s[0:1]
	s_waitcnt vmcnt(13)
	v_subrev_u32_e32 v52, s20, v52
	v_lshlrev_b32_e32 v52, 2, v52
	v_ashrrev_i32_e32 v53, 31, v52
	v_lshlrev_b64 v[52:53], 4, v[52:53]
	v_add_co_u32_e32 v94, vcc, s4, v52
	v_addc_co_u32_e32 v95, vcc, v65, v53, vcc
	global_load_dwordx4 v[52:55], v[94:95], off
	s_waitcnt vmcnt(0)
	v_fmac_f64_e32 v[78:79], 0, v[52:53]
	v_fmac_f64_e32 v[82:83], 0, v[52:53]
	;; [unrolled: 1-line block ×8, first 2 shown]
	global_load_dwordx4 v[48:51], v[72:73], off offset:608
	global_load_dword v92, v[90:91], off offset:-16
	global_load_dword v104, v[90:91], off
	v_fmac_f64_e32 v[84:85], v[20:21], v[52:53]
	v_fmac_f64_e32 v[74:75], v[22:23], v[52:53]
	;; [unrolled: 1-line block ×4, first 2 shown]
	global_load_dwordx4 v[20:23], v[94:95], off offset:16
	v_fmac_f64_e32 v[84:85], 0x80000000, v[54:55]
	v_fmac_f64_e32 v[74:75], 0x80000000, v[54:55]
	v_fmac_f64_e32 v[88:89], 0x80000000, v[54:55]
	v_fmac_f64_e32 v[86:87], 0x80000000, v[54:55]
	global_load_dwordx4 v[96:99], v[72:73], off offset:592
	global_load_dwordx4 v[100:103], v[72:73], off offset:576
	global_load_dword v67, v[90:91], off offset:16
	v_add_co_u32_e64 v90, s[2:3], 64, v90
	v_addc_co_u32_e64 v91, s[0:1], 0, v91, s[2:3]
	global_load_dwordx4 v[52:55], v[72:73], off offset:1024
	s_waitcnt vmcnt(4)
	v_fmac_f64_e32 v[80:81], 0, v[20:21]
	v_fmac_f64_e32 v[76:77], 0, v[20:21]
	;; [unrolled: 1-line block ×6, first 2 shown]
	global_load_dwordx4 v[4:7], v[94:95], off offset:32
	v_fmac_f64_e32 v[88:89], v[8:9], v[20:21]
	v_fmac_f64_e32 v[78:79], 0, v[20:21]
	;; [unrolled: 1-line block ×10, first 2 shown]
	global_load_dwordx4 v[20:23], v[72:73], off offset:1072
	s_waitcnt vmcnt(1)
	v_fmac_f64_e32 v[88:89], v[40:41], v[4:5]
	v_fmac_f64_e32 v[78:79], 0, v[4:5]
	;; [unrolled: 1-line block ×12, first 2 shown]
	global_load_dwordx4 v[36:39], v[72:73], off offset:1056
	v_fmac_f64_e32 v[88:89], 0x80000000, v[6:7]
	v_fmac_f64_e32 v[86:87], 0x80000000, v[6:7]
	;; [unrolled: 1-line block ×4, first 2 shown]
	global_load_dwordx4 v[6:9], v[94:95], off offset:48
	v_subrev_u32_e32 v4, s20, v92
	v_lshlrev_b32_e32 v4, 2, v4
	v_ashrrev_i32_e32 v5, 31, v4
	v_lshlrev_b64 v[4:5], 4, v[4:5]
	v_add_co_u32_e32 v92, vcc, s4, v4
	v_addc_co_u32_e32 v93, vcc, v65, v5, vcc
	global_load_dwordx4 v[40:43], v[72:73], off offset:1040
	s_waitcnt vmcnt(1)
	v_fmac_f64_e32 v[80:81], 0, v[6:7]
	v_fmac_f64_e32 v[76:77], 0, v[6:7]
	;; [unrolled: 1-line block ×6, first 2 shown]
	global_load_dwordx4 v[12:15], v[92:93], off
	v_fmac_f64_e32 v[78:79], 0, v[6:7]
	v_fmac_f64_e32 v[82:83], 0, v[6:7]
	;; [unrolled: 1-line block ×10, first 2 shown]
	global_load_dwordx4 v[28:31], v[72:73], off offset:1104
	global_load_dwordx4 v[4:7], v[72:73], off offset:1136
	;; [unrolled: 1-line block ×3, first 2 shown]
	s_waitcnt vmcnt(3)
	v_fmac_f64_e32 v[78:79], 0, v[12:13]
	v_fmac_f64_e32 v[82:83], 0, v[12:13]
	;; [unrolled: 1-line block ×6, first 2 shown]
	global_load_dwordx4 v[44:47], v[92:93], off offset:16
	v_fmac_f64_e32 v[84:85], v[32:33], v[12:13]
	v_fmac_f64_e32 v[80:81], 0, v[12:13]
	;; [unrolled: 1-line block ×10, first 2 shown]
	global_load_dwordx4 v[32:35], v[72:73], off offset:1088
	global_load_dwordx4 v[12:15], v[72:73], off offset:1584
	s_waitcnt vmcnt(2)
	v_fmac_f64_e32 v[88:89], v[24:25], v[44:45]
	v_fmac_f64_e32 v[78:79], 0, v[44:45]
	;; [unrolled: 1-line block ×12, first 2 shown]
	global_load_dwordx4 v[16:19], v[72:73], off offset:1568
	v_fmac_f64_e32 v[88:89], 0x80000000, v[46:47]
	v_fmac_f64_e32 v[86:87], 0x80000000, v[46:47]
	;; [unrolled: 1-line block ×4, first 2 shown]
	global_load_dwordx4 v[44:47], v[92:93], off offset:32
	global_load_dwordx4 v[24:27], v[72:73], off offset:1552
	s_waitcnt vmcnt(1)
	v_fmac_f64_e32 v[88:89], v[100:101], v[44:45]
	global_load_dwordx4 v[92:95], v[92:93], off offset:48
	v_fmac_f64_e32 v[78:79], 0, v[44:45]
	v_fmac_f64_e32 v[86:87], v[102:103], v[44:45]
	;; [unrolled: 1-line block ×7, first 2 shown]
	v_subrev_u32_e32 v44, s20, v104
	v_subrev_u32_e32 v45, s20, v67
	v_lshlrev_b32_e32 v44, 2, v44
	v_fmac_f64_e32 v[78:79], v[100:101], v[46:47]
	v_fmac_f64_e32 v[82:83], v[102:103], v[46:47]
	v_fmac_f64_e32 v[80:81], v[96:97], v[46:47]
	v_fmac_f64_e32 v[76:77], v[98:99], v[46:47]
	v_fmac_f64_e32 v[88:89], 0x80000000, v[46:47]
	v_fmac_f64_e32 v[86:87], 0x80000000, v[46:47]
	v_fmac_f64_e32 v[84:85], 0x80000000, v[46:47]
	v_fmac_f64_e32 v[74:75], 0x80000000, v[46:47]
	v_lshlrev_b32_e32 v46, 2, v45
	v_ashrrev_i32_e32 v45, 31, v44
	v_lshlrev_b64 v[44:45], 4, v[44:45]
	v_add_co_u32_e32 v96, vcc, s4, v44
	v_addc_co_u32_e32 v97, vcc, v65, v45, vcc
	v_ashrrev_i32_e32 v47, 31, v46
	v_lshlrev_b64 v[46:47], 4, v[46:47]
	v_add_co_u32_e32 v98, vcc, s4, v46
	v_addc_co_u32_e32 v99, vcc, v65, v47, vcc
	global_load_dwordx4 v[44:47], v[72:73], off offset:1536
	s_waitcnt vmcnt(1)
	v_fmac_f64_e32 v[88:89], v[48:49], v[92:93]
	v_fmac_f64_e32 v[78:79], 0, v[92:93]
	;; [unrolled: 1-line block ×16, first 2 shown]
	global_load_dwordx4 v[92:95], v[96:97], off
	global_load_dwordx4 v[0:3], v[72:73], off offset:1648
	global_load_dwordx4 v[48:51], v[72:73], off offset:1632
	s_waitcnt vmcnt(2)
	v_fmac_f64_e32 v[78:79], 0, v[92:93]
	v_fmac_f64_e32 v[82:83], 0, v[92:93]
	;; [unrolled: 1-line block ×6, first 2 shown]
	global_load_dwordx4 v[52:55], v[96:97], off offset:16
	v_fmac_f64_e32 v[80:81], 0, v[92:93]
	v_fmac_f64_e32 v[76:77], 0, v[92:93]
	;; [unrolled: 1-line block ×10, first 2 shown]
	global_load_dwordx4 v[40:43], v[72:73], off offset:1616
	s_waitcnt vmcnt(1)
	v_fmac_f64_e32 v[80:81], 0, v[52:53]
	v_fmac_f64_e32 v[76:77], 0, v[52:53]
	;; [unrolled: 1-line block ×6, first 2 shown]
	global_load_dwordx4 v[20:23], v[96:97], off offset:32
	v_fmac_f64_e32 v[88:89], v[36:37], v[52:53]
	v_fmac_f64_e32 v[78:79], 0, v[52:53]
	;; [unrolled: 1-line block ×10, first 2 shown]
	global_load_dwordx4 v[52:55], v[96:97], off offset:48
	global_load_dwordx4 v[36:39], v[72:73], off offset:1600
	v_add_co_u32_e32 v72, vcc, s5, v72
	v_addc_co_u32_e32 v73, vcc, 0, v73, vcc
	v_cmp_ge_i64_e32 vcc, v[68:69], v[70:71]
	s_or_b64 s[12:13], vcc, s[12:13]
	s_waitcnt vmcnt(2)
	v_fmac_f64_e32 v[78:79], 0, v[20:21]
	v_fmac_f64_e32 v[82:83], 0, v[20:21]
	;; [unrolled: 1-line block ×6, first 2 shown]
	global_load_dwordx4 v[32:35], v[98:99], off
	v_fmac_f64_e32 v[80:81], 0, v[20:21]
	v_fmac_f64_e32 v[76:77], 0, v[20:21]
	;; [unrolled: 1-line block ×6, first 2 shown]
	global_load_dwordx4 v[28:31], v[98:99], off offset:16
	v_fmac_f64_e32 v[88:89], 0x80000000, v[22:23]
	v_fmac_f64_e32 v[86:87], 0x80000000, v[22:23]
	v_fmac_f64_e32 v[84:85], 0x80000000, v[22:23]
	v_fmac_f64_e32 v[74:75], 0x80000000, v[22:23]
	global_load_dwordx4 v[20:23], v[98:99], off offset:32
	global_load_dwordx4 v[92:95], v[98:99], off offset:48
	s_waitcnt vmcnt(5)
	v_fmac_f64_e32 v[88:89], v[8:9], v[52:53]
	v_fmac_f64_e32 v[78:79], 0, v[52:53]
	v_fmac_f64_e32 v[86:87], v[10:11], v[52:53]
	v_fmac_f64_e32 v[82:83], 0, v[52:53]
	v_fmac_f64_e32 v[84:85], v[4:5], v[52:53]
	v_fmac_f64_e32 v[80:81], 0, v[52:53]
	v_fmac_f64_e32 v[74:75], v[6:7], v[52:53]
	v_fmac_f64_e32 v[76:77], 0, v[52:53]
	v_fmac_f64_e32 v[88:89], 0x80000000, v[54:55]
	v_fmac_f64_e32 v[78:79], v[8:9], v[54:55]
	v_fmac_f64_e32 v[86:87], 0x80000000, v[54:55]
	v_fmac_f64_e32 v[82:83], v[10:11], v[54:55]
	v_fmac_f64_e32 v[84:85], 0x80000000, v[54:55]
	v_fmac_f64_e32 v[80:81], v[4:5], v[54:55]
	v_fmac_f64_e32 v[74:75], 0x80000000, v[54:55]
	v_fmac_f64_e32 v[76:77], v[6:7], v[54:55]
	s_waitcnt vmcnt(3)
	v_fmac_f64_e32 v[88:89], v[44:45], v[32:33]
	v_fmac_f64_e32 v[78:79], 0, v[32:33]
	v_fmac_f64_e32 v[86:87], v[46:47], v[32:33]
	v_fmac_f64_e32 v[82:83], 0, v[32:33]
	v_fmac_f64_e32 v[84:85], v[24:25], v[32:33]
	v_fmac_f64_e32 v[80:81], 0, v[32:33]
	v_fmac_f64_e32 v[74:75], v[26:27], v[32:33]
	v_fmac_f64_e32 v[76:77], 0, v[32:33]
	v_fmac_f64_e32 v[88:89], 0x80000000, v[34:35]
	v_fmac_f64_e32 v[78:79], v[44:45], v[34:35]
	v_fmac_f64_e32 v[86:87], 0x80000000, v[34:35]
	v_fmac_f64_e32 v[82:83], v[46:47], v[34:35]
	v_fmac_f64_e32 v[84:85], 0x80000000, v[34:35]
	v_fmac_f64_e32 v[80:81], v[24:25], v[34:35]
	v_fmac_f64_e32 v[74:75], 0x80000000, v[34:35]
	v_fmac_f64_e32 v[76:77], v[26:27], v[34:35]
	;; [unrolled: 17-line block ×5, first 2 shown]
	s_andn2_b64 exec, exec, s[12:13]
	s_cbranch_execnz .LBB140_35
; %bb.36:
	s_or_b64 exec, exec, s[12:13]
.LBB140_37:
	s_or_b64 exec, exec, s[10:11]
.LBB140_38:
	s_or_b64 exec, exec, s[8:9]
.LBB140_39:
	v_mov_b32_dpp v0, v88 row_shr:1 row_mask:0xf bank_mask:0xf
	v_mov_b32_dpp v1, v89 row_shr:1 row_mask:0xf bank_mask:0xf
	;; [unrolled: 1-line block ×16, first 2 shown]
	v_add_f64 v[0:1], v[88:89], v[0:1]
	v_add_f64 v[4:5], v[78:79], v[4:5]
	v_add_f64 v[8:9], v[86:87], v[8:9]
	v_add_f64 v[12:13], v[82:83], v[12:13]
	v_add_f64 v[16:17], v[84:85], v[16:17]
	v_add_f64 v[20:21], v[80:81], v[20:21]
	v_add_f64 v[24:25], v[74:75], v[24:25]
	v_add_f64 v[28:29], v[76:77], v[28:29]
	v_mov_b32_dpp v2, v0 row_shr:2 row_mask:0xf bank_mask:0xf
	v_mov_b32_dpp v3, v1 row_shr:2 row_mask:0xf bank_mask:0xf
	;; [unrolled: 1-line block ×16, first 2 shown]
	v_cmp_eq_u32_e32 vcc, 3, v66
	s_and_b64 exec, exec, vcc
	s_cbranch_execz .LBB140_12
; %bb.40:
	s_load_dwordx2 s[2:3], s[6:7], 0x60
	v_add_f64 v[32:33], v[0:1], v[2:3]
	v_add_f64 v[0:1], v[4:5], v[6:7]
	;; [unrolled: 1-line block ×8, first 2 shown]
	v_cmp_eq_f64_e32 vcc, 0, v[56:57]
	v_cmp_eq_f64_e64 s[0:1], 0, v[58:59]
	v_mul_f64 v[12:13], v[0:1], -v[62:63]
	v_mul_f64 v[14:15], v[60:61], v[0:1]
	v_mul_f64 v[8:9], v[2:3], -v[62:63]
	v_mul_f64 v[10:11], v[60:61], v[2:3]
	;; [unrolled: 2-line block ×4, first 2 shown]
	s_and_b64 s[0:1], vcc, s[0:1]
	v_fmac_f64_e32 v[12:13], v[60:61], v[32:33]
	v_fmac_f64_e32 v[14:15], v[62:63], v[32:33]
	v_lshlrev_b32_e32 v16, 2, v64
	v_fmac_f64_e32 v[8:9], v[60:61], v[34:35]
	v_fmac_f64_e32 v[10:11], v[62:63], v[34:35]
	;; [unrolled: 1-line block ×6, first 2 shown]
	s_and_saveexec_b64 s[4:5], s[0:1]
	s_xor_b64 s[0:1], exec, s[4:5]
	s_cbranch_execz .LBB140_42
; %bb.41:
	v_ashrrev_i32_e32 v17, 31, v16
	v_lshlrev_b64 v[16:17], 4, v[16:17]
	s_waitcnt lgkmcnt(0)
	v_mov_b32_e32 v18, s3
	v_add_co_u32_e32 v16, vcc, s2, v16
	v_addc_co_u32_e32 v17, vcc, v18, v17, vcc
	global_store_dwordx4 v[16:17], v[12:15], off
	global_store_dwordx4 v[16:17], v[8:11], off offset:16
	global_store_dwordx4 v[16:17], v[4:7], off offset:32
	;; [unrolled: 1-line block ×3, first 2 shown]
                                        ; implicit-def: $vgpr56_vgpr57
                                        ; implicit-def: $vgpr58_vgpr59
                                        ; implicit-def: $vgpr12_vgpr13
                                        ; implicit-def: $vgpr16
                                        ; implicit-def: $vgpr8_vgpr9
                                        ; implicit-def: $vgpr4_vgpr5
                                        ; implicit-def: $vgpr0_vgpr1
.LBB140_42:
	s_andn2_saveexec_b64 s[0:1], s[0:1]
	s_cbranch_execz .LBB140_12
; %bb.43:
	v_ashrrev_i32_e32 v17, 31, v16
	v_lshlrev_b64 v[16:17], 4, v[16:17]
	s_waitcnt lgkmcnt(0)
	v_mov_b32_e32 v18, s3
	v_add_co_u32_e32 v32, vcc, s2, v16
	v_addc_co_u32_e32 v33, vcc, v18, v17, vcc
	global_load_dwordx4 v[16:19], v[32:33], off
	global_load_dwordx4 v[20:23], v[32:33], off offset:16
	global_load_dwordx4 v[24:27], v[32:33], off offset:32
	;; [unrolled: 1-line block ×3, first 2 shown]
	s_waitcnt vmcnt(3)
	v_fmac_f64_e32 v[12:13], v[56:57], v[16:17]
	v_fmac_f64_e32 v[14:15], v[58:59], v[16:17]
	s_waitcnt vmcnt(2)
	v_fmac_f64_e32 v[8:9], v[56:57], v[20:21]
	v_fmac_f64_e32 v[10:11], v[58:59], v[20:21]
	;; [unrolled: 3-line block ×4, first 2 shown]
	v_fma_f64 v[12:13], -v[58:59], v[18:19], v[12:13]
	v_fmac_f64_e32 v[14:15], v[56:57], v[18:19]
	v_fma_f64 v[8:9], -v[58:59], v[22:23], v[8:9]
	v_fmac_f64_e32 v[10:11], v[56:57], v[22:23]
	;; [unrolled: 2-line block ×4, first 2 shown]
	global_store_dwordx4 v[32:33], v[12:15], off
	global_store_dwordx4 v[32:33], v[8:11], off offset:16
	global_store_dwordx4 v[32:33], v[4:7], off offset:32
	;; [unrolled: 1-line block ×3, first 2 shown]
	s_endpgm
	.section	.rodata,"a",@progbits
	.p2align	6, 0x0
	.amdhsa_kernel _ZN9rocsparseL18bsrxmvn_4x4_kernelILj128ELj4E21rocsparse_complex_numIdElidS2_S2_EEvT3_20rocsparse_direction_NS_24const_host_device_scalarIT1_EES3_PKS3_PKT2_SC_S9_PKT4_PKT5_S7_PT6_21rocsparse_index_base_b
		.amdhsa_group_segment_fixed_size 2048
		.amdhsa_private_segment_fixed_size 0
		.amdhsa_kernarg_size 112
		.amdhsa_user_sgpr_count 8
		.amdhsa_user_sgpr_private_segment_buffer 1
		.amdhsa_user_sgpr_dispatch_ptr 1
		.amdhsa_user_sgpr_queue_ptr 0
		.amdhsa_user_sgpr_kernarg_segment_ptr 1
		.amdhsa_user_sgpr_dispatch_id 0
		.amdhsa_user_sgpr_flat_scratch_init 0
		.amdhsa_user_sgpr_kernarg_preload_length 0
		.amdhsa_user_sgpr_kernarg_preload_offset 0
		.amdhsa_user_sgpr_private_segment_size 0
		.amdhsa_uses_dynamic_stack 0
		.amdhsa_system_sgpr_private_segment_wavefront_offset 0
		.amdhsa_system_sgpr_workgroup_id_x 1
		.amdhsa_system_sgpr_workgroup_id_y 0
		.amdhsa_system_sgpr_workgroup_id_z 0
		.amdhsa_system_sgpr_workgroup_info 0
		.amdhsa_system_vgpr_workitem_id 2
		.amdhsa_next_free_vgpr 105
		.amdhsa_next_free_sgpr 22
		.amdhsa_accum_offset 108
		.amdhsa_reserve_vcc 1
		.amdhsa_reserve_flat_scratch 0
		.amdhsa_float_round_mode_32 0
		.amdhsa_float_round_mode_16_64 0
		.amdhsa_float_denorm_mode_32 3
		.amdhsa_float_denorm_mode_16_64 3
		.amdhsa_dx10_clamp 1
		.amdhsa_ieee_mode 1
		.amdhsa_fp16_overflow 0
		.amdhsa_tg_split 0
		.amdhsa_exception_fp_ieee_invalid_op 0
		.amdhsa_exception_fp_denorm_src 0
		.amdhsa_exception_fp_ieee_div_zero 0
		.amdhsa_exception_fp_ieee_overflow 0
		.amdhsa_exception_fp_ieee_underflow 0
		.amdhsa_exception_fp_ieee_inexact 0
		.amdhsa_exception_int_div_zero 0
	.end_amdhsa_kernel
	.section	.text._ZN9rocsparseL18bsrxmvn_4x4_kernelILj128ELj4E21rocsparse_complex_numIdElidS2_S2_EEvT3_20rocsparse_direction_NS_24const_host_device_scalarIT1_EES3_PKS3_PKT2_SC_S9_PKT4_PKT5_S7_PT6_21rocsparse_index_base_b,"axG",@progbits,_ZN9rocsparseL18bsrxmvn_4x4_kernelILj128ELj4E21rocsparse_complex_numIdElidS2_S2_EEvT3_20rocsparse_direction_NS_24const_host_device_scalarIT1_EES3_PKS3_PKT2_SC_S9_PKT4_PKT5_S7_PT6_21rocsparse_index_base_b,comdat
.Lfunc_end140:
	.size	_ZN9rocsparseL18bsrxmvn_4x4_kernelILj128ELj4E21rocsparse_complex_numIdElidS2_S2_EEvT3_20rocsparse_direction_NS_24const_host_device_scalarIT1_EES3_PKS3_PKT2_SC_S9_PKT4_PKT5_S7_PT6_21rocsparse_index_base_b, .Lfunc_end140-_ZN9rocsparseL18bsrxmvn_4x4_kernelILj128ELj4E21rocsparse_complex_numIdElidS2_S2_EEvT3_20rocsparse_direction_NS_24const_host_device_scalarIT1_EES3_PKS3_PKT2_SC_S9_PKT4_PKT5_S7_PT6_21rocsparse_index_base_b
                                        ; -- End function
	.section	.AMDGPU.csdata,"",@progbits
; Kernel info:
; codeLenInByte = 7256
; NumSgprs: 26
; NumVgprs: 105
; NumAgprs: 0
; TotalNumVgprs: 105
; ScratchSize: 0
; MemoryBound: 0
; FloatMode: 240
; IeeeMode: 1
; LDSByteSize: 2048 bytes/workgroup (compile time only)
; SGPRBlocks: 3
; VGPRBlocks: 13
; NumSGPRsForWavesPerEU: 26
; NumVGPRsForWavesPerEU: 105
; AccumOffset: 108
; Occupancy: 4
; WaveLimiterHint : 1
; COMPUTE_PGM_RSRC2:SCRATCH_EN: 0
; COMPUTE_PGM_RSRC2:USER_SGPR: 8
; COMPUTE_PGM_RSRC2:TRAP_HANDLER: 0
; COMPUTE_PGM_RSRC2:TGID_X_EN: 1
; COMPUTE_PGM_RSRC2:TGID_Y_EN: 0
; COMPUTE_PGM_RSRC2:TGID_Z_EN: 0
; COMPUTE_PGM_RSRC2:TIDIG_COMP_CNT: 2
; COMPUTE_PGM_RSRC3_GFX90A:ACCUM_OFFSET: 26
; COMPUTE_PGM_RSRC3_GFX90A:TG_SPLIT: 0
	.section	.text._ZN9rocsparseL18bsrxmvn_4x4_kernelILj128ELj8E21rocsparse_complex_numIdElidS2_S2_EEvT3_20rocsparse_direction_NS_24const_host_device_scalarIT1_EES3_PKS3_PKT2_SC_S9_PKT4_PKT5_S7_PT6_21rocsparse_index_base_b,"axG",@progbits,_ZN9rocsparseL18bsrxmvn_4x4_kernelILj128ELj8E21rocsparse_complex_numIdElidS2_S2_EEvT3_20rocsparse_direction_NS_24const_host_device_scalarIT1_EES3_PKS3_PKT2_SC_S9_PKT4_PKT5_S7_PT6_21rocsparse_index_base_b,comdat
	.globl	_ZN9rocsparseL18bsrxmvn_4x4_kernelILj128ELj8E21rocsparse_complex_numIdElidS2_S2_EEvT3_20rocsparse_direction_NS_24const_host_device_scalarIT1_EES3_PKS3_PKT2_SC_S9_PKT4_PKT5_S7_PT6_21rocsparse_index_base_b ; -- Begin function _ZN9rocsparseL18bsrxmvn_4x4_kernelILj128ELj8E21rocsparse_complex_numIdElidS2_S2_EEvT3_20rocsparse_direction_NS_24const_host_device_scalarIT1_EES3_PKS3_PKT2_SC_S9_PKT4_PKT5_S7_PT6_21rocsparse_index_base_b
	.p2align	8
	.type	_ZN9rocsparseL18bsrxmvn_4x4_kernelILj128ELj8E21rocsparse_complex_numIdElidS2_S2_EEvT3_20rocsparse_direction_NS_24const_host_device_scalarIT1_EES3_PKS3_PKT2_SC_S9_PKT4_PKT5_S7_PT6_21rocsparse_index_base_b,@function
_ZN9rocsparseL18bsrxmvn_4x4_kernelILj128ELj8E21rocsparse_complex_numIdElidS2_S2_EEvT3_20rocsparse_direction_NS_24const_host_device_scalarIT1_EES3_PKS3_PKT2_SC_S9_PKT4_PKT5_S7_PT6_21rocsparse_index_base_b: ; @_ZN9rocsparseL18bsrxmvn_4x4_kernelILj128ELj8E21rocsparse_complex_numIdElidS2_S2_EEvT3_20rocsparse_direction_NS_24const_host_device_scalarIT1_EES3_PKS3_PKT2_SC_S9_PKT4_PKT5_S7_PT6_21rocsparse_index_base_b
; %bb.0:
	s_load_dwordx2 s[20:21], s[6:7], 0x68
	s_load_dwordx4 s[12:15], s[6:7], 0x8
	s_load_dwordx2 s[10:11], s[4:5], 0x4
	s_load_dwordx4 s[16:19], s[6:7], 0x50
	s_mov_b64 s[2:3], src_shared_base
	v_bfe_u32 v2, v0, 10, 10
	s_waitcnt lgkmcnt(0)
	s_bitcmp1_b32 s21, 0
	s_cselect_b64 s[0:1], -1, 0
	s_and_b64 vcc, s[0:1], exec
	s_cselect_b32 s2, s3, s13
	s_lshr_b32 s4, s10, 16
	v_and_b32_e32 v1, 0x3ff, v0
	s_mul_i32 s4, s4, s11
	v_mul_u32_u24_e32 v2, s11, v2
	v_mad_u32_u24 v2, s4, v1, v2
	v_bfe_u32 v0, v0, 20, 10
	v_add_lshl_u32 v0, v2, v0, 3
	v_mov_b32_e32 v6, s12
	v_add_u32_e32 v7, 0x400, v0
	v_pk_mov_b32 v[2:3], s[12:13], s[12:13] op_sel:[0,1]
	v_pk_mov_b32 v[4:5], s[16:17], s[16:17] op_sel:[0,1]
	ds_write2st64_b64 v0, v[4:5], v[2:3] offset1:2
	v_cndmask_b32_e64 v2, v6, v7, s[0:1]
	v_mov_b32_e32 v3, s2
	flat_load_dwordx2 v[60:61], v[2:3]
	s_xor_b64 s[4:5], s[0:1], -1
	v_pk_mov_b32 v[62:63], s[14:15], s[14:15] op_sel:[0,1]
	s_cbranch_vccnz .LBB141_2
; %bb.1:
	v_pk_mov_b32 v[2:3], s[12:13], s[12:13] op_sel:[0,1]
	flat_load_dwordx2 v[62:63], v[2:3] offset:8
.LBB141_2:
	s_and_b64 s[10:11], s[0:1], exec
	s_cselect_b32 s2, s3, s17
	v_mov_b32_e32 v2, s16
	v_cndmask_b32_e64 v2, v2, v0, s[0:1]
	v_mov_b32_e32 v3, s2
	flat_load_dwordx2 v[56:57], v[2:3]
	s_andn2_b64 vcc, exec, s[4:5]
	v_pk_mov_b32 v[58:59], s[18:19], s[18:19] op_sel:[0,1]
	s_cbranch_vccnz .LBB141_4
; %bb.3:
	v_pk_mov_b32 v[2:3], s[16:17], s[16:17] op_sel:[0,1]
	flat_load_dwordx2 v[58:59], v[2:3] offset:8
.LBB141_4:
	s_waitcnt vmcnt(0) lgkmcnt(0)
	v_cmp_eq_f64_e32 vcc, 0, v[60:61]
	v_cmp_eq_f64_e64 s[0:1], 0, v[62:63]
	s_and_b64 s[4:5], vcc, s[0:1]
	s_mov_b64 s[0:1], -1
	s_and_saveexec_b64 s[2:3], s[4:5]
; %bb.5:
	v_cmp_neq_f64_e32 vcc, 1.0, v[56:57]
	v_cmp_neq_f64_e64 s[0:1], 0, v[58:59]
	s_or_b64 s[0:1], vcc, s[0:1]
	s_orn2_b64 s[0:1], s[0:1], exec
; %bb.6:
	s_or_b64 exec, exec, s[2:3]
	s_and_saveexec_b64 s[2:3], s[0:1]
	s_cbranch_execz .LBB141_12
; %bb.7:
	s_load_dwordx2 s[4:5], s[6:7], 0x20
	s_load_dwordx2 s[0:1], s[6:7], 0x0
	v_lshrrev_b32_e32 v0, 3, v1
	v_lshl_or_b32 v64, s8, 4, v0
	s_mov_b64 s[2:3], 0
	s_waitcnt lgkmcnt(0)
	s_cmp_lg_u64 s[4:5], 0
	s_cbranch_scc0 .LBB141_13
; %bb.8:
	s_load_dword s8, s[6:7], 0x18
                                        ; implicit-def: $vgpr0
	s_waitcnt lgkmcnt(0)
	v_cmp_gt_i32_e32 vcc, s8, v64
	s_and_saveexec_b64 s[8:9], vcc
	s_xor_b64 s[8:9], exec, s[8:9]
	s_cbranch_execz .LBB141_10
; %bb.9:
	v_ashrrev_i32_e32 v65, 31, v64
	v_lshlrev_b64 v[2:3], 2, v[64:65]
	v_mov_b32_e32 v0, s5
	v_add_co_u32_e32 v2, vcc, s4, v2
	v_addc_co_u32_e32 v3, vcc, v0, v3, vcc
	global_load_dword v0, v[2:3], off
	s_mov_b64 s[2:3], exec
	s_waitcnt vmcnt(0)
	v_subrev_u32_e32 v0, s20, v0
.LBB141_10:
	s_or_b64 exec, exec, s[8:9]
	s_branch .LBB141_14
.LBB141_11:
	v_cmp_gt_i32_e32 vcc, s0, v64
	s_andn2_b64 s[2:3], s[2:3], exec
	s_and_b64 s[4:5], vcc, exec
	s_or_b64 s[2:3], s[2:3], s[4:5]
	s_and_b64 exec, exec, s[2:3]
	s_cbranch_execnz .LBB141_15
.LBB141_12:
	s_endpgm
.LBB141_13:
                                        ; implicit-def: $vgpr0
	s_cbranch_execnz .LBB141_11
.LBB141_14:
	v_mov_b32_e32 v64, v0
	s_and_b64 exec, exec, s[2:3]
	s_cbranch_execz .LBB141_12
.LBB141_15:
	s_load_dwordx8 s[8:15], s[6:7], 0x28
	v_ashrrev_i32_e32 v65, 31, v64
	v_lshlrev_b64 v[2:3], 3, v[64:65]
	v_and_b32_e32 v66, 7, v1
	s_load_dwordx2 s[4:5], s[6:7], 0x48
	s_waitcnt lgkmcnt(0)
	v_mov_b32_e32 v0, s9
	v_add_co_u32_e32 v4, vcc, s8, v2
	v_addc_co_u32_e32 v5, vcc, v0, v3, vcc
	v_add_co_u32_e32 v0, vcc, 8, v4
	global_load_dwordx2 v[16:17], v[4:5], off
	v_addc_co_u32_e32 v4, vcc, 0, v5, vcc
	v_mov_b32_e32 v5, s11
	v_add_co_u32_e32 v2, vcc, s10, v2
	s_cmp_eq_u64 s[10:11], 0
	v_addc_co_u32_e32 v3, vcc, v5, v3, vcc
	s_cselect_b64 vcc, -1, 0
	v_cndmask_b32_e32 v3, v3, v4, vcc
	v_cndmask_b32_e32 v2, v2, v0, vcc
	global_load_dwordx2 v[2:3], v[2:3], off
	v_mov_b32_e32 v4, s15
	s_mov_b32 s18, 0
	s_cmp_eq_u32 s1, 1
	s_waitcnt vmcnt(1)
	v_subrev_co_u32_e32 v0, vcc, s20, v16
	v_subbrev_co_u32_e32 v1, vcc, 0, v17, vcc
	v_add_co_u32_e32 v68, vcc, v0, v66
	v_addc_co_u32_e32 v69, vcc, 0, v1, vcc
	v_lshlrev_b64 v[0:1], 7, v[68:69]
	s_waitcnt vmcnt(0)
	v_subrev_co_u32_e32 v70, vcc, s20, v2
	v_subbrev_co_u32_e32 v71, vcc, 0, v3, vcc
	v_add_co_u32_e32 v72, vcc, s14, v0
	v_addc_co_u32_e32 v73, vcc, v4, v1, vcc
	v_cmp_lt_i64_e64 s[0:1], v[68:69], v[70:71]
	s_cbranch_scc1 .LBB141_27
; %bb.16:
	v_pk_mov_b32 v[82:83], 0, 0
	s_mov_b64 s[8:9], 0
	v_pk_mov_b32 v[88:89], v[82:83], v[82:83] op_sel:[0,1]
	v_pk_mov_b32 v[84:85], v[82:83], v[82:83] op_sel:[0,1]
	;; [unrolled: 1-line block ×7, first 2 shown]
	s_and_saveexec_b64 s[10:11], s[0:1]
	s_cbranch_execz .LBB141_26
; %bb.17:
	v_or_b32_e32 v0, 8, v66
	v_mov_b32_e32 v1, s18
	v_subrev_co_u32_e32 v0, vcc, s20, v0
	v_subb_co_u32_e32 v1, vcc, 0, v1, vcc
	v_add_co_u32_e32 v0, vcc, v0, v16
	v_addc_co_u32_e32 v1, vcc, v1, v17, vcc
	v_cmp_gt_i64_e32 vcc, v[0:1], v[70:71]
	v_cndmask_b32_e32 v1, v71, v1, vcc
	v_cndmask_b32_e32 v0, v70, v0, vcc
	v_mov_b32_e32 v4, s18
	v_sub_co_u32_e32 v5, vcc, s20, v66
	v_not_b32_e32 v3, v16
	v_subbrev_co_u32_e32 v4, vcc, 0, v4, vcc
	v_not_b32_e32 v2, v17
	v_add_co_u32_e32 v3, vcc, v5, v3
	v_addc_co_u32_e32 v2, vcc, v4, v2, vcc
	v_add_co_u32_e32 v22, vcc, v3, v0
	v_lshrrev_b32_e32 v0, 3, v22
	v_add_u32_e32 v0, 1, v0
	v_addc_co_u32_e32 v23, vcc, v2, v1, vcc
	v_and_b32_e32 v0, 3, v0
	v_pk_mov_b32 v[74:75], 0, 0
	v_cmp_ne_u32_e32 vcc, 0, v0
	s_mov_b64 s[16:17], 0
	v_pk_mov_b32 v[76:77], v[74:75], v[74:75] op_sel:[0,1]
	v_pk_mov_b32 v[80:81], v[74:75], v[74:75] op_sel:[0,1]
	;; [unrolled: 1-line block ×9, first 2 shown]
	s_and_saveexec_b64 s[14:15], vcc
	s_cbranch_execz .LBB141_21
; %bb.18:
	v_lshlrev_b64 v[2:3], 2, v[68:69]
	v_mov_b32_e32 v1, s13
	v_add_co_u32_e32 v26, vcc, s12, v2
	v_pk_mov_b32 v[82:83], 0, 0
	v_mov_b32_e32 v25, 0
	v_addc_co_u32_e32 v27, vcc, v1, v3, vcc
	v_lshlrev_b32_e32 v24, 2, v0
	s_movk_i32 s19, 0x400
	v_mov_b32_e32 v28, s5
	v_pk_mov_b32 v[20:21], v[68:69], v[68:69] op_sel:[0,1]
	v_pk_mov_b32 v[18:19], v[72:73], v[72:73] op_sel:[0,1]
	;; [unrolled: 1-line block ×9, first 2 shown]
.LBB141_19:                             ; =>This Inner Loop Header: Depth=1
	global_load_dword v29, v[26:27], off
	global_load_dwordx4 v[0:3], v[18:19], off offset:48
	global_load_dwordx4 v[8:11], v[18:19], off offset:32
	;; [unrolled: 1-line block ×3, first 2 shown]
	global_load_dwordx4 v[12:15], v[18:19], off
	global_load_dwordx4 v[30:33], v[18:19], off offset:112
	global_load_dwordx4 v[34:37], v[18:19], off offset:96
	;; [unrolled: 1-line block ×4, first 2 shown]
	v_add_co_u32_e32 v18, vcc, s19, v18
	v_addc_co_u32_e32 v19, vcc, 0, v19, vcc
	s_waitcnt vmcnt(8)
	v_subrev_u32_e32 v29, s20, v29
	v_lshlrev_b32_e32 v46, 2, v29
	v_ashrrev_i32_e32 v47, 31, v46
	v_lshlrev_b64 v[46:47], 4, v[46:47]
	v_add_co_u32_e64 v54, s[2:3], s4, v46
	v_addc_co_u32_e64 v55, s[2:3], v28, v47, s[2:3]
	global_load_dwordx4 v[46:49], v[54:55], off
	global_load_dwordx4 v[50:53], v[54:55], off offset:16
	global_load_dwordx4 v[90:93], v[54:55], off offset:32
	;; [unrolled: 1-line block ×3, first 2 shown]
	v_add_co_u32_e64 v20, s[2:3], 8, v20
	v_addc_co_u32_e64 v21, s[2:3], 0, v21, s[2:3]
	v_add_co_u32_e64 v26, s[2:3], 32, v26
	v_addc_co_u32_e64 v27, s[2:3], 0, v27, s[2:3]
	v_add_co_u32_e64 v24, s[2:3], -4, v24
	v_addc_co_u32_e64 v25, s[2:3], -1, v25, s[2:3]
	v_cmp_eq_u64_e32 vcc, 0, v[24:25]
	s_or_b64 s[16:17], vcc, s[16:17]
	s_waitcnt vmcnt(3)
	v_fmac_f64_e32 v[88:89], v[12:13], v[46:47]
	v_fmac_f64_e32 v[82:83], 0, v[46:47]
	v_fmac_f64_e32 v[86:87], v[8:9], v[46:47]
	v_fmac_f64_e32 v[84:85], 0, v[46:47]
	v_fmac_f64_e32 v[80:81], v[38:39], v[46:47]
	v_fmac_f64_e32 v[78:79], 0, v[46:47]
	v_fmac_f64_e32 v[74:75], v[34:35], v[46:47]
	v_fmac_f64_e32 v[76:77], 0, v[46:47]
	v_fmac_f64_e32 v[88:89], 0x80000000, v[48:49]
	v_fmac_f64_e32 v[82:83], v[12:13], v[48:49]
	v_fmac_f64_e32 v[86:87], 0x80000000, v[48:49]
	v_fmac_f64_e32 v[84:85], v[8:9], v[48:49]
	v_fmac_f64_e32 v[80:81], 0x80000000, v[48:49]
	v_fmac_f64_e32 v[78:79], v[38:39], v[48:49]
	v_fmac_f64_e32 v[74:75], 0x80000000, v[48:49]
	v_fmac_f64_e32 v[76:77], v[34:35], v[48:49]
	s_waitcnt vmcnt(2)
	v_fmac_f64_e32 v[88:89], v[14:15], v[50:51]
	v_fmac_f64_e32 v[82:83], 0, v[50:51]
	v_fmac_f64_e32 v[86:87], v[10:11], v[50:51]
	v_fmac_f64_e32 v[84:85], 0, v[50:51]
	v_fmac_f64_e32 v[80:81], v[40:41], v[50:51]
	v_fmac_f64_e32 v[78:79], 0, v[50:51]
	v_fmac_f64_e32 v[74:75], v[36:37], v[50:51]
	v_fmac_f64_e32 v[76:77], 0, v[50:51]
	v_fmac_f64_e32 v[82:83], v[14:15], v[52:53]
	v_fmac_f64_e32 v[84:85], v[10:11], v[52:53]
	v_fmac_f64_e32 v[78:79], v[40:41], v[52:53]
	v_fmac_f64_e32 v[88:89], 0x80000000, v[52:53]
	v_fmac_f64_e32 v[86:87], 0x80000000, v[52:53]
	v_fmac_f64_e32 v[80:81], 0x80000000, v[52:53]
	v_fmac_f64_e32 v[74:75], 0x80000000, v[52:53]
	v_fmac_f64_e32 v[76:77], v[36:37], v[52:53]
	;; [unrolled: 17-line block ×4, first 2 shown]
	s_andn2_b64 exec, exec, s[16:17]
	s_cbranch_execnz .LBB141_19
; %bb.20:
	s_or_b64 exec, exec, s[16:17]
.LBB141_21:
	s_or_b64 exec, exec, s[14:15]
	v_cmp_lt_u64_e32 vcc, 23, v[22:23]
	s_and_saveexec_b64 s[2:3], vcc
	s_cbranch_execz .LBB141_25
; %bb.22:
	v_lshlrev_b64 v[0:1], 2, v[20:21]
	v_mov_b32_e32 v2, s13
	v_add_co_u32_e32 v0, vcc, s12, v0
	v_addc_co_u32_e32 v1, vcc, v1, v2, vcc
	v_add_co_u32_e32 v22, vcc, 64, v0
	v_addc_co_u32_e32 v23, vcc, 0, v1, vcc
	s_mov_b64 s[14:15], 0
	v_mov_b32_e32 v24, s5
	s_movk_i32 s16, 0x1000
.LBB141_23:                             ; =>This Inner Loop Header: Depth=1
	global_load_dword v0, v[22:23], off offset:-64
	s_waitcnt vmcnt(0)
	v_subrev_u32_e32 v0, s20, v0
	v_lshlrev_b32_e32 v26, 2, v0
	v_ashrrev_i32_e32 v27, 31, v26
	v_lshlrev_b64 v[26:27], 4, v[26:27]
	v_add_co_u32_e32 v42, vcc, s4, v26
	v_addc_co_u32_e32 v43, vcc, v24, v27, vcc
	global_load_dwordx4 v[0:3], v[18:19], off offset:48
	global_load_dwordx4 v[4:7], v[18:19], off offset:32
	;; [unrolled: 1-line block ×3, first 2 shown]
	global_load_dwordx4 v[12:15], v[18:19], off
	global_load_dwordx4 v[26:29], v[42:43], off offset:48
	global_load_dwordx4 v[30:33], v[42:43], off offset:32
	;; [unrolled: 1-line block ×3, first 2 shown]
	global_load_dwordx4 v[38:41], v[42:43], off
	s_waitcnt vmcnt(0)
	v_fmac_f64_e32 v[82:83], 0, v[38:39]
	v_fmac_f64_e32 v[84:85], 0, v[38:39]
	;; [unrolled: 1-line block ×30, first 2 shown]
	global_load_dwordx4 v[0:3], v[18:19], off offset:112
	global_load_dwordx4 v[4:7], v[18:19], off offset:96
	;; [unrolled: 1-line block ×4, first 2 shown]
	v_fmac_f64_e32 v[76:77], 0, v[38:39]
	v_fmac_f64_e32 v[78:79], 0, v[38:39]
	;; [unrolled: 1-line block ×4, first 2 shown]
	s_waitcnt vmcnt(2)
	v_fmac_f64_e32 v[74:75], v[4:5], v[38:39]
	v_fmac_f64_e32 v[76:77], v[4:5], v[40:41]
	;; [unrolled: 1-line block ×10, first 2 shown]
	global_load_dword v0, v[22:23], off offset:-32
	s_waitcnt vmcnt(1)
	v_fmac_f64_e32 v[80:81], v[12:13], v[38:39]
	v_fmac_f64_e32 v[80:81], 0x80000000, v[40:41]
	;; [unrolled: 1-line block ×20, first 2 shown]
	s_waitcnt vmcnt(0)
	v_subrev_u32_e32 v0, s20, v0
	v_lshlrev_b32_e32 v26, 2, v0
	v_ashrrev_i32_e32 v27, 31, v26
	v_lshlrev_b64 v[26:27], 4, v[26:27]
	v_add_co_u32_e32 v42, vcc, s4, v26
	v_addc_co_u32_e32 v43, vcc, v24, v27, vcc
	global_load_dwordx4 v[0:3], v[18:19], off offset:1072
	global_load_dwordx4 v[4:7], v[18:19], off offset:1056
	;; [unrolled: 1-line block ×7, first 2 shown]
	global_load_dwordx4 v[38:41], v[42:43], off
	s_waitcnt vmcnt(0)
	v_fmac_f64_e32 v[82:83], 0, v[38:39]
	v_fmac_f64_e32 v[84:85], 0, v[38:39]
	;; [unrolled: 1-line block ×30, first 2 shown]
	global_load_dwordx4 v[0:3], v[18:19], off offset:1136
	global_load_dwordx4 v[4:7], v[18:19], off offset:1120
	;; [unrolled: 1-line block ×4, first 2 shown]
	v_fmac_f64_e32 v[76:77], 0, v[38:39]
	v_fmac_f64_e32 v[78:79], 0, v[38:39]
	;; [unrolled: 1-line block ×4, first 2 shown]
	s_waitcnt vmcnt(2)
	v_fmac_f64_e32 v[74:75], v[4:5], v[38:39]
	v_fmac_f64_e32 v[76:77], v[4:5], v[40:41]
	;; [unrolled: 1-line block ×10, first 2 shown]
	global_load_dword v0, v[22:23], off
	s_waitcnt vmcnt(1)
	v_fmac_f64_e32 v[80:81], v[12:13], v[38:39]
	v_fmac_f64_e32 v[80:81], 0x80000000, v[40:41]
	;; [unrolled: 1-line block ×20, first 2 shown]
	s_waitcnt vmcnt(0)
	v_subrev_u32_e32 v0, s20, v0
	v_lshlrev_b32_e32 v26, 2, v0
	v_ashrrev_i32_e32 v27, 31, v26
	v_lshlrev_b64 v[26:27], 4, v[26:27]
	v_add_co_u32_e32 v42, vcc, s4, v26
	v_addc_co_u32_e32 v43, vcc, v24, v27, vcc
	global_load_dwordx4 v[0:3], v[18:19], off offset:2096
	global_load_dwordx4 v[4:7], v[18:19], off offset:2080
	;; [unrolled: 1-line block ×7, first 2 shown]
	global_load_dwordx4 v[38:41], v[42:43], off
	s_waitcnt vmcnt(0)
	v_fmac_f64_e32 v[82:83], 0, v[38:39]
	v_fmac_f64_e32 v[84:85], 0, v[38:39]
	;; [unrolled: 1-line block ×30, first 2 shown]
	global_load_dwordx4 v[0:3], v[18:19], off offset:2160
	global_load_dwordx4 v[4:7], v[18:19], off offset:2144
	;; [unrolled: 1-line block ×4, first 2 shown]
	v_fmac_f64_e32 v[76:77], 0, v[38:39]
	v_fmac_f64_e32 v[78:79], 0, v[38:39]
	;; [unrolled: 1-line block ×4, first 2 shown]
	s_waitcnt vmcnt(2)
	v_fmac_f64_e32 v[74:75], v[4:5], v[38:39]
	v_fmac_f64_e32 v[76:77], v[4:5], v[40:41]
	;; [unrolled: 1-line block ×10, first 2 shown]
	global_load_dword v0, v[22:23], off offset:32
	s_waitcnt vmcnt(1)
	v_fmac_f64_e32 v[80:81], v[12:13], v[38:39]
	v_fmac_f64_e32 v[80:81], 0x80000000, v[40:41]
	;; [unrolled: 1-line block ×20, first 2 shown]
	global_load_dwordx4 v[26:29], v[18:19], off offset:3120
	global_load_dwordx4 v[30:33], v[18:19], off offset:3104
	;; [unrolled: 1-line block ×4, first 2 shown]
	s_waitcnt vmcnt(4)
	v_subrev_u32_e32 v0, s20, v0
	v_lshlrev_b32_e32 v0, 2, v0
	v_ashrrev_i32_e32 v1, 31, v0
	v_lshlrev_b64 v[0:1], 4, v[0:1]
	v_add_co_u32_e32 v42, vcc, s4, v0
	v_addc_co_u32_e32 v43, vcc, v24, v1, vcc
	global_load_dwordx4 v[0:3], v[42:43], off offset:48
	global_load_dwordx4 v[4:7], v[42:43], off offset:32
	;; [unrolled: 1-line block ×3, first 2 shown]
	global_load_dwordx4 v[12:15], v[42:43], off
	s_waitcnt vmcnt(0)
	v_fmac_f64_e32 v[82:83], 0, v[12:13]
	v_fmac_f64_e32 v[84:85], 0, v[12:13]
	;; [unrolled: 1-line block ×30, first 2 shown]
	global_load_dwordx4 v[26:29], v[18:19], off offset:3184
	global_load_dwordx4 v[30:33], v[18:19], off offset:3168
	;; [unrolled: 1-line block ×4, first 2 shown]
	v_fmac_f64_e32 v[78:79], 0, v[12:13]
	v_fmac_f64_e32 v[76:77], 0, v[12:13]
	v_add_co_u32_e32 v18, vcc, s16, v18
	v_addc_co_u32_e32 v19, vcc, 0, v19, vcc
	v_add_co_u32_e32 v20, vcc, 32, v20
	v_addc_co_u32_e32 v21, vcc, 0, v21, vcc
	;; [unrolled: 2-line block ×3, first 2 shown]
	v_cmp_ge_i64_e32 vcc, v[20:21], v[70:71]
	v_fmac_f64_e32 v[88:89], 0x80000000, v[2:3]
	v_fmac_f64_e32 v[86:87], 0x80000000, v[2:3]
	s_or_b64 s[14:15], vcc, s[14:15]
	s_waitcnt vmcnt(2)
	v_fmac_f64_e32 v[74:75], v[30:31], v[12:13]
	v_fmac_f64_e32 v[74:75], 0x80000000, v[14:15]
	s_waitcnt vmcnt(0)
	v_fmac_f64_e32 v[80:81], v[38:39], v[12:13]
	v_fmac_f64_e32 v[80:81], 0x80000000, v[14:15]
	;; [unrolled: 1-line block ×28, first 2 shown]
	s_andn2_b64 exec, exec, s[14:15]
	s_cbranch_execnz .LBB141_23
; %bb.24:
	s_or_b64 exec, exec, s[14:15]
.LBB141_25:
	s_or_b64 exec, exec, s[2:3]
.LBB141_26:
	s_or_b64 exec, exec, s[10:11]
	s_andn2_b64 vcc, exec, s[8:9]
	s_cbranch_vccz .LBB141_28
	s_branch .LBB141_39
.LBB141_27:
                                        ; implicit-def: $vgpr82_vgpr83
                                        ; implicit-def: $vgpr88_vgpr89
                                        ; implicit-def: $vgpr84_vgpr85
                                        ; implicit-def: $vgpr86_vgpr87
                                        ; implicit-def: $vgpr78_vgpr79
                                        ; implicit-def: $vgpr80_vgpr81
                                        ; implicit-def: $vgpr76_vgpr77
                                        ; implicit-def: $vgpr74_vgpr75
.LBB141_28:
	v_pk_mov_b32 v[82:83], 0, 0
	v_pk_mov_b32 v[88:89], v[82:83], v[82:83] op_sel:[0,1]
	v_pk_mov_b32 v[84:85], v[82:83], v[82:83] op_sel:[0,1]
	;; [unrolled: 1-line block ×7, first 2 shown]
	s_and_saveexec_b64 s[2:3], s[0:1]
	s_cbranch_execz .LBB141_38
; %bb.29:
	v_or_b32_e32 v0, 8, v66
	v_mov_b32_e32 v1, s18
	v_subrev_co_u32_e32 v0, vcc, s20, v0
	v_subb_co_u32_e32 v1, vcc, 0, v1, vcc
	v_add_co_u32_e32 v0, vcc, v0, v16
	v_addc_co_u32_e32 v1, vcc, v1, v17, vcc
	v_cmp_gt_i64_e32 vcc, v[0:1], v[70:71]
	v_cndmask_b32_e32 v1, v71, v1, vcc
	v_cndmask_b32_e32 v0, v70, v0, vcc
	v_mov_b32_e32 v4, s18
	v_sub_co_u32_e32 v5, vcc, s20, v66
	v_not_b32_e32 v3, v16
	v_subbrev_co_u32_e32 v4, vcc, 0, v4, vcc
	v_not_b32_e32 v2, v17
	v_add_co_u32_e32 v3, vcc, v5, v3
	v_addc_co_u32_e32 v2, vcc, v4, v2, vcc
	v_add_co_u32_e32 v16, vcc, v3, v0
	v_lshrrev_b32_e32 v0, 3, v16
	v_add_u32_e32 v0, 1, v0
	v_addc_co_u32_e32 v17, vcc, v2, v1, vcc
	v_and_b32_e32 v0, 3, v0
	v_pk_mov_b32 v[74:75], 0, 0
	v_cmp_ne_u32_e32 vcc, 0, v0
	s_mov_b64 s[10:11], 0
	v_pk_mov_b32 v[76:77], v[74:75], v[74:75] op_sel:[0,1]
	v_pk_mov_b32 v[80:81], v[74:75], v[74:75] op_sel:[0,1]
	;; [unrolled: 1-line block ×7, first 2 shown]
	s_and_saveexec_b64 s[8:9], vcc
	s_cbranch_execz .LBB141_33
; %bb.30:
	v_lshlrev_b64 v[2:3], 2, v[68:69]
	v_mov_b32_e32 v1, s13
	v_add_co_u32_e32 v20, vcc, s12, v2
	v_pk_mov_b32 v[82:83], 0, 0
	v_mov_b32_e32 v19, 0
	v_addc_co_u32_e32 v21, vcc, v1, v3, vcc
	v_lshlrev_b32_e32 v18, 2, v0
	s_movk_i32 s14, 0x400
	v_mov_b32_e32 v22, s5
	v_pk_mov_b32 v[88:89], v[82:83], v[82:83] op_sel:[0,1]
	v_pk_mov_b32 v[84:85], v[82:83], v[82:83] op_sel:[0,1]
	;; [unrolled: 1-line block ×7, first 2 shown]
.LBB141_31:                             ; =>This Inner Loop Header: Depth=1
	global_load_dword v23, v[20:21], off
	global_load_dwordx4 v[0:3], v[72:73], off offset:48
	global_load_dwordx4 v[4:7], v[72:73], off offset:32
	;; [unrolled: 1-line block ×3, first 2 shown]
	global_load_dwordx4 v[12:15], v[72:73], off
	global_load_dwordx4 v[24:27], v[72:73], off offset:112
	global_load_dwordx4 v[28:31], v[72:73], off offset:96
	;; [unrolled: 1-line block ×4, first 2 shown]
	v_add_co_u32_e64 v68, s[0:1], 8, v68
	v_addc_co_u32_e64 v69, s[0:1], 0, v69, s[0:1]
	v_add_co_u32_e64 v20, s[0:1], 32, v20
	v_addc_co_u32_e64 v21, s[0:1], 0, v21, s[0:1]
	v_add_co_u32_e64 v18, s[0:1], -4, v18
	v_addc_co_u32_e64 v19, s[0:1], -1, v19, s[0:1]
	s_waitcnt vmcnt(8)
	v_subrev_u32_e32 v23, s20, v23
	v_lshlrev_b32_e32 v40, 2, v23
	v_ashrrev_i32_e32 v41, 31, v40
	v_lshlrev_b64 v[40:41], 4, v[40:41]
	v_add_co_u32_e32 v90, vcc, s4, v40
	v_addc_co_u32_e32 v91, vcc, v22, v41, vcc
	global_load_dwordx4 v[40:43], v[90:91], off
	global_load_dwordx4 v[44:47], v[90:91], off offset:16
	global_load_dwordx4 v[48:51], v[90:91], off offset:32
	;; [unrolled: 1-line block ×3, first 2 shown]
	v_add_co_u32_e32 v72, vcc, s14, v72
	v_addc_co_u32_e32 v73, vcc, 0, v73, vcc
	v_cmp_eq_u64_e32 vcc, 0, v[18:19]
	s_or_b64 s[10:11], vcc, s[10:11]
	s_waitcnt vmcnt(3)
	v_fmac_f64_e32 v[88:89], v[12:13], v[40:41]
	v_fmac_f64_e32 v[82:83], 0, v[40:41]
	v_fmac_f64_e32 v[86:87], v[14:15], v[40:41]
	v_fmac_f64_e32 v[84:85], 0, v[40:41]
	v_fmac_f64_e32 v[80:81], v[8:9], v[40:41]
	v_fmac_f64_e32 v[78:79], 0, v[40:41]
	v_fmac_f64_e32 v[74:75], v[10:11], v[40:41]
	v_fmac_f64_e32 v[76:77], 0, v[40:41]
	v_fmac_f64_e32 v[88:89], 0x80000000, v[42:43]
	v_fmac_f64_e32 v[82:83], v[12:13], v[42:43]
	v_fmac_f64_e32 v[86:87], 0x80000000, v[42:43]
	v_fmac_f64_e32 v[84:85], v[14:15], v[42:43]
	v_fmac_f64_e32 v[80:81], 0x80000000, v[42:43]
	v_fmac_f64_e32 v[78:79], v[8:9], v[42:43]
	v_fmac_f64_e32 v[74:75], 0x80000000, v[42:43]
	v_fmac_f64_e32 v[76:77], v[10:11], v[42:43]
	s_waitcnt vmcnt(2)
	v_fmac_f64_e32 v[88:89], v[4:5], v[44:45]
	v_fmac_f64_e32 v[82:83], 0, v[44:45]
	v_fmac_f64_e32 v[86:87], v[6:7], v[44:45]
	v_fmac_f64_e32 v[84:85], 0, v[44:45]
	v_fmac_f64_e32 v[80:81], v[0:1], v[44:45]
	v_fmac_f64_e32 v[78:79], 0, v[44:45]
	v_fmac_f64_e32 v[74:75], v[2:3], v[44:45]
	v_fmac_f64_e32 v[76:77], 0, v[44:45]
	v_fmac_f64_e32 v[88:89], 0x80000000, v[46:47]
	v_fmac_f64_e32 v[82:83], v[4:5], v[46:47]
	v_fmac_f64_e32 v[86:87], 0x80000000, v[46:47]
	v_fmac_f64_e32 v[84:85], v[6:7], v[46:47]
	v_fmac_f64_e32 v[80:81], 0x80000000, v[46:47]
	v_fmac_f64_e32 v[78:79], v[0:1], v[46:47]
	v_fmac_f64_e32 v[74:75], 0x80000000, v[46:47]
	v_fmac_f64_e32 v[76:77], v[2:3], v[46:47]
	s_waitcnt vmcnt(1)
	v_fmac_f64_e32 v[88:89], v[36:37], v[48:49]
	v_fmac_f64_e32 v[82:83], 0, v[48:49]
	v_fmac_f64_e32 v[86:87], v[38:39], v[48:49]
	v_fmac_f64_e32 v[84:85], 0, v[48:49]
	v_fmac_f64_e32 v[80:81], v[32:33], v[48:49]
	v_fmac_f64_e32 v[78:79], 0, v[48:49]
	v_fmac_f64_e32 v[74:75], v[34:35], v[48:49]
	v_fmac_f64_e32 v[76:77], 0, v[48:49]
	v_fmac_f64_e32 v[88:89], 0x80000000, v[50:51]
	v_fmac_f64_e32 v[82:83], v[36:37], v[50:51]
	v_fmac_f64_e32 v[86:87], 0x80000000, v[50:51]
	v_fmac_f64_e32 v[84:85], v[38:39], v[50:51]
	v_fmac_f64_e32 v[80:81], 0x80000000, v[50:51]
	v_fmac_f64_e32 v[78:79], v[32:33], v[50:51]
	v_fmac_f64_e32 v[74:75], 0x80000000, v[50:51]
	v_fmac_f64_e32 v[76:77], v[34:35], v[50:51]
	s_waitcnt vmcnt(0)
	v_fmac_f64_e32 v[88:89], v[28:29], v[52:53]
	v_fmac_f64_e32 v[82:83], 0, v[52:53]
	v_fmac_f64_e32 v[86:87], v[30:31], v[52:53]
	v_fmac_f64_e32 v[84:85], 0, v[52:53]
	v_fmac_f64_e32 v[80:81], v[24:25], v[52:53]
	v_fmac_f64_e32 v[78:79], 0, v[52:53]
	v_fmac_f64_e32 v[74:75], v[26:27], v[52:53]
	v_fmac_f64_e32 v[76:77], 0, v[52:53]
	v_fmac_f64_e32 v[88:89], 0x80000000, v[54:55]
	v_fmac_f64_e32 v[82:83], v[28:29], v[54:55]
	v_fmac_f64_e32 v[86:87], 0x80000000, v[54:55]
	v_fmac_f64_e32 v[84:85], v[30:31], v[54:55]
	v_fmac_f64_e32 v[80:81], 0x80000000, v[54:55]
	v_fmac_f64_e32 v[78:79], v[24:25], v[54:55]
	v_fmac_f64_e32 v[74:75], 0x80000000, v[54:55]
	v_fmac_f64_e32 v[76:77], v[26:27], v[54:55]
	s_andn2_b64 exec, exec, s[10:11]
	s_cbranch_execnz .LBB141_31
; %bb.32:
	s_or_b64 exec, exec, s[10:11]
.LBB141_33:
	s_or_b64 exec, exec, s[8:9]
	v_cmp_lt_u64_e32 vcc, 23, v[16:17]
	s_and_saveexec_b64 s[8:9], vcc
	s_cbranch_execz .LBB141_37
; %bb.34:
	v_lshlrev_b64 v[0:1], 2, v[68:69]
	v_mov_b32_e32 v2, s13
	v_add_co_u32_e32 v0, vcc, s12, v0
	v_addc_co_u32_e32 v1, vcc, v1, v2, vcc
	v_add_co_u32_e32 v90, vcc, 64, v0
	v_addc_co_u32_e32 v91, vcc, 0, v1, vcc
	s_mov_b64 s[10:11], 0
	v_mov_b32_e32 v65, s5
	s_movk_i32 s5, 0x1000
.LBB141_35:                             ; =>This Inner Loop Header: Depth=1
	global_load_dword v52, v[90:91], off offset:-64
	global_load_dwordx4 v[4:7], v[72:73], off offset:48
	global_load_dwordx4 v[8:11], v[72:73], off offset:32
	;; [unrolled: 1-line block ×3, first 2 shown]
	global_load_dwordx4 v[48:51], v[72:73], off
	global_load_dwordx4 v[12:15], v[72:73], off offset:112
	global_load_dwordx4 v[28:31], v[72:73], off offset:96
	;; [unrolled: 1-line block ×9, first 2 shown]
	s_waitcnt vmcnt(13)
	v_subrev_u32_e32 v52, s20, v52
	v_lshlrev_b32_e32 v52, 2, v52
	v_ashrrev_i32_e32 v53, 31, v52
	v_lshlrev_b64 v[52:53], 4, v[52:53]
	v_add_co_u32_e32 v94, vcc, s4, v52
	v_addc_co_u32_e32 v95, vcc, v65, v53, vcc
	global_load_dwordx4 v[52:55], v[94:95], off
	s_waitcnt vmcnt(0)
	v_fmac_f64_e32 v[82:83], 0, v[52:53]
	v_fmac_f64_e32 v[84:85], 0, v[52:53]
	;; [unrolled: 1-line block ×8, first 2 shown]
	global_load_dwordx4 v[48:51], v[72:73], off offset:1120
	global_load_dword v92, v[90:91], off offset:-32
	global_load_dword v104, v[90:91], off
	v_fmac_f64_e32 v[80:81], v[20:21], v[52:53]
	v_fmac_f64_e32 v[74:75], v[22:23], v[52:53]
	;; [unrolled: 1-line block ×4, first 2 shown]
	global_load_dwordx4 v[20:23], v[94:95], off offset:16
	v_fmac_f64_e32 v[80:81], 0x80000000, v[54:55]
	v_fmac_f64_e32 v[74:75], 0x80000000, v[54:55]
	;; [unrolled: 1-line block ×4, first 2 shown]
	global_load_dwordx4 v[96:99], v[72:73], off offset:1104
	global_load_dwordx4 v[100:103], v[72:73], off offset:1088
	global_load_dword v67, v[90:91], off offset:32
	global_load_dwordx4 v[52:55], v[72:73], off offset:2048
	s_waitcnt vmcnt(4)
	v_fmac_f64_e32 v[78:79], 0, v[20:21]
	v_fmac_f64_e32 v[76:77], 0, v[20:21]
	;; [unrolled: 1-line block ×6, first 2 shown]
	global_load_dwordx4 v[4:7], v[94:95], off offset:32
	v_fmac_f64_e32 v[88:89], v[8:9], v[20:21]
	v_fmac_f64_e32 v[82:83], 0, v[20:21]
	;; [unrolled: 1-line block ×10, first 2 shown]
	global_load_dwordx4 v[20:23], v[72:73], off offset:2096
	s_waitcnt vmcnt(1)
	v_fmac_f64_e32 v[88:89], v[40:41], v[4:5]
	v_fmac_f64_e32 v[82:83], 0, v[4:5]
	;; [unrolled: 1-line block ×12, first 2 shown]
	global_load_dwordx4 v[36:39], v[72:73], off offset:2080
	v_fmac_f64_e32 v[88:89], 0x80000000, v[6:7]
	v_fmac_f64_e32 v[86:87], 0x80000000, v[6:7]
	;; [unrolled: 1-line block ×4, first 2 shown]
	global_load_dwordx4 v[6:9], v[94:95], off offset:48
	v_subrev_u32_e32 v4, s20, v92
	v_lshlrev_b32_e32 v4, 2, v4
	v_ashrrev_i32_e32 v5, 31, v4
	v_lshlrev_b64 v[4:5], 4, v[4:5]
	v_add_co_u32_e32 v92, vcc, s4, v4
	v_addc_co_u32_e32 v93, vcc, v65, v5, vcc
	global_load_dwordx4 v[40:43], v[72:73], off offset:2064
	s_waitcnt vmcnt(1)
	v_fmac_f64_e32 v[78:79], 0, v[6:7]
	v_fmac_f64_e32 v[76:77], 0, v[6:7]
	;; [unrolled: 1-line block ×6, first 2 shown]
	global_load_dwordx4 v[12:15], v[92:93], off
	v_fmac_f64_e32 v[82:83], 0, v[6:7]
	v_fmac_f64_e32 v[84:85], 0, v[6:7]
	;; [unrolled: 1-line block ×10, first 2 shown]
	global_load_dwordx4 v[28:31], v[72:73], off offset:2128
	global_load_dwordx4 v[4:7], v[72:73], off offset:2160
	;; [unrolled: 1-line block ×3, first 2 shown]
	s_waitcnt vmcnt(3)
	v_fmac_f64_e32 v[82:83], 0, v[12:13]
	v_fmac_f64_e32 v[84:85], 0, v[12:13]
	;; [unrolled: 1-line block ×6, first 2 shown]
	global_load_dwordx4 v[44:47], v[92:93], off offset:16
	v_fmac_f64_e32 v[80:81], v[32:33], v[12:13]
	v_fmac_f64_e32 v[78:79], 0, v[12:13]
	;; [unrolled: 1-line block ×10, first 2 shown]
	global_load_dwordx4 v[32:35], v[72:73], off offset:2112
	global_load_dwordx4 v[12:15], v[72:73], off offset:3120
	s_waitcnt vmcnt(2)
	v_fmac_f64_e32 v[88:89], v[24:25], v[44:45]
	v_fmac_f64_e32 v[82:83], 0, v[44:45]
	;; [unrolled: 1-line block ×12, first 2 shown]
	global_load_dwordx4 v[16:19], v[72:73], off offset:3104
	v_fmac_f64_e32 v[88:89], 0x80000000, v[46:47]
	v_fmac_f64_e32 v[86:87], 0x80000000, v[46:47]
	;; [unrolled: 1-line block ×4, first 2 shown]
	global_load_dwordx4 v[44:47], v[92:93], off offset:32
	global_load_dwordx4 v[24:27], v[72:73], off offset:3088
	s_waitcnt vmcnt(1)
	v_fmac_f64_e32 v[88:89], v[100:101], v[44:45]
	global_load_dwordx4 v[92:95], v[92:93], off offset:48
	v_fmac_f64_e32 v[82:83], 0, v[44:45]
	v_fmac_f64_e32 v[86:87], v[102:103], v[44:45]
	;; [unrolled: 1-line block ×7, first 2 shown]
	v_subrev_u32_e32 v44, s20, v104
	v_subrev_u32_e32 v45, s20, v67
	v_lshlrev_b32_e32 v44, 2, v44
	v_fmac_f64_e32 v[82:83], v[100:101], v[46:47]
	v_fmac_f64_e32 v[84:85], v[102:103], v[46:47]
	v_fmac_f64_e32 v[78:79], v[96:97], v[46:47]
	v_fmac_f64_e32 v[76:77], v[98:99], v[46:47]
	v_fmac_f64_e32 v[88:89], 0x80000000, v[46:47]
	v_fmac_f64_e32 v[86:87], 0x80000000, v[46:47]
	v_fmac_f64_e32 v[80:81], 0x80000000, v[46:47]
	v_fmac_f64_e32 v[74:75], 0x80000000, v[46:47]
	v_lshlrev_b32_e32 v46, 2, v45
	v_ashrrev_i32_e32 v45, 31, v44
	v_lshlrev_b64 v[44:45], 4, v[44:45]
	v_add_co_u32_e32 v96, vcc, s4, v44
	v_addc_co_u32_e32 v97, vcc, v65, v45, vcc
	v_ashrrev_i32_e32 v47, 31, v46
	v_lshlrev_b64 v[46:47], 4, v[46:47]
	v_add_co_u32_e32 v98, vcc, s4, v46
	v_addc_co_u32_e32 v99, vcc, v65, v47, vcc
	global_load_dwordx4 v[44:47], v[72:73], off offset:3072
	s_waitcnt vmcnt(1)
	v_fmac_f64_e32 v[88:89], v[48:49], v[92:93]
	v_fmac_f64_e32 v[82:83], 0, v[92:93]
	v_fmac_f64_e32 v[86:87], v[50:51], v[92:93]
	v_fmac_f64_e32 v[84:85], 0, v[92:93]
	v_fmac_f64_e32 v[80:81], v[0:1], v[92:93]
	v_fmac_f64_e32 v[78:79], 0, v[92:93]
	v_fmac_f64_e32 v[74:75], v[2:3], v[92:93]
	v_fmac_f64_e32 v[76:77], 0, v[92:93]
	v_fmac_f64_e32 v[82:83], v[48:49], v[94:95]
	v_fmac_f64_e32 v[84:85], v[50:51], v[94:95]
	v_fmac_f64_e32 v[78:79], v[0:1], v[94:95]
	v_fmac_f64_e32 v[76:77], v[2:3], v[94:95]
	v_fmac_f64_e32 v[88:89], 0x80000000, v[94:95]
	v_fmac_f64_e32 v[86:87], 0x80000000, v[94:95]
	v_fmac_f64_e32 v[80:81], 0x80000000, v[94:95]
	v_fmac_f64_e32 v[74:75], 0x80000000, v[94:95]
	global_load_dwordx4 v[92:95], v[96:97], off
	global_load_dwordx4 v[0:3], v[72:73], off offset:3184
	global_load_dwordx4 v[48:51], v[72:73], off offset:3168
	s_waitcnt vmcnt(2)
	v_fmac_f64_e32 v[82:83], 0, v[92:93]
	v_fmac_f64_e32 v[84:85], 0, v[92:93]
	;; [unrolled: 1-line block ×6, first 2 shown]
	global_load_dwordx4 v[52:55], v[96:97], off offset:16
	v_fmac_f64_e32 v[78:79], 0, v[92:93]
	v_fmac_f64_e32 v[76:77], 0, v[92:93]
	;; [unrolled: 1-line block ×10, first 2 shown]
	global_load_dwordx4 v[40:43], v[72:73], off offset:3152
	s_waitcnt vmcnt(1)
	v_fmac_f64_e32 v[78:79], 0, v[52:53]
	v_fmac_f64_e32 v[76:77], 0, v[52:53]
	;; [unrolled: 1-line block ×6, first 2 shown]
	global_load_dwordx4 v[20:23], v[96:97], off offset:32
	v_fmac_f64_e32 v[88:89], v[36:37], v[52:53]
	v_fmac_f64_e32 v[82:83], 0, v[52:53]
	;; [unrolled: 1-line block ×10, first 2 shown]
	global_load_dwordx4 v[52:55], v[96:97], off offset:48
	global_load_dwordx4 v[36:39], v[72:73], off offset:3136
	v_add_co_u32_e32 v72, vcc, s5, v72
	s_mov_b64 s[0:1], vcc
	v_add_co_u32_e32 v68, vcc, 32, v68
	v_addc_co_u32_e32 v69, vcc, 0, v69, vcc
	v_addc_co_u32_e64 v73, s[0:1], 0, v73, s[0:1]
	v_add_co_u32_e32 v90, vcc, 0x80, v90
	v_cmp_ge_i64_e64 s[0:1], v[68:69], v[70:71]
	v_addc_co_u32_e32 v91, vcc, 0, v91, vcc
	s_or_b64 s[10:11], s[0:1], s[10:11]
	s_waitcnt vmcnt(2)
	v_fmac_f64_e32 v[82:83], 0, v[20:21]
	v_fmac_f64_e32 v[84:85], 0, v[20:21]
	;; [unrolled: 1-line block ×6, first 2 shown]
	global_load_dwordx4 v[32:35], v[98:99], off
	v_fmac_f64_e32 v[78:79], 0, v[20:21]
	v_fmac_f64_e32 v[76:77], 0, v[20:21]
	;; [unrolled: 1-line block ×6, first 2 shown]
	global_load_dwordx4 v[28:31], v[98:99], off offset:16
	v_fmac_f64_e32 v[88:89], 0x80000000, v[22:23]
	v_fmac_f64_e32 v[86:87], 0x80000000, v[22:23]
	;; [unrolled: 1-line block ×4, first 2 shown]
	global_load_dwordx4 v[20:23], v[98:99], off offset:32
	global_load_dwordx4 v[92:95], v[98:99], off offset:48
	s_waitcnt vmcnt(5)
	v_fmac_f64_e32 v[88:89], v[8:9], v[52:53]
	v_fmac_f64_e32 v[82:83], 0, v[52:53]
	v_fmac_f64_e32 v[86:87], v[10:11], v[52:53]
	v_fmac_f64_e32 v[84:85], 0, v[52:53]
	v_fmac_f64_e32 v[80:81], v[4:5], v[52:53]
	v_fmac_f64_e32 v[78:79], 0, v[52:53]
	v_fmac_f64_e32 v[74:75], v[6:7], v[52:53]
	v_fmac_f64_e32 v[76:77], 0, v[52:53]
	v_fmac_f64_e32 v[88:89], 0x80000000, v[54:55]
	v_fmac_f64_e32 v[82:83], v[8:9], v[54:55]
	v_fmac_f64_e32 v[86:87], 0x80000000, v[54:55]
	v_fmac_f64_e32 v[84:85], v[10:11], v[54:55]
	v_fmac_f64_e32 v[80:81], 0x80000000, v[54:55]
	v_fmac_f64_e32 v[78:79], v[4:5], v[54:55]
	v_fmac_f64_e32 v[74:75], 0x80000000, v[54:55]
	v_fmac_f64_e32 v[76:77], v[6:7], v[54:55]
	s_waitcnt vmcnt(3)
	v_fmac_f64_e32 v[88:89], v[44:45], v[32:33]
	v_fmac_f64_e32 v[82:83], 0, v[32:33]
	v_fmac_f64_e32 v[86:87], v[46:47], v[32:33]
	v_fmac_f64_e32 v[84:85], 0, v[32:33]
	v_fmac_f64_e32 v[80:81], v[24:25], v[32:33]
	v_fmac_f64_e32 v[78:79], 0, v[32:33]
	v_fmac_f64_e32 v[74:75], v[26:27], v[32:33]
	v_fmac_f64_e32 v[76:77], 0, v[32:33]
	v_fmac_f64_e32 v[88:89], 0x80000000, v[34:35]
	v_fmac_f64_e32 v[82:83], v[44:45], v[34:35]
	v_fmac_f64_e32 v[86:87], 0x80000000, v[34:35]
	v_fmac_f64_e32 v[84:85], v[46:47], v[34:35]
	v_fmac_f64_e32 v[80:81], 0x80000000, v[34:35]
	v_fmac_f64_e32 v[78:79], v[24:25], v[34:35]
	v_fmac_f64_e32 v[74:75], 0x80000000, v[34:35]
	v_fmac_f64_e32 v[76:77], v[26:27], v[34:35]
	;; [unrolled: 17-line block ×5, first 2 shown]
	s_andn2_b64 exec, exec, s[10:11]
	s_cbranch_execnz .LBB141_35
; %bb.36:
	s_or_b64 exec, exec, s[10:11]
.LBB141_37:
	s_or_b64 exec, exec, s[8:9]
.LBB141_38:
	s_or_b64 exec, exec, s[2:3]
.LBB141_39:
	v_mov_b32_dpp v0, v88 row_shr:1 row_mask:0xf bank_mask:0xf
	v_mov_b32_dpp v1, v89 row_shr:1 row_mask:0xf bank_mask:0xf
	;; [unrolled: 1-line block ×16, first 2 shown]
	v_add_f64 v[0:1], v[88:89], v[0:1]
	v_add_f64 v[4:5], v[82:83], v[4:5]
	v_add_f64 v[8:9], v[86:87], v[8:9]
	v_add_f64 v[12:13], v[84:85], v[12:13]
	v_add_f64 v[16:17], v[80:81], v[16:17]
	v_add_f64 v[20:21], v[78:79], v[20:21]
	v_add_f64 v[24:25], v[74:75], v[24:25]
	v_add_f64 v[28:29], v[76:77], v[28:29]
	v_mov_b32_dpp v2, v0 row_shr:2 row_mask:0xf bank_mask:0xf
	v_mov_b32_dpp v3, v1 row_shr:2 row_mask:0xf bank_mask:0xf
	;; [unrolled: 1-line block ×16, first 2 shown]
	v_add_f64 v[0:1], v[0:1], v[2:3]
	v_add_f64 v[4:5], v[4:5], v[6:7]
	;; [unrolled: 1-line block ×8, first 2 shown]
	v_mov_b32_dpp v2, v0 row_shr:4 row_mask:0xf bank_mask:0xe
	v_mov_b32_dpp v3, v1 row_shr:4 row_mask:0xf bank_mask:0xe
	v_mov_b32_dpp v6, v4 row_shr:4 row_mask:0xf bank_mask:0xe
	v_mov_b32_dpp v7, v5 row_shr:4 row_mask:0xf bank_mask:0xe
	v_mov_b32_dpp v10, v8 row_shr:4 row_mask:0xf bank_mask:0xe
	v_mov_b32_dpp v11, v9 row_shr:4 row_mask:0xf bank_mask:0xe
	v_mov_b32_dpp v14, v12 row_shr:4 row_mask:0xf bank_mask:0xe
	v_mov_b32_dpp v15, v13 row_shr:4 row_mask:0xf bank_mask:0xe
	v_mov_b32_dpp v18, v16 row_shr:4 row_mask:0xf bank_mask:0xe
	v_mov_b32_dpp v19, v17 row_shr:4 row_mask:0xf bank_mask:0xe
	v_mov_b32_dpp v22, v20 row_shr:4 row_mask:0xf bank_mask:0xe
	v_mov_b32_dpp v23, v21 row_shr:4 row_mask:0xf bank_mask:0xe
	v_mov_b32_dpp v26, v24 row_shr:4 row_mask:0xf bank_mask:0xe
	v_mov_b32_dpp v27, v25 row_shr:4 row_mask:0xf bank_mask:0xe
	v_mov_b32_dpp v30, v28 row_shr:4 row_mask:0xf bank_mask:0xe
	v_mov_b32_dpp v31, v29 row_shr:4 row_mask:0xf bank_mask:0xe
	v_cmp_eq_u32_e32 vcc, 7, v66
	s_and_b64 exec, exec, vcc
	s_cbranch_execz .LBB141_12
; %bb.40:
	s_load_dwordx2 s[2:3], s[6:7], 0x60
	v_add_f64 v[32:33], v[0:1], v[2:3]
	v_add_f64 v[0:1], v[4:5], v[6:7]
	;; [unrolled: 1-line block ×8, first 2 shown]
	v_cmp_eq_f64_e32 vcc, 0, v[56:57]
	v_cmp_eq_f64_e64 s[0:1], 0, v[58:59]
	v_mul_f64 v[12:13], v[0:1], -v[62:63]
	v_mul_f64 v[14:15], v[60:61], v[0:1]
	v_mul_f64 v[8:9], v[2:3], -v[62:63]
	v_mul_f64 v[10:11], v[60:61], v[2:3]
	;; [unrolled: 2-line block ×4, first 2 shown]
	s_and_b64 s[0:1], vcc, s[0:1]
	v_fmac_f64_e32 v[12:13], v[60:61], v[32:33]
	v_fmac_f64_e32 v[14:15], v[62:63], v[32:33]
	v_lshlrev_b32_e32 v16, 2, v64
	v_fmac_f64_e32 v[8:9], v[60:61], v[34:35]
	v_fmac_f64_e32 v[10:11], v[62:63], v[34:35]
	;; [unrolled: 1-line block ×6, first 2 shown]
	s_and_saveexec_b64 s[4:5], s[0:1]
	s_xor_b64 s[0:1], exec, s[4:5]
	s_cbranch_execz .LBB141_42
; %bb.41:
	v_ashrrev_i32_e32 v17, 31, v16
	v_lshlrev_b64 v[16:17], 4, v[16:17]
	s_waitcnt lgkmcnt(0)
	v_mov_b32_e32 v18, s3
	v_add_co_u32_e32 v16, vcc, s2, v16
	v_addc_co_u32_e32 v17, vcc, v18, v17, vcc
	global_store_dwordx4 v[16:17], v[12:15], off
	global_store_dwordx4 v[16:17], v[8:11], off offset:16
	global_store_dwordx4 v[16:17], v[4:7], off offset:32
	;; [unrolled: 1-line block ×3, first 2 shown]
                                        ; implicit-def: $vgpr56_vgpr57
                                        ; implicit-def: $vgpr58_vgpr59
                                        ; implicit-def: $vgpr12_vgpr13
                                        ; implicit-def: $vgpr16
                                        ; implicit-def: $vgpr8_vgpr9
                                        ; implicit-def: $vgpr4_vgpr5
                                        ; implicit-def: $vgpr0_vgpr1
.LBB141_42:
	s_andn2_saveexec_b64 s[0:1], s[0:1]
	s_cbranch_execz .LBB141_12
; %bb.43:
	v_ashrrev_i32_e32 v17, 31, v16
	v_lshlrev_b64 v[16:17], 4, v[16:17]
	s_waitcnt lgkmcnt(0)
	v_mov_b32_e32 v18, s3
	v_add_co_u32_e32 v32, vcc, s2, v16
	v_addc_co_u32_e32 v33, vcc, v18, v17, vcc
	global_load_dwordx4 v[16:19], v[32:33], off
	global_load_dwordx4 v[20:23], v[32:33], off offset:16
	global_load_dwordx4 v[24:27], v[32:33], off offset:32
	;; [unrolled: 1-line block ×3, first 2 shown]
	s_waitcnt vmcnt(3)
	v_fmac_f64_e32 v[12:13], v[56:57], v[16:17]
	v_fmac_f64_e32 v[14:15], v[58:59], v[16:17]
	s_waitcnt vmcnt(2)
	v_fmac_f64_e32 v[8:9], v[56:57], v[20:21]
	v_fmac_f64_e32 v[10:11], v[58:59], v[20:21]
	;; [unrolled: 3-line block ×4, first 2 shown]
	v_fma_f64 v[12:13], -v[58:59], v[18:19], v[12:13]
	v_fmac_f64_e32 v[14:15], v[56:57], v[18:19]
	v_fma_f64 v[8:9], -v[58:59], v[22:23], v[8:9]
	v_fmac_f64_e32 v[10:11], v[56:57], v[22:23]
	;; [unrolled: 2-line block ×4, first 2 shown]
	global_store_dwordx4 v[32:33], v[12:15], off
	global_store_dwordx4 v[32:33], v[8:11], off offset:16
	global_store_dwordx4 v[32:33], v[4:7], off offset:32
	;; [unrolled: 1-line block ×3, first 2 shown]
	s_endpgm
	.section	.rodata,"a",@progbits
	.p2align	6, 0x0
	.amdhsa_kernel _ZN9rocsparseL18bsrxmvn_4x4_kernelILj128ELj8E21rocsparse_complex_numIdElidS2_S2_EEvT3_20rocsparse_direction_NS_24const_host_device_scalarIT1_EES3_PKS3_PKT2_SC_S9_PKT4_PKT5_S7_PT6_21rocsparse_index_base_b
		.amdhsa_group_segment_fixed_size 2048
		.amdhsa_private_segment_fixed_size 0
		.amdhsa_kernarg_size 112
		.amdhsa_user_sgpr_count 8
		.amdhsa_user_sgpr_private_segment_buffer 1
		.amdhsa_user_sgpr_dispatch_ptr 1
		.amdhsa_user_sgpr_queue_ptr 0
		.amdhsa_user_sgpr_kernarg_segment_ptr 1
		.amdhsa_user_sgpr_dispatch_id 0
		.amdhsa_user_sgpr_flat_scratch_init 0
		.amdhsa_user_sgpr_kernarg_preload_length 0
		.amdhsa_user_sgpr_kernarg_preload_offset 0
		.amdhsa_user_sgpr_private_segment_size 0
		.amdhsa_uses_dynamic_stack 0
		.amdhsa_system_sgpr_private_segment_wavefront_offset 0
		.amdhsa_system_sgpr_workgroup_id_x 1
		.amdhsa_system_sgpr_workgroup_id_y 0
		.amdhsa_system_sgpr_workgroup_id_z 0
		.amdhsa_system_sgpr_workgroup_info 0
		.amdhsa_system_vgpr_workitem_id 2
		.amdhsa_next_free_vgpr 105
		.amdhsa_next_free_sgpr 22
		.amdhsa_accum_offset 108
		.amdhsa_reserve_vcc 1
		.amdhsa_reserve_flat_scratch 0
		.amdhsa_float_round_mode_32 0
		.amdhsa_float_round_mode_16_64 0
		.amdhsa_float_denorm_mode_32 3
		.amdhsa_float_denorm_mode_16_64 3
		.amdhsa_dx10_clamp 1
		.amdhsa_ieee_mode 1
		.amdhsa_fp16_overflow 0
		.amdhsa_tg_split 0
		.amdhsa_exception_fp_ieee_invalid_op 0
		.amdhsa_exception_fp_denorm_src 0
		.amdhsa_exception_fp_ieee_div_zero 0
		.amdhsa_exception_fp_ieee_overflow 0
		.amdhsa_exception_fp_ieee_underflow 0
		.amdhsa_exception_fp_ieee_inexact 0
		.amdhsa_exception_int_div_zero 0
	.end_amdhsa_kernel
	.section	.text._ZN9rocsparseL18bsrxmvn_4x4_kernelILj128ELj8E21rocsparse_complex_numIdElidS2_S2_EEvT3_20rocsparse_direction_NS_24const_host_device_scalarIT1_EES3_PKS3_PKT2_SC_S9_PKT4_PKT5_S7_PT6_21rocsparse_index_base_b,"axG",@progbits,_ZN9rocsparseL18bsrxmvn_4x4_kernelILj128ELj8E21rocsparse_complex_numIdElidS2_S2_EEvT3_20rocsparse_direction_NS_24const_host_device_scalarIT1_EES3_PKS3_PKT2_SC_S9_PKT4_PKT5_S7_PT6_21rocsparse_index_base_b,comdat
.Lfunc_end141:
	.size	_ZN9rocsparseL18bsrxmvn_4x4_kernelILj128ELj8E21rocsparse_complex_numIdElidS2_S2_EEvT3_20rocsparse_direction_NS_24const_host_device_scalarIT1_EES3_PKS3_PKT2_SC_S9_PKT4_PKT5_S7_PT6_21rocsparse_index_base_b, .Lfunc_end141-_ZN9rocsparseL18bsrxmvn_4x4_kernelILj128ELj8E21rocsparse_complex_numIdElidS2_S2_EEvT3_20rocsparse_direction_NS_24const_host_device_scalarIT1_EES3_PKS3_PKT2_SC_S9_PKT4_PKT5_S7_PT6_21rocsparse_index_base_b
                                        ; -- End function
	.section	.AMDGPU.csdata,"",@progbits
; Kernel info:
; codeLenInByte = 7452
; NumSgprs: 26
; NumVgprs: 105
; NumAgprs: 0
; TotalNumVgprs: 105
; ScratchSize: 0
; MemoryBound: 0
; FloatMode: 240
; IeeeMode: 1
; LDSByteSize: 2048 bytes/workgroup (compile time only)
; SGPRBlocks: 3
; VGPRBlocks: 13
; NumSGPRsForWavesPerEU: 26
; NumVGPRsForWavesPerEU: 105
; AccumOffset: 108
; Occupancy: 4
; WaveLimiterHint : 1
; COMPUTE_PGM_RSRC2:SCRATCH_EN: 0
; COMPUTE_PGM_RSRC2:USER_SGPR: 8
; COMPUTE_PGM_RSRC2:TRAP_HANDLER: 0
; COMPUTE_PGM_RSRC2:TGID_X_EN: 1
; COMPUTE_PGM_RSRC2:TGID_Y_EN: 0
; COMPUTE_PGM_RSRC2:TGID_Z_EN: 0
; COMPUTE_PGM_RSRC2:TIDIG_COMP_CNT: 2
; COMPUTE_PGM_RSRC3_GFX90A:ACCUM_OFFSET: 26
; COMPUTE_PGM_RSRC3_GFX90A:TG_SPLIT: 0
	.section	.text._ZN9rocsparseL18bsrxmvn_4x4_kernelILj128ELj16E21rocsparse_complex_numIdElidS2_S2_EEvT3_20rocsparse_direction_NS_24const_host_device_scalarIT1_EES3_PKS3_PKT2_SC_S9_PKT4_PKT5_S7_PT6_21rocsparse_index_base_b,"axG",@progbits,_ZN9rocsparseL18bsrxmvn_4x4_kernelILj128ELj16E21rocsparse_complex_numIdElidS2_S2_EEvT3_20rocsparse_direction_NS_24const_host_device_scalarIT1_EES3_PKS3_PKT2_SC_S9_PKT4_PKT5_S7_PT6_21rocsparse_index_base_b,comdat
	.globl	_ZN9rocsparseL18bsrxmvn_4x4_kernelILj128ELj16E21rocsparse_complex_numIdElidS2_S2_EEvT3_20rocsparse_direction_NS_24const_host_device_scalarIT1_EES3_PKS3_PKT2_SC_S9_PKT4_PKT5_S7_PT6_21rocsparse_index_base_b ; -- Begin function _ZN9rocsparseL18bsrxmvn_4x4_kernelILj128ELj16E21rocsparse_complex_numIdElidS2_S2_EEvT3_20rocsparse_direction_NS_24const_host_device_scalarIT1_EES3_PKS3_PKT2_SC_S9_PKT4_PKT5_S7_PT6_21rocsparse_index_base_b
	.p2align	8
	.type	_ZN9rocsparseL18bsrxmvn_4x4_kernelILj128ELj16E21rocsparse_complex_numIdElidS2_S2_EEvT3_20rocsparse_direction_NS_24const_host_device_scalarIT1_EES3_PKS3_PKT2_SC_S9_PKT4_PKT5_S7_PT6_21rocsparse_index_base_b,@function
_ZN9rocsparseL18bsrxmvn_4x4_kernelILj128ELj16E21rocsparse_complex_numIdElidS2_S2_EEvT3_20rocsparse_direction_NS_24const_host_device_scalarIT1_EES3_PKS3_PKT2_SC_S9_PKT4_PKT5_S7_PT6_21rocsparse_index_base_b: ; @_ZN9rocsparseL18bsrxmvn_4x4_kernelILj128ELj16E21rocsparse_complex_numIdElidS2_S2_EEvT3_20rocsparse_direction_NS_24const_host_device_scalarIT1_EES3_PKS3_PKT2_SC_S9_PKT4_PKT5_S7_PT6_21rocsparse_index_base_b
; %bb.0:
	s_load_dwordx2 s[20:21], s[6:7], 0x68
	s_load_dwordx4 s[12:15], s[6:7], 0x8
	s_load_dwordx2 s[10:11], s[4:5], 0x4
	s_load_dwordx4 s[16:19], s[6:7], 0x50
	s_mov_b64 s[2:3], src_shared_base
	v_bfe_u32 v2, v0, 10, 10
	s_waitcnt lgkmcnt(0)
	s_bitcmp1_b32 s21, 0
	s_cselect_b64 s[0:1], -1, 0
	s_and_b64 vcc, s[0:1], exec
	s_cselect_b32 s2, s3, s13
	s_lshr_b32 s4, s10, 16
	v_and_b32_e32 v1, 0x3ff, v0
	s_mul_i32 s4, s4, s11
	v_mul_u32_u24_e32 v2, s11, v2
	v_mad_u32_u24 v2, s4, v1, v2
	v_bfe_u32 v0, v0, 20, 10
	v_add_lshl_u32 v0, v2, v0, 3
	v_mov_b32_e32 v6, s12
	v_add_u32_e32 v7, 0x400, v0
	v_pk_mov_b32 v[2:3], s[12:13], s[12:13] op_sel:[0,1]
	v_pk_mov_b32 v[4:5], s[16:17], s[16:17] op_sel:[0,1]
	ds_write2st64_b64 v0, v[4:5], v[2:3] offset1:2
	v_cndmask_b32_e64 v2, v6, v7, s[0:1]
	v_mov_b32_e32 v3, s2
	flat_load_dwordx2 v[64:65], v[2:3]
	s_xor_b64 s[4:5], s[0:1], -1
	v_pk_mov_b32 v[66:67], s[14:15], s[14:15] op_sel:[0,1]
	s_cbranch_vccnz .LBB142_2
; %bb.1:
	v_pk_mov_b32 v[2:3], s[12:13], s[12:13] op_sel:[0,1]
	flat_load_dwordx2 v[66:67], v[2:3] offset:8
.LBB142_2:
	s_and_b64 s[10:11], s[0:1], exec
	s_cselect_b32 s2, s3, s17
	v_mov_b32_e32 v2, s16
	v_cndmask_b32_e64 v2, v2, v0, s[0:1]
	v_mov_b32_e32 v3, s2
	flat_load_dwordx2 v[60:61], v[2:3]
	s_andn2_b64 vcc, exec, s[4:5]
	v_pk_mov_b32 v[62:63], s[18:19], s[18:19] op_sel:[0,1]
	s_cbranch_vccnz .LBB142_4
; %bb.3:
	v_pk_mov_b32 v[2:3], s[16:17], s[16:17] op_sel:[0,1]
	flat_load_dwordx2 v[62:63], v[2:3] offset:8
.LBB142_4:
	s_waitcnt vmcnt(0) lgkmcnt(0)
	v_cmp_eq_f64_e32 vcc, 0, v[64:65]
	v_cmp_eq_f64_e64 s[0:1], 0, v[66:67]
	s_and_b64 s[4:5], vcc, s[0:1]
	s_mov_b64 s[0:1], -1
	s_and_saveexec_b64 s[2:3], s[4:5]
; %bb.5:
	v_cmp_neq_f64_e32 vcc, 1.0, v[60:61]
	v_cmp_neq_f64_e64 s[0:1], 0, v[62:63]
	s_or_b64 s[0:1], vcc, s[0:1]
	s_orn2_b64 s[0:1], s[0:1], exec
; %bb.6:
	s_or_b64 exec, exec, s[2:3]
	s_and_saveexec_b64 s[2:3], s[0:1]
	s_cbranch_execz .LBB142_12
; %bb.7:
	s_load_dwordx2 s[4:5], s[6:7], 0x20
	s_load_dwordx2 s[0:1], s[6:7], 0x0
	v_lshrrev_b32_e32 v0, 4, v1
	v_lshl_or_b32 v68, s8, 3, v0
	s_mov_b64 s[2:3], 0
	s_waitcnt lgkmcnt(0)
	s_cmp_lg_u64 s[4:5], 0
	s_cbranch_scc0 .LBB142_13
; %bb.8:
	s_load_dword s8, s[6:7], 0x18
                                        ; implicit-def: $vgpr0
	s_waitcnt lgkmcnt(0)
	v_cmp_gt_i32_e32 vcc, s8, v68
	s_and_saveexec_b64 s[8:9], vcc
	s_xor_b64 s[8:9], exec, s[8:9]
	s_cbranch_execz .LBB142_10
; %bb.9:
	v_ashrrev_i32_e32 v69, 31, v68
	v_lshlrev_b64 v[2:3], 2, v[68:69]
	v_mov_b32_e32 v0, s5
	v_add_co_u32_e32 v2, vcc, s4, v2
	v_addc_co_u32_e32 v3, vcc, v0, v3, vcc
	global_load_dword v0, v[2:3], off
	s_mov_b64 s[2:3], exec
	s_waitcnt vmcnt(0)
	v_subrev_u32_e32 v0, s20, v0
.LBB142_10:
	s_or_b64 exec, exec, s[8:9]
	s_branch .LBB142_14
.LBB142_11:
	v_cmp_gt_i32_e32 vcc, s0, v68
	s_andn2_b64 s[2:3], s[2:3], exec
	s_and_b64 s[4:5], vcc, exec
	s_or_b64 s[2:3], s[2:3], s[4:5]
	s_and_b64 exec, exec, s[2:3]
	s_cbranch_execnz .LBB142_15
.LBB142_12:
	s_endpgm
.LBB142_13:
                                        ; implicit-def: $vgpr0
	s_cbranch_execnz .LBB142_11
.LBB142_14:
	v_mov_b32_e32 v68, v0
	s_and_b64 exec, exec, s[2:3]
	s_cbranch_execz .LBB142_12
.LBB142_15:
	s_load_dwordx8 s[8:15], s[6:7], 0x28
	v_ashrrev_i32_e32 v69, 31, v68
	v_lshlrev_b64 v[2:3], 3, v[68:69]
	v_and_b32_e32 v70, 15, v1
	s_mov_b32 s18, 0
	s_waitcnt lgkmcnt(0)
	v_mov_b32_e32 v0, s9
	v_add_co_u32_e32 v4, vcc, s8, v2
	v_addc_co_u32_e32 v5, vcc, v0, v3, vcc
	v_add_co_u32_e32 v0, vcc, 8, v4
	global_load_dwordx2 v[16:17], v[4:5], off
	v_addc_co_u32_e32 v4, vcc, 0, v5, vcc
	v_mov_b32_e32 v5, s11
	v_add_co_u32_e32 v2, vcc, s10, v2
	s_cmp_eq_u64 s[10:11], 0
	v_addc_co_u32_e32 v3, vcc, v5, v3, vcc
	s_cselect_b64 vcc, -1, 0
	v_cndmask_b32_e32 v3, v3, v4, vcc
	v_cndmask_b32_e32 v2, v2, v0, vcc
	global_load_dwordx2 v[2:3], v[2:3], off
	s_load_dwordx2 s[8:9], s[6:7], 0x48
	v_mov_b32_e32 v4, s15
	s_cmp_eq_u32 s1, 1
	s_waitcnt vmcnt(1)
	v_subrev_co_u32_e32 v0, vcc, s20, v16
	v_subbrev_co_u32_e32 v1, vcc, 0, v17, vcc
	v_add_co_u32_e32 v76, vcc, v0, v70
	v_addc_co_u32_e32 v77, vcc, 0, v1, vcc
	v_lshlrev_b64 v[0:1], 7, v[76:77]
	s_waitcnt vmcnt(0)
	v_subrev_co_u32_e32 v78, vcc, s20, v2
	v_subbrev_co_u32_e32 v79, vcc, 0, v3, vcc
	v_add_co_u32_e32 v80, vcc, s14, v0
	v_addc_co_u32_e32 v81, vcc, v4, v1, vcc
	v_cmp_lt_i64_e64 s[0:1], v[76:77], v[78:79]
	s_cbranch_scc1 .LBB142_27
; %bb.16:
	v_pk_mov_b32 v[88:89], 0, 0
	s_mov_b64 s[4:5], 0
	v_pk_mov_b32 v[92:93], v[88:89], v[88:89] op_sel:[0,1]
	v_pk_mov_b32 v[86:87], v[88:89], v[88:89] op_sel:[0,1]
	;; [unrolled: 1-line block ×7, first 2 shown]
	s_and_saveexec_b64 s[10:11], s[0:1]
	s_cbranch_execz .LBB142_26
; %bb.17:
	v_or_b32_e32 v0, 16, v70
	v_mov_b32_e32 v1, s18
	v_subrev_co_u32_e32 v0, vcc, s20, v0
	v_subb_co_u32_e32 v1, vcc, 0, v1, vcc
	v_add_co_u32_e32 v0, vcc, v0, v16
	v_addc_co_u32_e32 v1, vcc, v1, v17, vcc
	v_cmp_gt_i64_e32 vcc, v[0:1], v[78:79]
	v_cndmask_b32_e32 v1, v79, v1, vcc
	v_cndmask_b32_e32 v0, v78, v0, vcc
	v_mov_b32_e32 v4, s18
	v_sub_co_u32_e32 v5, vcc, s20, v70
	v_not_b32_e32 v3, v16
	v_subbrev_co_u32_e32 v4, vcc, 0, v4, vcc
	v_not_b32_e32 v2, v17
	v_add_co_u32_e32 v3, vcc, v5, v3
	v_addc_co_u32_e32 v2, vcc, v4, v2, vcc
	v_add_co_u32_e32 v22, vcc, v3, v0
	v_lshrrev_b32_e32 v0, 4, v22
	v_add_u32_e32 v0, 1, v0
	v_addc_co_u32_e32 v23, vcc, v2, v1, vcc
	v_and_b32_e32 v0, 3, v0
	v_pk_mov_b32 v[74:75], 0, 0
	v_cmp_ne_u32_e32 vcc, 0, v0
	s_mov_b64 s[16:17], 0
	v_pk_mov_b32 v[72:73], v[74:75], v[74:75] op_sel:[0,1]
	v_pk_mov_b32 v[84:85], v[74:75], v[74:75] op_sel:[0,1]
	;; [unrolled: 1-line block ×9, first 2 shown]
	s_and_saveexec_b64 s[14:15], vcc
	s_cbranch_execz .LBB142_21
; %bb.18:
	v_lshlrev_b64 v[2:3], 2, v[76:77]
	v_mov_b32_e32 v1, s13
	v_add_co_u32_e32 v26, vcc, s12, v2
	v_pk_mov_b32 v[88:89], 0, 0
	v_mov_b32_e32 v25, 0
	v_addc_co_u32_e32 v27, vcc, v1, v3, vcc
	v_lshlrev_b32_e32 v24, 2, v0
	s_movk_i32 s19, 0x800
	s_waitcnt lgkmcnt(0)
	v_mov_b32_e32 v28, s9
	v_pk_mov_b32 v[20:21], v[76:77], v[76:77] op_sel:[0,1]
	v_pk_mov_b32 v[18:19], v[80:81], v[80:81] op_sel:[0,1]
	;; [unrolled: 1-line block ×9, first 2 shown]
.LBB142_19:                             ; =>This Inner Loop Header: Depth=1
	global_load_dword v29, v[26:27], off
	global_load_dwordx4 v[0:3], v[18:19], off offset:48
	global_load_dwordx4 v[8:11], v[18:19], off offset:32
	global_load_dwordx4 v[4:7], v[18:19], off offset:16
	global_load_dwordx4 v[12:15], v[18:19], off
	global_load_dwordx4 v[30:33], v[18:19], off offset:112
	global_load_dwordx4 v[34:37], v[18:19], off offset:96
	;; [unrolled: 1-line block ×4, first 2 shown]
	v_add_co_u32_e32 v18, vcc, s19, v18
	v_addc_co_u32_e32 v19, vcc, 0, v19, vcc
	s_waitcnt vmcnt(8)
	v_subrev_u32_e32 v29, s20, v29
	v_lshlrev_b32_e32 v46, 2, v29
	v_ashrrev_i32_e32 v47, 31, v46
	v_lshlrev_b64 v[46:47], 4, v[46:47]
	v_add_co_u32_e64 v58, s[2:3], s8, v46
	v_addc_co_u32_e64 v59, s[2:3], v28, v47, s[2:3]
	global_load_dwordx4 v[46:49], v[58:59], off
	global_load_dwordx4 v[50:53], v[58:59], off offset:16
	global_load_dwordx4 v[54:57], v[58:59], off offset:32
	;; [unrolled: 1-line block ×3, first 2 shown]
	v_add_co_u32_e64 v20, s[2:3], 16, v20
	v_addc_co_u32_e64 v21, s[2:3], 0, v21, s[2:3]
	v_add_co_u32_e64 v26, s[2:3], 64, v26
	v_addc_co_u32_e64 v27, s[2:3], 0, v27, s[2:3]
	v_add_co_u32_e64 v24, s[2:3], -4, v24
	v_addc_co_u32_e64 v25, s[2:3], -1, v25, s[2:3]
	v_cmp_eq_u64_e32 vcc, 0, v[24:25]
	s_or_b64 s[16:17], vcc, s[16:17]
	s_waitcnt vmcnt(3)
	v_fmac_f64_e32 v[92:93], v[12:13], v[46:47]
	v_fmac_f64_e32 v[88:89], 0, v[46:47]
	v_fmac_f64_e32 v[90:91], v[8:9], v[46:47]
	v_fmac_f64_e32 v[86:87], 0, v[46:47]
	v_fmac_f64_e32 v[84:85], v[38:39], v[46:47]
	v_fmac_f64_e32 v[82:83], 0, v[46:47]
	v_fmac_f64_e32 v[74:75], v[34:35], v[46:47]
	v_fmac_f64_e32 v[72:73], 0, v[46:47]
	v_fmac_f64_e32 v[92:93], 0x80000000, v[48:49]
	v_fmac_f64_e32 v[88:89], v[12:13], v[48:49]
	v_fmac_f64_e32 v[90:91], 0x80000000, v[48:49]
	v_fmac_f64_e32 v[86:87], v[8:9], v[48:49]
	v_fmac_f64_e32 v[84:85], 0x80000000, v[48:49]
	v_fmac_f64_e32 v[82:83], v[38:39], v[48:49]
	v_fmac_f64_e32 v[74:75], 0x80000000, v[48:49]
	v_fmac_f64_e32 v[72:73], v[34:35], v[48:49]
	s_waitcnt vmcnt(2)
	v_fmac_f64_e32 v[92:93], v[14:15], v[50:51]
	v_fmac_f64_e32 v[88:89], 0, v[50:51]
	v_fmac_f64_e32 v[90:91], v[10:11], v[50:51]
	v_fmac_f64_e32 v[86:87], 0, v[50:51]
	v_fmac_f64_e32 v[84:85], v[40:41], v[50:51]
	v_fmac_f64_e32 v[82:83], 0, v[50:51]
	v_fmac_f64_e32 v[74:75], v[36:37], v[50:51]
	v_fmac_f64_e32 v[72:73], 0, v[50:51]
	v_fmac_f64_e32 v[88:89], v[14:15], v[52:53]
	v_fmac_f64_e32 v[86:87], v[10:11], v[52:53]
	v_fmac_f64_e32 v[82:83], v[40:41], v[52:53]
	v_fmac_f64_e32 v[92:93], 0x80000000, v[52:53]
	v_fmac_f64_e32 v[90:91], 0x80000000, v[52:53]
	v_fmac_f64_e32 v[84:85], 0x80000000, v[52:53]
	v_fmac_f64_e32 v[74:75], 0x80000000, v[52:53]
	v_fmac_f64_e32 v[72:73], v[36:37], v[52:53]
	;; [unrolled: 17-line block ×4, first 2 shown]
	s_andn2_b64 exec, exec, s[16:17]
	s_cbranch_execnz .LBB142_19
; %bb.20:
	s_or_b64 exec, exec, s[16:17]
.LBB142_21:
	s_or_b64 exec, exec, s[14:15]
	v_cmp_lt_u64_e32 vcc, 47, v[22:23]
	s_and_saveexec_b64 s[14:15], vcc
	s_cbranch_execz .LBB142_25
; %bb.22:
	v_lshlrev_b64 v[0:1], 2, v[20:21]
	v_mov_b32_e32 v2, s13
	v_add_co_u32_e32 v0, vcc, s12, v0
	v_addc_co_u32_e32 v1, vcc, v1, v2, vcc
	v_add_co_u32_e32 v0, vcc, 0x80, v0
	v_addc_co_u32_e32 v1, vcc, 0, v1, vcc
	s_mov_b64 s[16:17], 0
	s_waitcnt lgkmcnt(0)
	v_mov_b32_e32 v4, s9
	s_movk_i32 s19, 0x1000
.LBB142_23:                             ; =>This Inner Loop Header: Depth=1
	global_load_dword v2, v[0:1], off offset:-128
	global_load_dwordx4 v[6:9], v[18:19], off offset:48
	global_load_dwordx4 v[10:13], v[18:19], off offset:32
	;; [unrolled: 1-line block ×3, first 2 shown]
	global_load_dwordx4 v[26:29], v[18:19], off
	s_waitcnt vmcnt(4)
	v_subrev_u32_e32 v2, s20, v2
	v_lshlrev_b32_e32 v2, 2, v2
	v_ashrrev_i32_e32 v3, 31, v2
	v_lshlrev_b64 v[2:3], 4, v[2:3]
	v_add_co_u32_e32 v2, vcc, s8, v2
	v_addc_co_u32_e32 v3, vcc, v4, v3, vcc
	global_load_dwordx4 v[30:33], v[2:3], off offset:48
	global_load_dwordx4 v[34:37], v[2:3], off offset:32
	global_load_dwordx4 v[38:41], v[2:3], off offset:16
	global_load_dwordx4 v[42:45], v[2:3], off
	s_waitcnt vmcnt(0)
	v_fmac_f64_e32 v[88:89], 0, v[42:43]
	v_fmac_f64_e32 v[86:87], 0, v[42:43]
	;; [unrolled: 1-line block ×30, first 2 shown]
	global_load_dwordx4 v[6:9], v[18:19], off offset:112
	global_load_dwordx4 v[10:13], v[18:19], off offset:96
	;; [unrolled: 1-line block ×4, first 2 shown]
	global_load_dword v2, v[0:1], off offset:-64
	v_fmac_f64_e32 v[82:83], 0, v[42:43]
	v_fmac_f64_e32 v[72:73], 0, v[42:43]
	;; [unrolled: 1-line block ×4, first 2 shown]
	s_waitcnt vmcnt(3)
	v_fmac_f64_e32 v[74:75], v[10:11], v[42:43]
	v_fmac_f64_e32 v[74:75], 0x80000000, v[44:45]
	s_waitcnt vmcnt(1)
	v_fmac_f64_e32 v[84:85], v[26:27], v[42:43]
	v_fmac_f64_e32 v[84:85], 0x80000000, v[44:45]
	;; [unrolled: 1-line block ×4, first 2 shown]
	s_waitcnt vmcnt(0)
	v_subrev_u32_e32 v2, s20, v2
	v_fmac_f64_e32 v[84:85], v[28:29], v[38:39]
	v_fmac_f64_e32 v[82:83], 0, v[38:39]
	;; [unrolled: 1-line block ×4, first 2 shown]
	v_lshlrev_b32_e32 v2, 2, v2
	v_fmac_f64_e32 v[84:85], 0x80000000, v[40:41]
	v_fmac_f64_e32 v[82:83], v[28:29], v[40:41]
	;; [unrolled: 1-line block ×4, first 2 shown]
	v_ashrrev_i32_e32 v3, 31, v2
	v_fmac_f64_e32 v[84:85], v[22:23], v[34:35]
	v_fmac_f64_e32 v[82:83], 0, v[34:35]
	;; [unrolled: 1-line block ×4, first 2 shown]
	v_lshlrev_b64 v[2:3], 4, v[2:3]
	v_fmac_f64_e32 v[84:85], 0x80000000, v[36:37]
	v_fmac_f64_e32 v[82:83], v[22:23], v[36:37]
	;; [unrolled: 1-line block ×4, first 2 shown]
	v_add_co_u32_e32 v2, vcc, s8, v2
	v_fmac_f64_e32 v[84:85], v[24:25], v[30:31]
	v_fmac_f64_e32 v[82:83], 0, v[30:31]
	;; [unrolled: 1-line block ×4, first 2 shown]
	v_addc_co_u32_e32 v3, vcc, v4, v3, vcc
	v_fmac_f64_e32 v[84:85], 0x80000000, v[32:33]
	v_fmac_f64_e32 v[82:83], v[24:25], v[32:33]
	;; [unrolled: 1-line block ×4, first 2 shown]
	global_load_dwordx4 v[6:9], v[18:19], off offset:2096
	global_load_dwordx4 v[10:13], v[18:19], off offset:2080
	;; [unrolled: 1-line block ×7, first 2 shown]
	global_load_dwordx4 v[42:45], v[2:3], off
	v_add_co_u32_e32 v2, vcc, s19, v18
	v_addc_co_u32_e32 v3, vcc, 0, v19, vcc
	s_waitcnt vmcnt(0)
	v_fmac_f64_e32 v[88:89], 0, v[42:43]
	v_fmac_f64_e32 v[86:87], 0, v[42:43]
	;; [unrolled: 1-line block ×30, first 2 shown]
	global_load_dwordx4 v[6:9], v[18:19], off offset:2160
	global_load_dwordx4 v[10:13], v[18:19], off offset:2144
	global_load_dwordx4 v[22:25], v[18:19], off offset:2128
	global_load_dwordx4 v[26:29], v[18:19], off offset:2112
	global_load_dword v5, v[0:1], off
	v_fmac_f64_e32 v[82:83], 0, v[42:43]
	v_fmac_f64_e32 v[72:73], 0, v[42:43]
	;; [unrolled: 1-line block ×4, first 2 shown]
	s_waitcnt vmcnt(3)
	v_fmac_f64_e32 v[74:75], v[10:11], v[42:43]
	v_fmac_f64_e32 v[74:75], 0x80000000, v[44:45]
	s_waitcnt vmcnt(1)
	v_fmac_f64_e32 v[84:85], v[26:27], v[42:43]
	v_fmac_f64_e32 v[84:85], 0x80000000, v[44:45]
	;; [unrolled: 1-line block ×4, first 2 shown]
	s_waitcnt vmcnt(0)
	v_subrev_u32_e32 v5, s20, v5
	v_fmac_f64_e32 v[84:85], v[28:29], v[38:39]
	v_fmac_f64_e32 v[82:83], 0, v[38:39]
	v_fmac_f64_e32 v[74:75], v[12:13], v[38:39]
	v_fmac_f64_e32 v[72:73], 0, v[38:39]
	v_lshlrev_b32_e32 v14, 2, v5
	v_fmac_f64_e32 v[84:85], 0x80000000, v[40:41]
	v_fmac_f64_e32 v[82:83], v[28:29], v[40:41]
	;; [unrolled: 1-line block ×4, first 2 shown]
	v_ashrrev_i32_e32 v15, 31, v14
	v_fmac_f64_e32 v[84:85], v[22:23], v[34:35]
	v_fmac_f64_e32 v[82:83], 0, v[34:35]
	v_fmac_f64_e32 v[74:75], v[6:7], v[34:35]
	v_fmac_f64_e32 v[72:73], 0, v[34:35]
	v_lshlrev_b64 v[14:15], 4, v[14:15]
	v_fmac_f64_e32 v[84:85], 0x80000000, v[36:37]
	v_fmac_f64_e32 v[82:83], v[22:23], v[36:37]
	;; [unrolled: 1-line block ×4, first 2 shown]
	v_add_co_u32_e32 v14, vcc, s8, v14
	v_fmac_f64_e32 v[84:85], v[24:25], v[30:31]
	v_fmac_f64_e32 v[82:83], 0, v[30:31]
	;; [unrolled: 1-line block ×4, first 2 shown]
	v_addc_co_u32_e32 v15, vcc, v4, v15, vcc
	v_fmac_f64_e32 v[84:85], 0x80000000, v[32:33]
	v_fmac_f64_e32 v[82:83], v[24:25], v[32:33]
	;; [unrolled: 1-line block ×4, first 2 shown]
	global_load_dwordx4 v[6:9], v[2:3], off
	global_load_dwordx4 v[10:13], v[2:3], off offset:48
	global_load_dwordx4 v[22:25], v[2:3], off offset:32
	;; [unrolled: 1-line block ×6, first 2 shown]
	global_load_dwordx4 v[42:45], v[14:15], off
	s_waitcnt vmcnt(0)
	v_fmac_f64_e32 v[88:89], 0, v[42:43]
	v_fmac_f64_e32 v[86:87], 0, v[42:43]
	;; [unrolled: 1-line block ×30, first 2 shown]
	global_load_dwordx4 v[6:9], v[2:3], off offset:112
	global_load_dwordx4 v[10:13], v[2:3], off offset:96
	;; [unrolled: 1-line block ×4, first 2 shown]
	global_load_dword v5, v[0:1], off offset:64
	v_fmac_f64_e32 v[82:83], 0, v[42:43]
	v_fmac_f64_e32 v[72:73], 0, v[42:43]
	;; [unrolled: 1-line block ×4, first 2 shown]
	s_waitcnt vmcnt(3)
	v_fmac_f64_e32 v[74:75], v[10:11], v[42:43]
	v_fmac_f64_e32 v[74:75], 0x80000000, v[44:45]
	s_waitcnt vmcnt(1)
	v_fmac_f64_e32 v[84:85], v[26:27], v[42:43]
	v_fmac_f64_e32 v[84:85], 0x80000000, v[44:45]
	;; [unrolled: 1-line block ×4, first 2 shown]
	s_waitcnt vmcnt(0)
	v_subrev_u32_e32 v5, s20, v5
	v_fmac_f64_e32 v[84:85], v[28:29], v[38:39]
	v_fmac_f64_e32 v[82:83], 0, v[38:39]
	;; [unrolled: 1-line block ×4, first 2 shown]
	v_lshlrev_b32_e32 v14, 2, v5
	v_fmac_f64_e32 v[84:85], 0x80000000, v[40:41]
	v_fmac_f64_e32 v[82:83], v[28:29], v[40:41]
	;; [unrolled: 1-line block ×4, first 2 shown]
	v_ashrrev_i32_e32 v15, 31, v14
	v_fmac_f64_e32 v[84:85], v[22:23], v[34:35]
	v_fmac_f64_e32 v[82:83], 0, v[34:35]
	v_fmac_f64_e32 v[74:75], v[6:7], v[34:35]
	v_fmac_f64_e32 v[72:73], 0, v[34:35]
	v_lshlrev_b64 v[14:15], 4, v[14:15]
	v_fmac_f64_e32 v[84:85], 0x80000000, v[36:37]
	v_fmac_f64_e32 v[82:83], v[22:23], v[36:37]
	;; [unrolled: 1-line block ×4, first 2 shown]
	v_add_co_u32_e32 v14, vcc, s8, v14
	v_fmac_f64_e32 v[84:85], v[24:25], v[30:31]
	v_fmac_f64_e32 v[82:83], 0, v[30:31]
	;; [unrolled: 1-line block ×4, first 2 shown]
	v_addc_co_u32_e32 v15, vcc, v4, v15, vcc
	v_fmac_f64_e32 v[84:85], 0x80000000, v[32:33]
	v_fmac_f64_e32 v[82:83], v[24:25], v[32:33]
	;; [unrolled: 1-line block ×4, first 2 shown]
	global_load_dwordx4 v[6:9], v[2:3], off offset:2096
	global_load_dwordx4 v[10:13], v[2:3], off offset:2080
	;; [unrolled: 1-line block ×7, first 2 shown]
	global_load_dwordx4 v[42:45], v[14:15], off
	v_add_co_u32_e32 v20, vcc, 64, v20
	v_addc_co_u32_e32 v21, vcc, 0, v21, vcc
	v_add_co_u32_e32 v0, vcc, 0x100, v0
	v_addc_co_u32_e32 v1, vcc, 0, v1, vcc
	v_cmp_ge_i64_e64 s[2:3], v[20:21], v[78:79]
	v_add_co_u32_e32 v18, vcc, 0x2000, v18
	v_addc_co_u32_e32 v19, vcc, 0, v19, vcc
	s_or_b64 s[16:17], s[2:3], s[16:17]
	s_waitcnt vmcnt(0)
	v_fmac_f64_e32 v[88:89], 0, v[42:43]
	v_fmac_f64_e32 v[86:87], 0, v[42:43]
	;; [unrolled: 1-line block ×30, first 2 shown]
	global_load_dwordx4 v[6:9], v[2:3], off offset:2160
	global_load_dwordx4 v[10:13], v[2:3], off offset:2144
	;; [unrolled: 1-line block ×4, first 2 shown]
	v_fmac_f64_e32 v[82:83], 0, v[42:43]
	v_fmac_f64_e32 v[72:73], 0, v[42:43]
	;; [unrolled: 1-line block ×4, first 2 shown]
	s_waitcnt vmcnt(2)
	v_fmac_f64_e32 v[74:75], v[10:11], v[42:43]
	v_fmac_f64_e32 v[74:75], 0x80000000, v[44:45]
	s_waitcnt vmcnt(0)
	v_fmac_f64_e32 v[84:85], v[26:27], v[42:43]
	v_fmac_f64_e32 v[84:85], 0x80000000, v[44:45]
	;; [unrolled: 1-line block ×28, first 2 shown]
	s_andn2_b64 exec, exec, s[16:17]
	s_cbranch_execnz .LBB142_23
; %bb.24:
	s_or_b64 exec, exec, s[16:17]
.LBB142_25:
	s_or_b64 exec, exec, s[14:15]
.LBB142_26:
	s_or_b64 exec, exec, s[10:11]
	s_andn2_b64 vcc, exec, s[4:5]
	s_cbranch_vccz .LBB142_28
	s_branch .LBB142_39
.LBB142_27:
                                        ; implicit-def: $vgpr88_vgpr89
                                        ; implicit-def: $vgpr92_vgpr93
                                        ; implicit-def: $vgpr86_vgpr87
                                        ; implicit-def: $vgpr90_vgpr91
                                        ; implicit-def: $vgpr82_vgpr83
                                        ; implicit-def: $vgpr84_vgpr85
                                        ; implicit-def: $vgpr72_vgpr73
                                        ; implicit-def: $vgpr74_vgpr75
.LBB142_28:
	v_pk_mov_b32 v[88:89], 0, 0
	v_pk_mov_b32 v[92:93], v[88:89], v[88:89] op_sel:[0,1]
	v_pk_mov_b32 v[86:87], v[88:89], v[88:89] op_sel:[0,1]
	;; [unrolled: 1-line block ×7, first 2 shown]
	s_and_saveexec_b64 s[10:11], s[0:1]
	s_cbranch_execz .LBB142_38
; %bb.29:
	v_or_b32_e32 v0, 16, v70
	v_mov_b32_e32 v1, s18
	v_subrev_co_u32_e32 v0, vcc, s20, v0
	v_subb_co_u32_e32 v1, vcc, 0, v1, vcc
	v_add_co_u32_e32 v0, vcc, v0, v16
	v_addc_co_u32_e32 v1, vcc, v1, v17, vcc
	v_cmp_gt_i64_e32 vcc, v[0:1], v[78:79]
	v_cndmask_b32_e32 v1, v79, v1, vcc
	v_cndmask_b32_e32 v0, v78, v0, vcc
	v_mov_b32_e32 v4, s18
	v_sub_co_u32_e32 v5, vcc, s20, v70
	v_not_b32_e32 v3, v16
	v_subbrev_co_u32_e32 v4, vcc, 0, v4, vcc
	v_not_b32_e32 v2, v17
	v_add_co_u32_e32 v3, vcc, v5, v3
	v_addc_co_u32_e32 v2, vcc, v4, v2, vcc
	v_add_co_u32_e32 v16, vcc, v3, v0
	v_lshrrev_b32_e32 v0, 4, v16
	v_add_u32_e32 v0, 1, v0
	v_addc_co_u32_e32 v17, vcc, v2, v1, vcc
	v_and_b32_e32 v0, 3, v0
	v_pk_mov_b32 v[74:75], 0, 0
	v_cmp_ne_u32_e32 vcc, 0, v0
	s_mov_b64 s[4:5], 0
	v_pk_mov_b32 v[72:73], v[74:75], v[74:75] op_sel:[0,1]
	v_pk_mov_b32 v[84:85], v[74:75], v[74:75] op_sel:[0,1]
	;; [unrolled: 1-line block ×7, first 2 shown]
	s_and_saveexec_b64 s[2:3], vcc
	s_cbranch_execz .LBB142_33
; %bb.30:
	v_lshlrev_b64 v[2:3], 2, v[76:77]
	v_mov_b32_e32 v1, s13
	v_add_co_u32_e32 v20, vcc, s12, v2
	v_pk_mov_b32 v[88:89], 0, 0
	v_mov_b32_e32 v19, 0
	v_addc_co_u32_e32 v21, vcc, v1, v3, vcc
	v_lshlrev_b32_e32 v18, 2, v0
	s_movk_i32 s14, 0x800
	s_waitcnt lgkmcnt(0)
	v_mov_b32_e32 v22, s9
	v_pk_mov_b32 v[92:93], v[88:89], v[88:89] op_sel:[0,1]
	v_pk_mov_b32 v[86:87], v[88:89], v[88:89] op_sel:[0,1]
	;; [unrolled: 1-line block ×7, first 2 shown]
.LBB142_31:                             ; =>This Inner Loop Header: Depth=1
	global_load_dword v23, v[20:21], off
	global_load_dwordx4 v[0:3], v[80:81], off offset:48
	global_load_dwordx4 v[4:7], v[80:81], off offset:32
	;; [unrolled: 1-line block ×3, first 2 shown]
	global_load_dwordx4 v[12:15], v[80:81], off
	global_load_dwordx4 v[24:27], v[80:81], off offset:112
	global_load_dwordx4 v[28:31], v[80:81], off offset:96
	;; [unrolled: 1-line block ×4, first 2 shown]
	v_add_co_u32_e64 v76, s[0:1], 16, v76
	v_addc_co_u32_e64 v77, s[0:1], 0, v77, s[0:1]
	v_add_co_u32_e64 v20, s[0:1], 64, v20
	v_addc_co_u32_e64 v21, s[0:1], 0, v21, s[0:1]
	v_add_co_u32_e64 v18, s[0:1], -4, v18
	v_addc_co_u32_e64 v19, s[0:1], -1, v19, s[0:1]
	s_waitcnt vmcnt(8)
	v_subrev_u32_e32 v23, s20, v23
	v_lshlrev_b32_e32 v40, 2, v23
	v_ashrrev_i32_e32 v41, 31, v40
	v_lshlrev_b64 v[40:41], 4, v[40:41]
	v_add_co_u32_e32 v56, vcc, s8, v40
	v_addc_co_u32_e32 v57, vcc, v22, v41, vcc
	global_load_dwordx4 v[40:43], v[56:57], off
	global_load_dwordx4 v[44:47], v[56:57], off offset:16
	global_load_dwordx4 v[48:51], v[56:57], off offset:32
	;; [unrolled: 1-line block ×3, first 2 shown]
	v_add_co_u32_e32 v80, vcc, s14, v80
	v_addc_co_u32_e32 v81, vcc, 0, v81, vcc
	v_cmp_eq_u64_e32 vcc, 0, v[18:19]
	s_or_b64 s[4:5], vcc, s[4:5]
	s_waitcnt vmcnt(3)
	v_fmac_f64_e32 v[92:93], v[12:13], v[40:41]
	v_fmac_f64_e32 v[88:89], 0, v[40:41]
	v_fmac_f64_e32 v[90:91], v[14:15], v[40:41]
	v_fmac_f64_e32 v[86:87], 0, v[40:41]
	v_fmac_f64_e32 v[84:85], v[8:9], v[40:41]
	v_fmac_f64_e32 v[82:83], 0, v[40:41]
	v_fmac_f64_e32 v[74:75], v[10:11], v[40:41]
	v_fmac_f64_e32 v[72:73], 0, v[40:41]
	v_fmac_f64_e32 v[92:93], 0x80000000, v[42:43]
	v_fmac_f64_e32 v[88:89], v[12:13], v[42:43]
	v_fmac_f64_e32 v[90:91], 0x80000000, v[42:43]
	v_fmac_f64_e32 v[86:87], v[14:15], v[42:43]
	v_fmac_f64_e32 v[84:85], 0x80000000, v[42:43]
	v_fmac_f64_e32 v[82:83], v[8:9], v[42:43]
	v_fmac_f64_e32 v[74:75], 0x80000000, v[42:43]
	v_fmac_f64_e32 v[72:73], v[10:11], v[42:43]
	s_waitcnt vmcnt(2)
	v_fmac_f64_e32 v[92:93], v[4:5], v[44:45]
	v_fmac_f64_e32 v[88:89], 0, v[44:45]
	v_fmac_f64_e32 v[90:91], v[6:7], v[44:45]
	v_fmac_f64_e32 v[86:87], 0, v[44:45]
	v_fmac_f64_e32 v[84:85], v[0:1], v[44:45]
	v_fmac_f64_e32 v[82:83], 0, v[44:45]
	v_fmac_f64_e32 v[74:75], v[2:3], v[44:45]
	v_fmac_f64_e32 v[72:73], 0, v[44:45]
	v_fmac_f64_e32 v[92:93], 0x80000000, v[46:47]
	v_fmac_f64_e32 v[88:89], v[4:5], v[46:47]
	v_fmac_f64_e32 v[90:91], 0x80000000, v[46:47]
	v_fmac_f64_e32 v[86:87], v[6:7], v[46:47]
	v_fmac_f64_e32 v[84:85], 0x80000000, v[46:47]
	v_fmac_f64_e32 v[82:83], v[0:1], v[46:47]
	v_fmac_f64_e32 v[74:75], 0x80000000, v[46:47]
	v_fmac_f64_e32 v[72:73], v[2:3], v[46:47]
	;; [unrolled: 17-line block ×4, first 2 shown]
	s_andn2_b64 exec, exec, s[4:5]
	s_cbranch_execnz .LBB142_31
; %bb.32:
	s_or_b64 exec, exec, s[4:5]
.LBB142_33:
	s_or_b64 exec, exec, s[2:3]
	v_cmp_lt_u64_e32 vcc, 47, v[16:17]
	s_and_saveexec_b64 s[14:15], vcc
	s_cbranch_execz .LBB142_37
; %bb.34:
	v_lshlrev_b64 v[0:1], 2, v[76:77]
	v_mov_b32_e32 v2, s13
	v_add_co_u32_e32 v0, vcc, s12, v0
	v_addc_co_u32_e32 v1, vcc, v1, v2, vcc
	v_add_co_u32_e32 v94, vcc, 0x80, v0
	v_addc_co_u32_e32 v95, vcc, 0, v1, vcc
	s_mov_b64 s[12:13], 0
	s_waitcnt lgkmcnt(0)
	v_mov_b32_e32 v69, s9
	s_movk_i32 s9, 0x1000
.LBB142_35:                             ; =>This Inner Loop Header: Depth=1
	global_load_dword v52, v[94:95], off offset:-128
	global_load_dwordx4 v[32:35], v[80:81], off offset:48
	global_load_dwordx4 v[40:43], v[80:81], off offset:32
	;; [unrolled: 1-line block ×3, first 2 shown]
	global_load_dwordx4 v[48:51], v[80:81], off
	global_load_dwordx4 v[4:7], v[80:81], off offset:112
	global_load_dwordx4 v[8:11], v[80:81], off offset:96
	;; [unrolled: 1-line block ×9, first 2 shown]
	v_add_co_u32_e64 v96, s[2:3], s9, v80
	v_add_co_u32_e64 v76, s[4:5], 64, v76
	s_waitcnt vmcnt(13)
	v_subrev_u32_e32 v52, s20, v52
	v_lshlrev_b32_e32 v52, 2, v52
	v_ashrrev_i32_e32 v53, 31, v52
	v_lshlrev_b64 v[52:53], 4, v[52:53]
	v_add_co_u32_e32 v56, vcc, s8, v52
	v_addc_co_u32_e32 v57, vcc, v69, v53, vcc
	global_load_dwordx4 v[52:55], v[56:57], off
	s_waitcnt vmcnt(0)
	v_fmac_f64_e32 v[88:89], 0, v[52:53]
	v_fmac_f64_e32 v[86:87], 0, v[52:53]
	;; [unrolled: 1-line block ×8, first 2 shown]
	global_load_dwordx4 v[48:51], v[80:81], off offset:2144
	global_load_dword v58, v[94:95], off offset:-64
	global_load_dword v98, v[94:95], off
	v_fmac_f64_e32 v[84:85], v[44:45], v[52:53]
	v_fmac_f64_e32 v[74:75], v[46:47], v[52:53]
	;; [unrolled: 1-line block ×4, first 2 shown]
	global_load_dwordx4 v[44:47], v[56:57], off offset:16
	v_fmac_f64_e32 v[92:93], 0x80000000, v[54:55]
	v_fmac_f64_e32 v[90:91], 0x80000000, v[54:55]
	;; [unrolled: 1-line block ×4, first 2 shown]
	global_load_dwordx4 v[52:55], v[56:57], off offset:32
	global_load_dword v71, v[94:95], off offset:64
	v_add_co_u32_e32 v94, vcc, 0x100, v94
	s_mov_b64 s[0:1], vcc
	v_addc_co_u32_e64 v97, vcc, 0, v81, s[2:3]
	global_load_dwordx4 v[100:103], v[96:97], off
	v_addc_co_u32_e64 v77, vcc, 0, v77, s[4:5]
	v_addc_co_u32_e64 v95, s[0:1], 0, v95, s[0:1]
	v_cmp_ge_i64_e64 s[0:1], v[76:77], v[78:79]
	s_or_b64 s[12:13], s[0:1], s[12:13]
	s_waitcnt vmcnt(3)
	v_fmac_f64_e32 v[82:83], 0, v[44:45]
	v_fmac_f64_e32 v[72:73], 0, v[44:45]
	;; [unrolled: 1-line block ×8, first 2 shown]
	s_waitcnt vmcnt(2)
	v_fmac_f64_e32 v[82:83], 0, v[52:53]
	v_fmac_f64_e32 v[72:73], 0, v[52:53]
	;; [unrolled: 1-line block ×6, first 2 shown]
	global_load_dwordx4 v[20:23], v[56:57], off offset:48
	v_fmac_f64_e32 v[84:85], 0x80000000, v[54:55]
	v_fmac_f64_e32 v[92:93], v[40:41], v[44:45]
	v_fmac_f64_e32 v[88:89], 0, v[44:45]
	v_fmac_f64_e32 v[90:91], v[42:43], v[44:45]
	v_fmac_f64_e32 v[86:87], 0, v[44:45]
	v_fmac_f64_e32 v[88:89], v[40:41], v[46:47]
	v_fmac_f64_e32 v[86:87], v[42:43], v[46:47]
	v_fmac_f64_e32 v[92:93], 0x80000000, v[46:47]
	v_fmac_f64_e32 v[90:91], 0x80000000, v[46:47]
	v_fmac_f64_e32 v[92:93], v[28:29], v[52:53]
	v_fmac_f64_e32 v[88:89], 0, v[52:53]
	v_fmac_f64_e32 v[90:91], v[30:31], v[52:53]
	v_fmac_f64_e32 v[86:87], 0, v[52:53]
	v_fmac_f64_e32 v[88:89], v[28:29], v[54:55]
	v_fmac_f64_e32 v[86:87], v[30:31], v[54:55]
	v_fmac_f64_e32 v[92:93], 0x80000000, v[54:55]
	v_fmac_f64_e32 v[90:91], 0x80000000, v[54:55]
	v_fmac_f64_e32 v[74:75], 0x80000000, v[54:55]
	global_load_dwordx4 v[52:55], v[96:97], off offset:16
	global_load_dwordx4 v[40:43], v[80:81], off offset:2128
	;; [unrolled: 1-line block ×5, first 2 shown]
	v_add_co_u32_e32 v80, vcc, 0x2000, v80
	v_addc_co_u32_e32 v81, vcc, 0, v81, vcc
	s_waitcnt vmcnt(5)
	v_fmac_f64_e32 v[82:83], 0, v[20:21]
	v_fmac_f64_e32 v[84:85], v[4:5], v[20:21]
	;; [unrolled: 1-line block ×3, first 2 shown]
	v_subrev_u32_e32 v4, s20, v58
	v_lshlrev_b32_e32 v4, 2, v4
	v_ashrrev_i32_e32 v5, 31, v4
	v_lshlrev_b64 v[4:5], 4, v[4:5]
	v_add_co_u32_e64 v104, s[2:3], s8, v4
	v_fmac_f64_e32 v[92:93], v[8:9], v[20:21]
	v_fmac_f64_e32 v[88:89], 0, v[20:21]
	;; [unrolled: 1-line block ×6, first 2 shown]
	v_addc_co_u32_e64 v105, s[2:3], v69, v5, s[2:3]
	v_fmac_f64_e32 v[88:89], v[8:9], v[22:23]
	v_fmac_f64_e32 v[86:87], v[10:11], v[22:23]
	;; [unrolled: 1-line block ×7, first 2 shown]
	global_load_dwordx4 v[20:23], v[104:105], off
	global_load_dwordx4 v[4:7], v[96:97], off offset:112
	global_load_dwordx4 v[8:11], v[96:97], off offset:96
	;; [unrolled: 1-line block ×3, first 2 shown]
	s_waitcnt vmcnt(3)
	v_fmac_f64_e32 v[92:93], v[36:37], v[20:21]
	v_fmac_f64_e32 v[88:89], 0, v[20:21]
	;; [unrolled: 1-line block ×16, first 2 shown]
	global_load_dwordx4 v[20:23], v[104:105], off offset:16
	global_load_dwordx4 v[36:39], v[96:97], off offset:80
	s_waitcnt vmcnt(1)
	v_fmac_f64_e32 v[86:87], 0, v[20:21]
	v_fmac_f64_e32 v[92:93], v[16:17], v[20:21]
	v_fmac_f64_e32 v[88:89], 0, v[20:21]
	v_fmac_f64_e32 v[90:91], v[18:19], v[20:21]
	v_fmac_f64_e32 v[86:87], v[18:19], v[22:23]
	v_fmac_f64_e32 v[84:85], v[0:1], v[20:21]
	v_fmac_f64_e32 v[82:83], 0, v[20:21]
	v_fmac_f64_e32 v[74:75], v[2:3], v[20:21]
	v_fmac_f64_e32 v[72:73], 0, v[20:21]
	global_load_dwordx4 v[18:21], v[104:105], off offset:32
	v_fmac_f64_e32 v[88:89], v[16:17], v[22:23]
	v_fmac_f64_e32 v[82:83], v[0:1], v[22:23]
	;; [unrolled: 1-line block ×7, first 2 shown]
	global_load_dwordx4 v[0:3], v[96:97], off offset:2096
	s_waitcnt vmcnt(1)
	v_fmac_f64_e32 v[92:93], v[32:33], v[18:19]
	v_fmac_f64_e32 v[88:89], 0, v[18:19]
	;; [unrolled: 1-line block ×8, first 2 shown]
	global_load_dwordx4 v[16:19], v[96:97], off offset:2080
	v_fmac_f64_e32 v[88:89], v[32:33], v[20:21]
	v_fmac_f64_e32 v[86:87], v[34:35], v[20:21]
	v_fmac_f64_e32 v[82:83], v[40:41], v[20:21]
	v_fmac_f64_e32 v[72:73], v[42:43], v[20:21]
	v_fmac_f64_e32 v[92:93], 0x80000000, v[20:21]
	v_fmac_f64_e32 v[90:91], 0x80000000, v[20:21]
	v_fmac_f64_e32 v[84:85], 0x80000000, v[20:21]
	v_fmac_f64_e32 v[74:75], 0x80000000, v[20:21]
	global_load_dwordx4 v[20:23], v[96:97], off offset:2064
	global_load_dwordx4 v[32:35], v[104:105], off offset:48
	v_subrev_u32_e32 v40, s20, v98
	global_load_dwordx4 v[24:27], v[96:97], off offset:2048
	s_waitcnt vmcnt(1)
	v_fmac_f64_e32 v[82:83], 0, v[32:33]
	v_fmac_f64_e32 v[84:85], v[12:13], v[32:33]
	;; [unrolled: 1-line block ×3, first 2 shown]
	v_lshlrev_b32_e32 v12, 2, v40
	v_ashrrev_i32_e32 v13, 31, v12
	v_lshlrev_b64 v[12:13], 4, v[12:13]
	v_add_co_u32_e64 v98, s[2:3], s8, v12
	v_addc_co_u32_e64 v99, s[2:3], v69, v13, s[2:3]
	global_load_dwordx4 v[40:43], v[98:99], off
	v_fmac_f64_e32 v[88:89], 0, v[32:33]
	v_fmac_f64_e32 v[86:87], 0, v[32:33]
	v_fmac_f64_e32 v[92:93], v[48:49], v[32:33]
	v_fmac_f64_e32 v[90:91], v[50:51], v[32:33]
	v_fmac_f64_e32 v[88:89], v[48:49], v[34:35]
	v_fmac_f64_e32 v[86:87], v[50:51], v[34:35]
	global_load_dwordx4 v[48:51], v[98:99], off offset:16
	v_fmac_f64_e32 v[72:73], 0, v[32:33]
	v_fmac_f64_e32 v[74:75], v[14:15], v[32:33]
	;; [unrolled: 1-line block ×7, first 2 shown]
	global_load_dwordx4 v[32:35], v[96:97], off offset:2144
	global_load_dwordx4 v[12:15], v[96:97], off offset:2160
	s_waitcnt vmcnt(3)
	v_fmac_f64_e32 v[82:83], 0, v[40:41]
	v_fmac_f64_e32 v[72:73], 0, v[40:41]
	;; [unrolled: 1-line block ×8, first 2 shown]
	s_waitcnt vmcnt(2)
	v_fmac_f64_e32 v[82:83], 0, v[48:49]
	v_fmac_f64_e32 v[72:73], 0, v[48:49]
	;; [unrolled: 1-line block ×6, first 2 shown]
	global_load_dwordx4 v[28:31], v[98:99], off offset:32
	v_fmac_f64_e32 v[88:89], 0, v[40:41]
	v_fmac_f64_e32 v[92:93], v[100:101], v[40:41]
	;; [unrolled: 1-line block ×7, first 2 shown]
	v_subrev_u32_e32 v44, s20, v71
	v_fmac_f64_e32 v[90:91], v[102:103], v[40:41]
	v_fmac_f64_e32 v[86:87], 0, v[40:41]
	v_lshlrev_b32_e32 v44, 2, v44
	v_fmac_f64_e32 v[86:87], v[102:103], v[42:43]
	v_fmac_f64_e32 v[90:91], 0x80000000, v[42:43]
	v_ashrrev_i32_e32 v45, 31, v44
	v_fmac_f64_e32 v[90:91], v[46:47], v[48:49]
	v_fmac_f64_e32 v[86:87], 0, v[48:49]
	v_lshlrev_b64 v[44:45], 4, v[44:45]
	v_fmac_f64_e32 v[86:87], v[46:47], v[50:51]
	v_add_co_u32_e64 v100, s[2:3], s8, v44
	v_fmac_f64_e32 v[92:93], 0x80000000, v[50:51]
	v_fmac_f64_e32 v[90:91], 0x80000000, v[50:51]
	;; [unrolled: 1-line block ×4, first 2 shown]
	global_load_dwordx4 v[48:51], v[98:99], off offset:48
	v_addc_co_u32_e64 v101, s[2:3], v69, v45, s[2:3]
	global_load_dwordx4 v[52:55], v[100:101], off
	global_load_dwordx4 v[40:43], v[96:97], off offset:2128
	global_load_dwordx4 v[44:47], v[96:97], off offset:2112
	s_waitcnt vmcnt(4)
	v_fmac_f64_e32 v[82:83], 0, v[28:29]
	v_fmac_f64_e32 v[72:73], 0, v[28:29]
	;; [unrolled: 1-line block ×6, first 2 shown]
	global_load_dwordx4 v[36:39], v[100:101], off offset:16
	v_fmac_f64_e32 v[92:93], v[56:57], v[28:29]
	v_fmac_f64_e32 v[88:89], 0, v[28:29]
	;; [unrolled: 1-line block ×10, first 2 shown]
	global_load_dwordx4 v[28:31], v[100:101], off offset:32
	global_load_dwordx4 v[56:59], v[100:101], off offset:48
	s_waitcnt vmcnt(6)
	v_fmac_f64_e32 v[92:93], v[8:9], v[48:49]
	v_fmac_f64_e32 v[88:89], 0, v[48:49]
	v_fmac_f64_e32 v[90:91], v[10:11], v[48:49]
	v_fmac_f64_e32 v[86:87], 0, v[48:49]
	v_fmac_f64_e32 v[84:85], v[4:5], v[48:49]
	v_fmac_f64_e32 v[82:83], 0, v[48:49]
	v_fmac_f64_e32 v[74:75], v[6:7], v[48:49]
	v_fmac_f64_e32 v[72:73], 0, v[48:49]
	v_fmac_f64_e32 v[92:93], 0x80000000, v[50:51]
	v_fmac_f64_e32 v[88:89], v[8:9], v[50:51]
	v_fmac_f64_e32 v[90:91], 0x80000000, v[50:51]
	v_fmac_f64_e32 v[86:87], v[10:11], v[50:51]
	v_fmac_f64_e32 v[84:85], 0x80000000, v[50:51]
	v_fmac_f64_e32 v[82:83], v[4:5], v[50:51]
	v_fmac_f64_e32 v[74:75], 0x80000000, v[50:51]
	v_fmac_f64_e32 v[72:73], v[6:7], v[50:51]
	s_waitcnt vmcnt(5)
	v_fmac_f64_e32 v[92:93], v[24:25], v[52:53]
	v_fmac_f64_e32 v[88:89], 0, v[52:53]
	v_fmac_f64_e32 v[90:91], v[26:27], v[52:53]
	v_fmac_f64_e32 v[86:87], 0, v[52:53]
	v_fmac_f64_e32 v[84:85], v[20:21], v[52:53]
	v_fmac_f64_e32 v[82:83], 0, v[52:53]
	v_fmac_f64_e32 v[74:75], v[22:23], v[52:53]
	v_fmac_f64_e32 v[72:73], 0, v[52:53]
	v_fmac_f64_e32 v[92:93], 0x80000000, v[54:55]
	v_fmac_f64_e32 v[88:89], v[24:25], v[54:55]
	v_fmac_f64_e32 v[90:91], 0x80000000, v[54:55]
	v_fmac_f64_e32 v[86:87], v[26:27], v[54:55]
	v_fmac_f64_e32 v[84:85], 0x80000000, v[54:55]
	v_fmac_f64_e32 v[82:83], v[20:21], v[54:55]
	v_fmac_f64_e32 v[74:75], 0x80000000, v[54:55]
	v_fmac_f64_e32 v[72:73], v[22:23], v[54:55]
	;; [unrolled: 17-line block ×5, first 2 shown]
	s_andn2_b64 exec, exec, s[12:13]
	s_cbranch_execnz .LBB142_35
; %bb.36:
	s_or_b64 exec, exec, s[12:13]
.LBB142_37:
	s_or_b64 exec, exec, s[14:15]
.LBB142_38:
	s_or_b64 exec, exec, s[10:11]
.LBB142_39:
	v_mov_b32_dpp v0, v92 row_shr:1 row_mask:0xf bank_mask:0xf
	v_mov_b32_dpp v1, v93 row_shr:1 row_mask:0xf bank_mask:0xf
	v_mov_b32_dpp v4, v88 row_shr:1 row_mask:0xf bank_mask:0xf
	v_mov_b32_dpp v5, v89 row_shr:1 row_mask:0xf bank_mask:0xf
	v_mov_b32_dpp v8, v90 row_shr:1 row_mask:0xf bank_mask:0xf
	v_mov_b32_dpp v9, v91 row_shr:1 row_mask:0xf bank_mask:0xf
	v_mov_b32_dpp v12, v86 row_shr:1 row_mask:0xf bank_mask:0xf
	v_mov_b32_dpp v13, v87 row_shr:1 row_mask:0xf bank_mask:0xf
	v_mov_b32_dpp v16, v84 row_shr:1 row_mask:0xf bank_mask:0xf
	v_mov_b32_dpp v17, v85 row_shr:1 row_mask:0xf bank_mask:0xf
	v_mov_b32_dpp v20, v82 row_shr:1 row_mask:0xf bank_mask:0xf
	v_mov_b32_dpp v21, v83 row_shr:1 row_mask:0xf bank_mask:0xf
	v_mov_b32_dpp v24, v74 row_shr:1 row_mask:0xf bank_mask:0xf
	v_mov_b32_dpp v25, v75 row_shr:1 row_mask:0xf bank_mask:0xf
	v_mov_b32_dpp v28, v72 row_shr:1 row_mask:0xf bank_mask:0xf
	v_mov_b32_dpp v29, v73 row_shr:1 row_mask:0xf bank_mask:0xf
	v_add_f64 v[0:1], v[92:93], v[0:1]
	v_add_f64 v[4:5], v[88:89], v[4:5]
	v_add_f64 v[8:9], v[90:91], v[8:9]
	v_add_f64 v[12:13], v[86:87], v[12:13]
	v_add_f64 v[16:17], v[84:85], v[16:17]
	v_add_f64 v[20:21], v[82:83], v[20:21]
	v_add_f64 v[24:25], v[74:75], v[24:25]
	v_add_f64 v[28:29], v[72:73], v[28:29]
	v_mov_b32_dpp v2, v0 row_shr:2 row_mask:0xf bank_mask:0xf
	v_mov_b32_dpp v3, v1 row_shr:2 row_mask:0xf bank_mask:0xf
	v_mov_b32_dpp v6, v4 row_shr:2 row_mask:0xf bank_mask:0xf
	v_mov_b32_dpp v7, v5 row_shr:2 row_mask:0xf bank_mask:0xf
	v_mov_b32_dpp v10, v8 row_shr:2 row_mask:0xf bank_mask:0xf
	v_mov_b32_dpp v11, v9 row_shr:2 row_mask:0xf bank_mask:0xf
	v_mov_b32_dpp v14, v12 row_shr:2 row_mask:0xf bank_mask:0xf
	v_mov_b32_dpp v15, v13 row_shr:2 row_mask:0xf bank_mask:0xf
	v_mov_b32_dpp v18, v16 row_shr:2 row_mask:0xf bank_mask:0xf
	v_mov_b32_dpp v19, v17 row_shr:2 row_mask:0xf bank_mask:0xf
	v_mov_b32_dpp v22, v20 row_shr:2 row_mask:0xf bank_mask:0xf
	v_mov_b32_dpp v23, v21 row_shr:2 row_mask:0xf bank_mask:0xf
	v_mov_b32_dpp v26, v24 row_shr:2 row_mask:0xf bank_mask:0xf
	v_mov_b32_dpp v27, v25 row_shr:2 row_mask:0xf bank_mask:0xf
	v_mov_b32_dpp v30, v28 row_shr:2 row_mask:0xf bank_mask:0xf
	v_mov_b32_dpp v31, v29 row_shr:2 row_mask:0xf bank_mask:0xf
	v_add_f64 v[0:1], v[0:1], v[2:3]
	v_add_f64 v[4:5], v[4:5], v[6:7]
	v_add_f64 v[8:9], v[8:9], v[10:11]
	v_add_f64 v[12:13], v[12:13], v[14:15]
	v_add_f64 v[16:17], v[16:17], v[18:19]
	v_add_f64 v[20:21], v[20:21], v[22:23]
	v_add_f64 v[24:25], v[24:25], v[26:27]
	v_add_f64 v[28:29], v[28:29], v[30:31]
	;; [unrolled: 24-line block ×3, first 2 shown]
	v_mov_b32_dpp v2, v0 row_shr:8 row_mask:0xf bank_mask:0xc
	v_mov_b32_dpp v3, v1 row_shr:8 row_mask:0xf bank_mask:0xc
	v_mov_b32_dpp v6, v4 row_shr:8 row_mask:0xf bank_mask:0xc
	v_mov_b32_dpp v7, v5 row_shr:8 row_mask:0xf bank_mask:0xc
	v_mov_b32_dpp v10, v8 row_shr:8 row_mask:0xf bank_mask:0xc
	v_mov_b32_dpp v11, v9 row_shr:8 row_mask:0xf bank_mask:0xc
	v_mov_b32_dpp v14, v12 row_shr:8 row_mask:0xf bank_mask:0xc
	v_mov_b32_dpp v15, v13 row_shr:8 row_mask:0xf bank_mask:0xc
	v_mov_b32_dpp v18, v16 row_shr:8 row_mask:0xf bank_mask:0xc
	v_mov_b32_dpp v19, v17 row_shr:8 row_mask:0xf bank_mask:0xc
	v_mov_b32_dpp v22, v20 row_shr:8 row_mask:0xf bank_mask:0xc
	v_mov_b32_dpp v23, v21 row_shr:8 row_mask:0xf bank_mask:0xc
	v_mov_b32_dpp v26, v24 row_shr:8 row_mask:0xf bank_mask:0xc
	v_mov_b32_dpp v27, v25 row_shr:8 row_mask:0xf bank_mask:0xc
	v_mov_b32_dpp v30, v28 row_shr:8 row_mask:0xf bank_mask:0xc
	v_mov_b32_dpp v31, v29 row_shr:8 row_mask:0xf bank_mask:0xc
	v_cmp_eq_u32_e32 vcc, 15, v70
	s_and_b64 exec, exec, vcc
	s_cbranch_execz .LBB142_12
; %bb.40:
	s_load_dwordx2 s[2:3], s[6:7], 0x60
	v_add_f64 v[32:33], v[0:1], v[2:3]
	v_add_f64 v[0:1], v[4:5], v[6:7]
	;; [unrolled: 1-line block ×8, first 2 shown]
	v_cmp_eq_f64_e32 vcc, 0, v[60:61]
	v_cmp_eq_f64_e64 s[0:1], 0, v[62:63]
	v_mul_f64 v[12:13], v[0:1], -v[66:67]
	v_mul_f64 v[14:15], v[64:65], v[0:1]
	v_mul_f64 v[8:9], v[2:3], -v[66:67]
	v_mul_f64 v[10:11], v[64:65], v[2:3]
	;; [unrolled: 2-line block ×4, first 2 shown]
	s_and_b64 s[0:1], vcc, s[0:1]
	v_fmac_f64_e32 v[12:13], v[64:65], v[32:33]
	v_fmac_f64_e32 v[14:15], v[66:67], v[32:33]
	v_lshlrev_b32_e32 v16, 2, v68
	v_fmac_f64_e32 v[8:9], v[64:65], v[34:35]
	v_fmac_f64_e32 v[10:11], v[66:67], v[34:35]
	;; [unrolled: 1-line block ×6, first 2 shown]
	s_and_saveexec_b64 s[4:5], s[0:1]
	s_xor_b64 s[0:1], exec, s[4:5]
	s_cbranch_execz .LBB142_42
; %bb.41:
	v_ashrrev_i32_e32 v17, 31, v16
	v_lshlrev_b64 v[16:17], 4, v[16:17]
	s_waitcnt lgkmcnt(0)
	v_mov_b32_e32 v18, s3
	v_add_co_u32_e32 v16, vcc, s2, v16
	v_addc_co_u32_e32 v17, vcc, v18, v17, vcc
	global_store_dwordx4 v[16:17], v[12:15], off
	global_store_dwordx4 v[16:17], v[8:11], off offset:16
	global_store_dwordx4 v[16:17], v[4:7], off offset:32
	;; [unrolled: 1-line block ×3, first 2 shown]
                                        ; implicit-def: $vgpr60_vgpr61
                                        ; implicit-def: $vgpr62_vgpr63
                                        ; implicit-def: $vgpr12_vgpr13
                                        ; implicit-def: $vgpr16
                                        ; implicit-def: $vgpr8_vgpr9
                                        ; implicit-def: $vgpr4_vgpr5
                                        ; implicit-def: $vgpr0_vgpr1
.LBB142_42:
	s_andn2_saveexec_b64 s[0:1], s[0:1]
	s_cbranch_execz .LBB142_12
; %bb.43:
	v_ashrrev_i32_e32 v17, 31, v16
	v_lshlrev_b64 v[16:17], 4, v[16:17]
	s_waitcnt lgkmcnt(0)
	v_mov_b32_e32 v18, s3
	v_add_co_u32_e32 v32, vcc, s2, v16
	v_addc_co_u32_e32 v33, vcc, v18, v17, vcc
	global_load_dwordx4 v[16:19], v[32:33], off
	global_load_dwordx4 v[20:23], v[32:33], off offset:16
	global_load_dwordx4 v[24:27], v[32:33], off offset:32
	;; [unrolled: 1-line block ×3, first 2 shown]
	s_waitcnt vmcnt(3)
	v_fmac_f64_e32 v[12:13], v[60:61], v[16:17]
	v_fmac_f64_e32 v[14:15], v[62:63], v[16:17]
	s_waitcnt vmcnt(2)
	v_fmac_f64_e32 v[8:9], v[60:61], v[20:21]
	v_fmac_f64_e32 v[10:11], v[62:63], v[20:21]
	;; [unrolled: 3-line block ×4, first 2 shown]
	v_fma_f64 v[12:13], -v[62:63], v[18:19], v[12:13]
	v_fmac_f64_e32 v[14:15], v[60:61], v[18:19]
	v_fma_f64 v[8:9], -v[62:63], v[22:23], v[8:9]
	v_fmac_f64_e32 v[10:11], v[60:61], v[22:23]
	;; [unrolled: 2-line block ×4, first 2 shown]
	global_store_dwordx4 v[32:33], v[12:15], off
	global_store_dwordx4 v[32:33], v[8:11], off offset:16
	global_store_dwordx4 v[32:33], v[4:7], off offset:32
	;; [unrolled: 1-line block ×3, first 2 shown]
	s_endpgm
	.section	.rodata,"a",@progbits
	.p2align	6, 0x0
	.amdhsa_kernel _ZN9rocsparseL18bsrxmvn_4x4_kernelILj128ELj16E21rocsparse_complex_numIdElidS2_S2_EEvT3_20rocsparse_direction_NS_24const_host_device_scalarIT1_EES3_PKS3_PKT2_SC_S9_PKT4_PKT5_S7_PT6_21rocsparse_index_base_b
		.amdhsa_group_segment_fixed_size 2048
		.amdhsa_private_segment_fixed_size 0
		.amdhsa_kernarg_size 112
		.amdhsa_user_sgpr_count 8
		.amdhsa_user_sgpr_private_segment_buffer 1
		.amdhsa_user_sgpr_dispatch_ptr 1
		.amdhsa_user_sgpr_queue_ptr 0
		.amdhsa_user_sgpr_kernarg_segment_ptr 1
		.amdhsa_user_sgpr_dispatch_id 0
		.amdhsa_user_sgpr_flat_scratch_init 0
		.amdhsa_user_sgpr_kernarg_preload_length 0
		.amdhsa_user_sgpr_kernarg_preload_offset 0
		.amdhsa_user_sgpr_private_segment_size 0
		.amdhsa_uses_dynamic_stack 0
		.amdhsa_system_sgpr_private_segment_wavefront_offset 0
		.amdhsa_system_sgpr_workgroup_id_x 1
		.amdhsa_system_sgpr_workgroup_id_y 0
		.amdhsa_system_sgpr_workgroup_id_z 0
		.amdhsa_system_sgpr_workgroup_info 0
		.amdhsa_system_vgpr_workitem_id 2
		.amdhsa_next_free_vgpr 106
		.amdhsa_next_free_sgpr 22
		.amdhsa_accum_offset 108
		.amdhsa_reserve_vcc 1
		.amdhsa_reserve_flat_scratch 0
		.amdhsa_float_round_mode_32 0
		.amdhsa_float_round_mode_16_64 0
		.amdhsa_float_denorm_mode_32 3
		.amdhsa_float_denorm_mode_16_64 3
		.amdhsa_dx10_clamp 1
		.amdhsa_ieee_mode 1
		.amdhsa_fp16_overflow 0
		.amdhsa_tg_split 0
		.amdhsa_exception_fp_ieee_invalid_op 0
		.amdhsa_exception_fp_denorm_src 0
		.amdhsa_exception_fp_ieee_div_zero 0
		.amdhsa_exception_fp_ieee_overflow 0
		.amdhsa_exception_fp_ieee_underflow 0
		.amdhsa_exception_fp_ieee_inexact 0
		.amdhsa_exception_int_div_zero 0
	.end_amdhsa_kernel
	.section	.text._ZN9rocsparseL18bsrxmvn_4x4_kernelILj128ELj16E21rocsparse_complex_numIdElidS2_S2_EEvT3_20rocsparse_direction_NS_24const_host_device_scalarIT1_EES3_PKS3_PKT2_SC_S9_PKT4_PKT5_S7_PT6_21rocsparse_index_base_b,"axG",@progbits,_ZN9rocsparseL18bsrxmvn_4x4_kernelILj128ELj16E21rocsparse_complex_numIdElidS2_S2_EEvT3_20rocsparse_direction_NS_24const_host_device_scalarIT1_EES3_PKS3_PKT2_SC_S9_PKT4_PKT5_S7_PT6_21rocsparse_index_base_b,comdat
.Lfunc_end142:
	.size	_ZN9rocsparseL18bsrxmvn_4x4_kernelILj128ELj16E21rocsparse_complex_numIdElidS2_S2_EEvT3_20rocsparse_direction_NS_24const_host_device_scalarIT1_EES3_PKS3_PKT2_SC_S9_PKT4_PKT5_S7_PT6_21rocsparse_index_base_b, .Lfunc_end142-_ZN9rocsparseL18bsrxmvn_4x4_kernelILj128ELj16E21rocsparse_complex_numIdElidS2_S2_EEvT3_20rocsparse_direction_NS_24const_host_device_scalarIT1_EES3_PKS3_PKT2_SC_S9_PKT4_PKT5_S7_PT6_21rocsparse_index_base_b
                                        ; -- End function
	.section	.AMDGPU.csdata,"",@progbits
; Kernel info:
; codeLenInByte = 7736
; NumSgprs: 26
; NumVgprs: 106
; NumAgprs: 0
; TotalNumVgprs: 106
; ScratchSize: 0
; MemoryBound: 0
; FloatMode: 240
; IeeeMode: 1
; LDSByteSize: 2048 bytes/workgroup (compile time only)
; SGPRBlocks: 3
; VGPRBlocks: 13
; NumSGPRsForWavesPerEU: 26
; NumVGPRsForWavesPerEU: 106
; AccumOffset: 108
; Occupancy: 4
; WaveLimiterHint : 1
; COMPUTE_PGM_RSRC2:SCRATCH_EN: 0
; COMPUTE_PGM_RSRC2:USER_SGPR: 8
; COMPUTE_PGM_RSRC2:TRAP_HANDLER: 0
; COMPUTE_PGM_RSRC2:TGID_X_EN: 1
; COMPUTE_PGM_RSRC2:TGID_Y_EN: 0
; COMPUTE_PGM_RSRC2:TGID_Z_EN: 0
; COMPUTE_PGM_RSRC2:TIDIG_COMP_CNT: 2
; COMPUTE_PGM_RSRC3_GFX90A:ACCUM_OFFSET: 26
; COMPUTE_PGM_RSRC3_GFX90A:TG_SPLIT: 0
	.section	.text._ZN9rocsparseL18bsrxmvn_4x4_kernelILj128ELj32E21rocsparse_complex_numIdElidS2_S2_EEvT3_20rocsparse_direction_NS_24const_host_device_scalarIT1_EES3_PKS3_PKT2_SC_S9_PKT4_PKT5_S7_PT6_21rocsparse_index_base_b,"axG",@progbits,_ZN9rocsparseL18bsrxmvn_4x4_kernelILj128ELj32E21rocsparse_complex_numIdElidS2_S2_EEvT3_20rocsparse_direction_NS_24const_host_device_scalarIT1_EES3_PKS3_PKT2_SC_S9_PKT4_PKT5_S7_PT6_21rocsparse_index_base_b,comdat
	.globl	_ZN9rocsparseL18bsrxmvn_4x4_kernelILj128ELj32E21rocsparse_complex_numIdElidS2_S2_EEvT3_20rocsparse_direction_NS_24const_host_device_scalarIT1_EES3_PKS3_PKT2_SC_S9_PKT4_PKT5_S7_PT6_21rocsparse_index_base_b ; -- Begin function _ZN9rocsparseL18bsrxmvn_4x4_kernelILj128ELj32E21rocsparse_complex_numIdElidS2_S2_EEvT3_20rocsparse_direction_NS_24const_host_device_scalarIT1_EES3_PKS3_PKT2_SC_S9_PKT4_PKT5_S7_PT6_21rocsparse_index_base_b
	.p2align	8
	.type	_ZN9rocsparseL18bsrxmvn_4x4_kernelILj128ELj32E21rocsparse_complex_numIdElidS2_S2_EEvT3_20rocsparse_direction_NS_24const_host_device_scalarIT1_EES3_PKS3_PKT2_SC_S9_PKT4_PKT5_S7_PT6_21rocsparse_index_base_b,@function
_ZN9rocsparseL18bsrxmvn_4x4_kernelILj128ELj32E21rocsparse_complex_numIdElidS2_S2_EEvT3_20rocsparse_direction_NS_24const_host_device_scalarIT1_EES3_PKS3_PKT2_SC_S9_PKT4_PKT5_S7_PT6_21rocsparse_index_base_b: ; @_ZN9rocsparseL18bsrxmvn_4x4_kernelILj128ELj32E21rocsparse_complex_numIdElidS2_S2_EEvT3_20rocsparse_direction_NS_24const_host_device_scalarIT1_EES3_PKS3_PKT2_SC_S9_PKT4_PKT5_S7_PT6_21rocsparse_index_base_b
; %bb.0:
	s_load_dwordx2 s[20:21], s[6:7], 0x68
	s_load_dwordx4 s[12:15], s[6:7], 0x8
	s_load_dwordx2 s[10:11], s[4:5], 0x4
	s_load_dwordx4 s[16:19], s[6:7], 0x50
	s_mov_b64 s[2:3], src_shared_base
	v_bfe_u32 v2, v0, 10, 10
	s_waitcnt lgkmcnt(0)
	s_bitcmp1_b32 s21, 0
	s_cselect_b64 s[0:1], -1, 0
	s_and_b64 vcc, s[0:1], exec
	s_cselect_b32 s2, s3, s13
	s_lshr_b32 s4, s10, 16
	v_and_b32_e32 v1, 0x3ff, v0
	s_mul_i32 s4, s4, s11
	v_mul_u32_u24_e32 v2, s11, v2
	v_mad_u32_u24 v2, s4, v1, v2
	v_bfe_u32 v0, v0, 20, 10
	v_add_lshl_u32 v0, v2, v0, 3
	v_mov_b32_e32 v6, s12
	v_add_u32_e32 v7, 0x400, v0
	v_pk_mov_b32 v[2:3], s[12:13], s[12:13] op_sel:[0,1]
	v_pk_mov_b32 v[4:5], s[16:17], s[16:17] op_sel:[0,1]
	ds_write2st64_b64 v0, v[4:5], v[2:3] offset1:2
	v_cndmask_b32_e64 v2, v6, v7, s[0:1]
	v_mov_b32_e32 v3, s2
	flat_load_dwordx2 v[60:61], v[2:3]
	s_xor_b64 s[4:5], s[0:1], -1
	v_pk_mov_b32 v[62:63], s[14:15], s[14:15] op_sel:[0,1]
	s_cbranch_vccnz .LBB143_2
; %bb.1:
	v_pk_mov_b32 v[2:3], s[12:13], s[12:13] op_sel:[0,1]
	flat_load_dwordx2 v[62:63], v[2:3] offset:8
.LBB143_2:
	s_and_b64 s[10:11], s[0:1], exec
	s_cselect_b32 s2, s3, s17
	v_mov_b32_e32 v2, s16
	v_cndmask_b32_e64 v2, v2, v0, s[0:1]
	v_mov_b32_e32 v3, s2
	flat_load_dwordx2 v[56:57], v[2:3]
	s_andn2_b64 vcc, exec, s[4:5]
	v_pk_mov_b32 v[58:59], s[18:19], s[18:19] op_sel:[0,1]
	s_cbranch_vccnz .LBB143_4
; %bb.3:
	v_pk_mov_b32 v[2:3], s[16:17], s[16:17] op_sel:[0,1]
	flat_load_dwordx2 v[58:59], v[2:3] offset:8
.LBB143_4:
	s_waitcnt vmcnt(0) lgkmcnt(0)
	v_cmp_eq_f64_e32 vcc, 0, v[60:61]
	v_cmp_eq_f64_e64 s[0:1], 0, v[62:63]
	s_and_b64 s[4:5], vcc, s[0:1]
	s_mov_b64 s[0:1], -1
	s_and_saveexec_b64 s[2:3], s[4:5]
; %bb.5:
	v_cmp_neq_f64_e32 vcc, 1.0, v[56:57]
	v_cmp_neq_f64_e64 s[0:1], 0, v[58:59]
	s_or_b64 s[0:1], vcc, s[0:1]
	s_orn2_b64 s[0:1], s[0:1], exec
; %bb.6:
	s_or_b64 exec, exec, s[2:3]
	s_and_saveexec_b64 s[2:3], s[0:1]
	s_cbranch_execz .LBB143_12
; %bb.7:
	s_load_dwordx2 s[4:5], s[6:7], 0x20
	s_load_dwordx2 s[0:1], s[6:7], 0x0
	v_lshrrev_b32_e32 v0, 5, v1
	v_lshl_or_b32 v64, s8, 2, v0
	s_mov_b64 s[2:3], 0
	s_waitcnt lgkmcnt(0)
	s_cmp_lg_u64 s[4:5], 0
	s_cbranch_scc0 .LBB143_13
; %bb.8:
	s_load_dword s8, s[6:7], 0x18
                                        ; implicit-def: $vgpr0
	s_waitcnt lgkmcnt(0)
	v_cmp_gt_i32_e32 vcc, s8, v64
	s_and_saveexec_b64 s[8:9], vcc
	s_xor_b64 s[8:9], exec, s[8:9]
	s_cbranch_execz .LBB143_10
; %bb.9:
	v_ashrrev_i32_e32 v65, 31, v64
	v_lshlrev_b64 v[2:3], 2, v[64:65]
	v_mov_b32_e32 v0, s5
	v_add_co_u32_e32 v2, vcc, s4, v2
	v_addc_co_u32_e32 v3, vcc, v0, v3, vcc
	global_load_dword v0, v[2:3], off
	s_mov_b64 s[2:3], exec
	s_waitcnt vmcnt(0)
	v_subrev_u32_e32 v0, s20, v0
.LBB143_10:
	s_or_b64 exec, exec, s[8:9]
	s_branch .LBB143_14
.LBB143_11:
	v_cmp_gt_i32_e32 vcc, s0, v64
	s_andn2_b64 s[2:3], s[2:3], exec
	s_and_b64 s[4:5], vcc, exec
	s_or_b64 s[2:3], s[2:3], s[4:5]
	s_and_b64 exec, exec, s[2:3]
	s_cbranch_execnz .LBB143_15
.LBB143_12:
	s_endpgm
.LBB143_13:
                                        ; implicit-def: $vgpr0
	s_cbranch_execnz .LBB143_11
.LBB143_14:
	v_mov_b32_e32 v64, v0
	s_and_b64 exec, exec, s[2:3]
	s_cbranch_execz .LBB143_12
.LBB143_15:
	s_load_dwordx8 s[8:15], s[6:7], 0x28
	v_ashrrev_i32_e32 v65, 31, v64
	v_lshlrev_b64 v[2:3], 3, v[64:65]
	v_and_b32_e32 v66, 31, v1
	s_mov_b32 s18, 0
	s_waitcnt lgkmcnt(0)
	v_mov_b32_e32 v0, s9
	v_add_co_u32_e32 v4, vcc, s8, v2
	v_addc_co_u32_e32 v5, vcc, v0, v3, vcc
	v_add_co_u32_e32 v0, vcc, 8, v4
	global_load_dwordx2 v[16:17], v[4:5], off
	v_addc_co_u32_e32 v4, vcc, 0, v5, vcc
	v_mov_b32_e32 v5, s11
	v_add_co_u32_e32 v2, vcc, s10, v2
	s_cmp_eq_u64 s[10:11], 0
	v_addc_co_u32_e32 v3, vcc, v5, v3, vcc
	s_cselect_b64 vcc, -1, 0
	v_cndmask_b32_e32 v3, v3, v4, vcc
	v_cndmask_b32_e32 v2, v2, v0, vcc
	global_load_dwordx2 v[2:3], v[2:3], off
	s_load_dwordx2 s[10:11], s[6:7], 0x48
	v_mov_b32_e32 v4, s15
	s_cmp_eq_u32 s1, 1
	s_waitcnt vmcnt(1)
	v_subrev_co_u32_e32 v0, vcc, s20, v16
	v_subbrev_co_u32_e32 v1, vcc, 0, v17, vcc
	v_add_co_u32_e32 v74, vcc, v0, v66
	v_addc_co_u32_e32 v75, vcc, 0, v1, vcc
	v_lshlrev_b64 v[0:1], 7, v[74:75]
	s_waitcnt vmcnt(0)
	v_subrev_co_u32_e32 v76, vcc, s20, v2
	v_subbrev_co_u32_e32 v77, vcc, 0, v3, vcc
	v_add_co_u32_e32 v78, vcc, s14, v0
	v_addc_co_u32_e32 v79, vcc, v4, v1, vcc
	v_cmp_lt_i64_e64 s[0:1], v[74:75], v[76:77]
	s_cbranch_scc1 .LBB143_27
; %bb.16:
	v_pk_mov_b32 v[84:85], 0, 0
	s_mov_b64 s[4:5], 0
	v_pk_mov_b32 v[88:89], v[84:85], v[84:85] op_sel:[0,1]
	v_pk_mov_b32 v[82:83], v[84:85], v[84:85] op_sel:[0,1]
	;; [unrolled: 1-line block ×7, first 2 shown]
	s_and_saveexec_b64 s[8:9], s[0:1]
	s_cbranch_execz .LBB143_26
; %bb.17:
	v_or_b32_e32 v0, 32, v66
	v_mov_b32_e32 v1, s18
	v_subrev_co_u32_e32 v0, vcc, s20, v0
	v_subb_co_u32_e32 v1, vcc, 0, v1, vcc
	v_add_co_u32_e32 v0, vcc, v0, v16
	v_addc_co_u32_e32 v1, vcc, v1, v17, vcc
	v_cmp_gt_i64_e32 vcc, v[0:1], v[76:77]
	v_cndmask_b32_e32 v1, v77, v1, vcc
	v_cndmask_b32_e32 v0, v76, v0, vcc
	v_mov_b32_e32 v4, s18
	v_sub_co_u32_e32 v5, vcc, s20, v66
	v_not_b32_e32 v3, v16
	v_subbrev_co_u32_e32 v4, vcc, 0, v4, vcc
	v_not_b32_e32 v2, v17
	v_add_co_u32_e32 v3, vcc, v5, v3
	v_addc_co_u32_e32 v2, vcc, v4, v2, vcc
	v_add_co_u32_e32 v22, vcc, v3, v0
	v_lshrrev_b32_e32 v0, 5, v22
	v_add_u32_e32 v0, 1, v0
	v_addc_co_u32_e32 v23, vcc, v2, v1, vcc
	v_and_b32_e32 v0, 3, v0
	v_pk_mov_b32 v[70:71], 0, 0
	v_cmp_ne_u32_e32 vcc, 0, v0
	s_mov_b64 s[16:17], 0
	v_pk_mov_b32 v[68:69], v[70:71], v[70:71] op_sel:[0,1]
	v_pk_mov_b32 v[80:81], v[70:71], v[70:71] op_sel:[0,1]
	;; [unrolled: 1-line block ×9, first 2 shown]
	s_and_saveexec_b64 s[14:15], vcc
	s_cbranch_execz .LBB143_21
; %bb.18:
	v_lshlrev_b64 v[2:3], 2, v[74:75]
	v_mov_b32_e32 v1, s13
	v_add_co_u32_e32 v26, vcc, s12, v2
	v_pk_mov_b32 v[84:85], 0, 0
	v_mov_b32_e32 v25, 0
	v_addc_co_u32_e32 v27, vcc, v1, v3, vcc
	v_lshlrev_b32_e32 v24, 2, v0
	s_movk_i32 s19, 0x1000
	s_waitcnt lgkmcnt(0)
	v_mov_b32_e32 v28, s11
	v_pk_mov_b32 v[20:21], v[74:75], v[74:75] op_sel:[0,1]
	v_pk_mov_b32 v[18:19], v[78:79], v[78:79] op_sel:[0,1]
	;; [unrolled: 1-line block ×9, first 2 shown]
.LBB143_19:                             ; =>This Inner Loop Header: Depth=1
	global_load_dword v29, v[26:27], off
	global_load_dwordx4 v[0:3], v[18:19], off offset:48
	global_load_dwordx4 v[8:11], v[18:19], off offset:32
	;; [unrolled: 1-line block ×3, first 2 shown]
	global_load_dwordx4 v[12:15], v[18:19], off
	global_load_dwordx4 v[30:33], v[18:19], off offset:112
	global_load_dwordx4 v[34:37], v[18:19], off offset:96
	;; [unrolled: 1-line block ×4, first 2 shown]
	v_add_co_u32_e32 v18, vcc, s19, v18
	v_addc_co_u32_e32 v19, vcc, 0, v19, vcc
	v_add_co_u32_e32 v26, vcc, 0x80, v26
	v_addc_co_u32_e32 v27, vcc, 0, v27, vcc
	s_waitcnt vmcnt(8)
	v_subrev_u32_e32 v29, s20, v29
	v_lshlrev_b32_e32 v46, 2, v29
	v_ashrrev_i32_e32 v47, 31, v46
	v_lshlrev_b64 v[46:47], 4, v[46:47]
	v_add_co_u32_e64 v54, s[2:3], s10, v46
	v_addc_co_u32_e64 v55, s[2:3], v28, v47, s[2:3]
	global_load_dwordx4 v[46:49], v[54:55], off
	global_load_dwordx4 v[50:53], v[54:55], off offset:16
	global_load_dwordx4 v[90:93], v[54:55], off offset:32
	;; [unrolled: 1-line block ×3, first 2 shown]
	v_add_co_u32_e64 v20, s[2:3], 32, v20
	v_addc_co_u32_e64 v21, s[2:3], 0, v21, s[2:3]
	v_add_co_u32_e64 v24, s[2:3], -4, v24
	v_addc_co_u32_e64 v25, s[2:3], -1, v25, s[2:3]
	v_cmp_eq_u64_e64 s[2:3], 0, v[24:25]
	s_or_b64 s[16:17], s[2:3], s[16:17]
	s_waitcnt vmcnt(3)
	v_fmac_f64_e32 v[88:89], v[12:13], v[46:47]
	v_fmac_f64_e32 v[84:85], 0, v[46:47]
	v_fmac_f64_e32 v[86:87], v[8:9], v[46:47]
	v_fmac_f64_e32 v[82:83], 0, v[46:47]
	v_fmac_f64_e32 v[80:81], v[38:39], v[46:47]
	v_fmac_f64_e32 v[72:73], 0, v[46:47]
	v_fmac_f64_e32 v[70:71], v[34:35], v[46:47]
	v_fmac_f64_e32 v[68:69], 0, v[46:47]
	v_fmac_f64_e32 v[88:89], 0x80000000, v[48:49]
	v_fmac_f64_e32 v[84:85], v[12:13], v[48:49]
	v_fmac_f64_e32 v[86:87], 0x80000000, v[48:49]
	v_fmac_f64_e32 v[82:83], v[8:9], v[48:49]
	v_fmac_f64_e32 v[80:81], 0x80000000, v[48:49]
	v_fmac_f64_e32 v[72:73], v[38:39], v[48:49]
	v_fmac_f64_e32 v[70:71], 0x80000000, v[48:49]
	v_fmac_f64_e32 v[68:69], v[34:35], v[48:49]
	s_waitcnt vmcnt(2)
	v_fmac_f64_e32 v[88:89], v[14:15], v[50:51]
	v_fmac_f64_e32 v[84:85], 0, v[50:51]
	v_fmac_f64_e32 v[86:87], v[10:11], v[50:51]
	v_fmac_f64_e32 v[82:83], 0, v[50:51]
	v_fmac_f64_e32 v[80:81], v[40:41], v[50:51]
	v_fmac_f64_e32 v[72:73], 0, v[50:51]
	v_fmac_f64_e32 v[70:71], v[36:37], v[50:51]
	v_fmac_f64_e32 v[68:69], 0, v[50:51]
	v_fmac_f64_e32 v[84:85], v[14:15], v[52:53]
	v_fmac_f64_e32 v[82:83], v[10:11], v[52:53]
	v_fmac_f64_e32 v[72:73], v[40:41], v[52:53]
	v_fmac_f64_e32 v[88:89], 0x80000000, v[52:53]
	v_fmac_f64_e32 v[86:87], 0x80000000, v[52:53]
	v_fmac_f64_e32 v[80:81], 0x80000000, v[52:53]
	v_fmac_f64_e32 v[70:71], 0x80000000, v[52:53]
	v_fmac_f64_e32 v[68:69], v[36:37], v[52:53]
	;; [unrolled: 17-line block ×4, first 2 shown]
	s_andn2_b64 exec, exec, s[16:17]
	s_cbranch_execnz .LBB143_19
; %bb.20:
	s_or_b64 exec, exec, s[16:17]
.LBB143_21:
	s_or_b64 exec, exec, s[14:15]
	s_mov_b64 s[2:3], 0x5f
	v_cmp_lt_u64_e32 vcc, s[2:3], v[22:23]
	s_and_saveexec_b64 s[14:15], vcc
	s_cbranch_execz .LBB143_25
; %bb.22:
	v_lshlrev_b64 v[0:1], 2, v[20:21]
	v_mov_b32_e32 v2, s13
	v_add_co_u32_e32 v0, vcc, s12, v0
	v_addc_co_u32_e32 v1, vcc, v1, v2, vcc
	v_add_co_u32_e32 v0, vcc, 0x100, v0
	v_addc_co_u32_e32 v1, vcc, 0, v1, vcc
	s_mov_b64 s[16:17], 0
	s_waitcnt lgkmcnt(0)
	v_mov_b32_e32 v4, s11
	s_movk_i32 s19, 0x1000
	s_movk_i32 s21, 0x2000
	;; [unrolled: 1-line block ×3, first 2 shown]
.LBB143_23:                             ; =>This Inner Loop Header: Depth=1
	global_load_dword v2, v[0:1], off offset:-256
	global_load_dwordx4 v[6:9], v[18:19], off offset:48
	global_load_dwordx4 v[10:13], v[18:19], off offset:32
	;; [unrolled: 1-line block ×3, first 2 shown]
	global_load_dwordx4 v[26:29], v[18:19], off
	s_waitcnt vmcnt(4)
	v_subrev_u32_e32 v2, s20, v2
	v_lshlrev_b32_e32 v2, 2, v2
	v_ashrrev_i32_e32 v3, 31, v2
	v_lshlrev_b64 v[2:3], 4, v[2:3]
	v_add_co_u32_e32 v2, vcc, s10, v2
	v_addc_co_u32_e32 v3, vcc, v4, v3, vcc
	global_load_dwordx4 v[30:33], v[2:3], off offset:48
	global_load_dwordx4 v[34:37], v[2:3], off offset:32
	;; [unrolled: 1-line block ×3, first 2 shown]
	global_load_dwordx4 v[42:45], v[2:3], off
	v_add_co_u32_e32 v14, vcc, s19, v18
	v_addc_co_u32_e32 v15, vcc, 0, v19, vcc
	s_waitcnt vmcnt(0)
	v_fmac_f64_e32 v[84:85], 0, v[42:43]
	v_fmac_f64_e32 v[82:83], 0, v[42:43]
	;; [unrolled: 1-line block ×30, first 2 shown]
	global_load_dwordx4 v[6:9], v[18:19], off offset:112
	global_load_dwordx4 v[10:13], v[18:19], off offset:96
	;; [unrolled: 1-line block ×4, first 2 shown]
	global_load_dword v2, v[0:1], off offset:-128
	v_fmac_f64_e32 v[72:73], 0, v[42:43]
	v_fmac_f64_e32 v[68:69], 0, v[42:43]
	;; [unrolled: 1-line block ×4, first 2 shown]
	s_waitcnt vmcnt(3)
	v_fmac_f64_e32 v[70:71], v[10:11], v[42:43]
	v_fmac_f64_e32 v[70:71], 0x80000000, v[44:45]
	s_waitcnt vmcnt(1)
	v_fmac_f64_e32 v[80:81], v[26:27], v[42:43]
	v_fmac_f64_e32 v[80:81], 0x80000000, v[44:45]
	;; [unrolled: 1-line block ×20, first 2 shown]
	s_waitcnt vmcnt(0)
	v_subrev_u32_e32 v2, s20, v2
	v_fmac_f64_e32 v[80:81], v[24:25], v[30:31]
	v_fmac_f64_e32 v[72:73], 0, v[30:31]
	;; [unrolled: 1-line block ×4, first 2 shown]
	v_lshlrev_b32_e32 v30, 2, v2
	v_add_co_u32_e32 v2, vcc, s21, v18
	v_ashrrev_i32_e32 v31, 31, v30
	v_addc_co_u32_e32 v3, vcc, 0, v19, vcc
	v_lshlrev_b64 v[30:31], 4, v[30:31]
	v_add_co_u32_e32 v46, vcc, s10, v30
	v_addc_co_u32_e32 v47, vcc, v4, v31, vcc
	v_fmac_f64_e32 v[80:81], 0x80000000, v[32:33]
	v_fmac_f64_e32 v[72:73], v[24:25], v[32:33]
	;; [unrolled: 1-line block ×4, first 2 shown]
	global_load_dwordx4 v[6:9], v[2:3], off offset:-4096
	global_load_dwordx4 v[10:13], v[14:15], off offset:48
	global_load_dwordx4 v[22:25], v[14:15], off offset:32
	;; [unrolled: 1-line block ×6, first 2 shown]
	global_load_dwordx4 v[42:45], v[46:47], off
	s_waitcnt vmcnt(0)
	v_fmac_f64_e32 v[84:85], 0, v[42:43]
	v_fmac_f64_e32 v[82:83], 0, v[42:43]
	;; [unrolled: 1-line block ×30, first 2 shown]
	global_load_dwordx4 v[6:9], v[14:15], off offset:112
	global_load_dwordx4 v[10:13], v[14:15], off offset:96
	global_load_dwordx4 v[22:25], v[14:15], off offset:80
	global_load_dwordx4 v[26:29], v[14:15], off offset:64
	global_load_dword v5, v[0:1], off
	v_fmac_f64_e32 v[72:73], 0, v[42:43]
	v_fmac_f64_e32 v[68:69], 0, v[42:43]
	;; [unrolled: 1-line block ×4, first 2 shown]
	s_waitcnt vmcnt(3)
	v_fmac_f64_e32 v[70:71], v[10:11], v[42:43]
	v_fmac_f64_e32 v[70:71], 0x80000000, v[44:45]
	s_waitcnt vmcnt(1)
	v_fmac_f64_e32 v[80:81], v[26:27], v[42:43]
	v_fmac_f64_e32 v[80:81], 0x80000000, v[44:45]
	;; [unrolled: 1-line block ×4, first 2 shown]
	s_waitcnt vmcnt(0)
	v_subrev_u32_e32 v5, s20, v5
	v_fmac_f64_e32 v[80:81], v[28:29], v[38:39]
	v_fmac_f64_e32 v[72:73], 0, v[38:39]
	;; [unrolled: 1-line block ×4, first 2 shown]
	v_lshlrev_b32_e32 v14, 2, v5
	v_fmac_f64_e32 v[80:81], 0x80000000, v[40:41]
	v_fmac_f64_e32 v[72:73], v[28:29], v[40:41]
	;; [unrolled: 1-line block ×4, first 2 shown]
	v_ashrrev_i32_e32 v15, 31, v14
	v_fmac_f64_e32 v[80:81], v[22:23], v[34:35]
	v_fmac_f64_e32 v[72:73], 0, v[34:35]
	;; [unrolled: 1-line block ×4, first 2 shown]
	v_lshlrev_b64 v[14:15], 4, v[14:15]
	v_fmac_f64_e32 v[80:81], 0x80000000, v[36:37]
	v_fmac_f64_e32 v[72:73], v[22:23], v[36:37]
	;; [unrolled: 1-line block ×4, first 2 shown]
	v_add_co_u32_e32 v14, vcc, s10, v14
	v_fmac_f64_e32 v[80:81], v[24:25], v[30:31]
	v_fmac_f64_e32 v[72:73], 0, v[30:31]
	;; [unrolled: 1-line block ×4, first 2 shown]
	v_addc_co_u32_e32 v15, vcc, v4, v15, vcc
	v_fmac_f64_e32 v[80:81], 0x80000000, v[32:33]
	v_fmac_f64_e32 v[72:73], v[24:25], v[32:33]
	;; [unrolled: 1-line block ×4, first 2 shown]
	global_load_dwordx4 v[6:9], v[2:3], off
	global_load_dwordx4 v[10:13], v[2:3], off offset:48
	global_load_dwordx4 v[22:25], v[2:3], off offset:32
	;; [unrolled: 1-line block ×6, first 2 shown]
	global_load_dwordx4 v[42:45], v[14:15], off
	v_add_co_u32_e32 v14, vcc, s22, v18
	v_addc_co_u32_e32 v15, vcc, 0, v19, vcc
	s_waitcnt vmcnt(0)
	v_fmac_f64_e32 v[84:85], 0, v[42:43]
	v_fmac_f64_e32 v[82:83], 0, v[42:43]
	;; [unrolled: 1-line block ×30, first 2 shown]
	global_load_dwordx4 v[6:9], v[2:3], off offset:112
	global_load_dwordx4 v[10:13], v[2:3], off offset:96
	;; [unrolled: 1-line block ×4, first 2 shown]
	v_fmac_f64_e32 v[72:73], 0, v[42:43]
	global_load_dword v2, v[0:1], off offset:128
	v_fmac_f64_e32 v[68:69], 0, v[42:43]
	v_fmac_f64_e32 v[88:89], 0x80000000, v[32:33]
	;; [unrolled: 1-line block ×3, first 2 shown]
	s_waitcnt vmcnt(3)
	v_fmac_f64_e32 v[70:71], v[10:11], v[42:43]
	v_fmac_f64_e32 v[70:71], 0x80000000, v[44:45]
	s_waitcnt vmcnt(1)
	v_fmac_f64_e32 v[80:81], v[26:27], v[42:43]
	v_fmac_f64_e32 v[80:81], 0x80000000, v[44:45]
	v_fmac_f64_e32 v[72:73], v[26:27], v[44:45]
	v_fmac_f64_e32 v[68:69], v[10:11], v[44:45]
	s_waitcnt vmcnt(0)
	v_subrev_u32_e32 v2, s20, v2
	v_fmac_f64_e32 v[80:81], v[28:29], v[38:39]
	v_fmac_f64_e32 v[72:73], 0, v[38:39]
	;; [unrolled: 1-line block ×4, first 2 shown]
	v_lshlrev_b32_e32 v2, 2, v2
	v_fmac_f64_e32 v[80:81], 0x80000000, v[40:41]
	v_fmac_f64_e32 v[72:73], v[28:29], v[40:41]
	;; [unrolled: 1-line block ×4, first 2 shown]
	v_ashrrev_i32_e32 v3, 31, v2
	v_fmac_f64_e32 v[80:81], v[22:23], v[34:35]
	v_fmac_f64_e32 v[72:73], 0, v[34:35]
	;; [unrolled: 1-line block ×4, first 2 shown]
	v_lshlrev_b64 v[2:3], 4, v[2:3]
	v_fmac_f64_e32 v[80:81], 0x80000000, v[36:37]
	v_fmac_f64_e32 v[72:73], v[22:23], v[36:37]
	;; [unrolled: 1-line block ×4, first 2 shown]
	v_add_co_u32_e32 v2, vcc, s10, v2
	v_fmac_f64_e32 v[80:81], v[24:25], v[30:31]
	v_fmac_f64_e32 v[72:73], 0, v[30:31]
	;; [unrolled: 1-line block ×4, first 2 shown]
	v_addc_co_u32_e32 v3, vcc, v4, v3, vcc
	v_fmac_f64_e32 v[80:81], 0x80000000, v[32:33]
	v_fmac_f64_e32 v[72:73], v[24:25], v[32:33]
	;; [unrolled: 1-line block ×4, first 2 shown]
	global_load_dwordx4 v[6:9], v[14:15], off
	global_load_dwordx4 v[10:13], v[14:15], off offset:48
	global_load_dwordx4 v[22:25], v[14:15], off offset:32
	;; [unrolled: 1-line block ×6, first 2 shown]
	global_load_dwordx4 v[42:45], v[2:3], off
	v_add_co_u32_e32 v20, vcc, 0x80, v20
	v_addc_co_u32_e32 v21, vcc, 0, v21, vcc
	v_add_co_u32_e32 v0, vcc, 0x200, v0
	v_addc_co_u32_e32 v1, vcc, 0, v1, vcc
	v_cmp_ge_i64_e64 s[2:3], v[20:21], v[76:77]
	v_add_co_u32_e32 v18, vcc, 0x4000, v18
	v_addc_co_u32_e32 v19, vcc, 0, v19, vcc
	s_or_b64 s[16:17], s[2:3], s[16:17]
	s_waitcnt vmcnt(0)
	v_fmac_f64_e32 v[84:85], 0, v[42:43]
	v_fmac_f64_e32 v[82:83], 0, v[42:43]
	;; [unrolled: 1-line block ×30, first 2 shown]
	global_load_dwordx4 v[6:9], v[14:15], off offset:112
	global_load_dwordx4 v[10:13], v[14:15], off offset:96
	;; [unrolled: 1-line block ×4, first 2 shown]
	v_fmac_f64_e32 v[72:73], 0, v[42:43]
	v_fmac_f64_e32 v[68:69], 0, v[42:43]
	;; [unrolled: 1-line block ×4, first 2 shown]
	s_waitcnt vmcnt(2)
	v_fmac_f64_e32 v[70:71], v[10:11], v[42:43]
	v_fmac_f64_e32 v[70:71], 0x80000000, v[44:45]
	s_waitcnt vmcnt(0)
	v_fmac_f64_e32 v[80:81], v[26:27], v[42:43]
	v_fmac_f64_e32 v[80:81], 0x80000000, v[44:45]
	;; [unrolled: 1-line block ×28, first 2 shown]
	s_andn2_b64 exec, exec, s[16:17]
	s_cbranch_execnz .LBB143_23
; %bb.24:
	s_or_b64 exec, exec, s[16:17]
.LBB143_25:
	s_or_b64 exec, exec, s[14:15]
.LBB143_26:
	s_or_b64 exec, exec, s[8:9]
	s_andn2_b64 vcc, exec, s[4:5]
	s_cbranch_vccz .LBB143_28
	s_branch .LBB143_39
.LBB143_27:
                                        ; implicit-def: $vgpr84_vgpr85
                                        ; implicit-def: $vgpr88_vgpr89
                                        ; implicit-def: $vgpr82_vgpr83
                                        ; implicit-def: $vgpr86_vgpr87
                                        ; implicit-def: $vgpr72_vgpr73
                                        ; implicit-def: $vgpr80_vgpr81
                                        ; implicit-def: $vgpr68_vgpr69
                                        ; implicit-def: $vgpr70_vgpr71
.LBB143_28:
	v_pk_mov_b32 v[84:85], 0, 0
	v_pk_mov_b32 v[88:89], v[84:85], v[84:85] op_sel:[0,1]
	v_pk_mov_b32 v[82:83], v[84:85], v[84:85] op_sel:[0,1]
	;; [unrolled: 1-line block ×7, first 2 shown]
	s_and_saveexec_b64 s[14:15], s[0:1]
	s_cbranch_execz .LBB143_38
; %bb.29:
	v_or_b32_e32 v0, 32, v66
	v_mov_b32_e32 v1, s18
	v_subrev_co_u32_e32 v0, vcc, s20, v0
	v_subb_co_u32_e32 v1, vcc, 0, v1, vcc
	v_add_co_u32_e32 v0, vcc, v0, v16
	v_addc_co_u32_e32 v1, vcc, v1, v17, vcc
	v_cmp_gt_i64_e32 vcc, v[0:1], v[76:77]
	v_cndmask_b32_e32 v1, v77, v1, vcc
	v_cndmask_b32_e32 v0, v76, v0, vcc
	v_mov_b32_e32 v4, s18
	v_sub_co_u32_e32 v5, vcc, s20, v66
	v_not_b32_e32 v3, v16
	v_subbrev_co_u32_e32 v4, vcc, 0, v4, vcc
	v_not_b32_e32 v2, v17
	v_add_co_u32_e32 v3, vcc, v5, v3
	v_addc_co_u32_e32 v2, vcc, v4, v2, vcc
	v_add_co_u32_e32 v16, vcc, v3, v0
	v_lshrrev_b32_e32 v0, 5, v16
	v_add_u32_e32 v0, 1, v0
	v_addc_co_u32_e32 v17, vcc, v2, v1, vcc
	v_and_b32_e32 v0, 3, v0
	v_pk_mov_b32 v[70:71], 0, 0
	v_cmp_ne_u32_e32 vcc, 0, v0
	s_mov_b64 s[4:5], 0
	v_pk_mov_b32 v[68:69], v[70:71], v[70:71] op_sel:[0,1]
	v_pk_mov_b32 v[80:81], v[70:71], v[70:71] op_sel:[0,1]
	v_pk_mov_b32 v[72:73], v[70:71], v[70:71] op_sel:[0,1]
	v_pk_mov_b32 v[86:87], v[70:71], v[70:71] op_sel:[0,1]
	v_pk_mov_b32 v[82:83], v[70:71], v[70:71] op_sel:[0,1]
	v_pk_mov_b32 v[88:89], v[70:71], v[70:71] op_sel:[0,1]
	v_pk_mov_b32 v[84:85], v[70:71], v[70:71] op_sel:[0,1]
	s_and_saveexec_b64 s[2:3], vcc
	s_cbranch_execz .LBB143_33
; %bb.30:
	v_lshlrev_b64 v[2:3], 2, v[74:75]
	v_mov_b32_e32 v1, s13
	v_add_co_u32_e32 v20, vcc, s12, v2
	v_pk_mov_b32 v[84:85], 0, 0
	v_mov_b32_e32 v19, 0
	v_addc_co_u32_e32 v21, vcc, v1, v3, vcc
	v_lshlrev_b32_e32 v18, 2, v0
	s_movk_i32 s8, 0x1000
	s_waitcnt lgkmcnt(0)
	v_mov_b32_e32 v22, s11
	v_pk_mov_b32 v[88:89], v[84:85], v[84:85] op_sel:[0,1]
	v_pk_mov_b32 v[82:83], v[84:85], v[84:85] op_sel:[0,1]
	;; [unrolled: 1-line block ×7, first 2 shown]
.LBB143_31:                             ; =>This Inner Loop Header: Depth=1
	global_load_dword v23, v[20:21], off
	global_load_dwordx4 v[0:3], v[78:79], off offset:48
	global_load_dwordx4 v[4:7], v[78:79], off offset:32
	;; [unrolled: 1-line block ×3, first 2 shown]
	global_load_dwordx4 v[12:15], v[78:79], off
	global_load_dwordx4 v[24:27], v[78:79], off offset:112
	global_load_dwordx4 v[28:31], v[78:79], off offset:96
	;; [unrolled: 1-line block ×4, first 2 shown]
	v_add_co_u32_e64 v74, s[0:1], 32, v74
	v_addc_co_u32_e64 v75, s[0:1], 0, v75, s[0:1]
	v_add_co_u32_e64 v18, s[0:1], -4, v18
	v_addc_co_u32_e64 v19, s[0:1], -1, v19, s[0:1]
	v_cmp_eq_u64_e64 s[0:1], 0, v[18:19]
	s_or_b64 s[4:5], s[0:1], s[4:5]
	s_waitcnt vmcnt(8)
	v_subrev_u32_e32 v23, s20, v23
	v_lshlrev_b32_e32 v40, 2, v23
	v_ashrrev_i32_e32 v41, 31, v40
	v_lshlrev_b64 v[40:41], 4, v[40:41]
	v_add_co_u32_e32 v90, vcc, s10, v40
	v_addc_co_u32_e32 v91, vcc, v22, v41, vcc
	global_load_dwordx4 v[40:43], v[90:91], off
	global_load_dwordx4 v[44:47], v[90:91], off offset:16
	global_load_dwordx4 v[48:51], v[90:91], off offset:32
	;; [unrolled: 1-line block ×3, first 2 shown]
	v_add_co_u32_e32 v78, vcc, s8, v78
	v_addc_co_u32_e32 v79, vcc, 0, v79, vcc
	v_add_co_u32_e32 v20, vcc, 0x80, v20
	v_addc_co_u32_e32 v21, vcc, 0, v21, vcc
	s_waitcnt vmcnt(3)
	v_fmac_f64_e32 v[88:89], v[12:13], v[40:41]
	v_fmac_f64_e32 v[84:85], 0, v[40:41]
	v_fmac_f64_e32 v[86:87], v[14:15], v[40:41]
	v_fmac_f64_e32 v[82:83], 0, v[40:41]
	v_fmac_f64_e32 v[80:81], v[8:9], v[40:41]
	v_fmac_f64_e32 v[72:73], 0, v[40:41]
	v_fmac_f64_e32 v[70:71], v[10:11], v[40:41]
	v_fmac_f64_e32 v[68:69], 0, v[40:41]
	v_fmac_f64_e32 v[88:89], 0x80000000, v[42:43]
	v_fmac_f64_e32 v[84:85], v[12:13], v[42:43]
	v_fmac_f64_e32 v[86:87], 0x80000000, v[42:43]
	v_fmac_f64_e32 v[82:83], v[14:15], v[42:43]
	v_fmac_f64_e32 v[80:81], 0x80000000, v[42:43]
	v_fmac_f64_e32 v[72:73], v[8:9], v[42:43]
	v_fmac_f64_e32 v[70:71], 0x80000000, v[42:43]
	v_fmac_f64_e32 v[68:69], v[10:11], v[42:43]
	s_waitcnt vmcnt(2)
	v_fmac_f64_e32 v[88:89], v[4:5], v[44:45]
	v_fmac_f64_e32 v[84:85], 0, v[44:45]
	v_fmac_f64_e32 v[86:87], v[6:7], v[44:45]
	v_fmac_f64_e32 v[82:83], 0, v[44:45]
	v_fmac_f64_e32 v[80:81], v[0:1], v[44:45]
	v_fmac_f64_e32 v[72:73], 0, v[44:45]
	v_fmac_f64_e32 v[70:71], v[2:3], v[44:45]
	v_fmac_f64_e32 v[68:69], 0, v[44:45]
	v_fmac_f64_e32 v[88:89], 0x80000000, v[46:47]
	v_fmac_f64_e32 v[84:85], v[4:5], v[46:47]
	v_fmac_f64_e32 v[86:87], 0x80000000, v[46:47]
	v_fmac_f64_e32 v[82:83], v[6:7], v[46:47]
	v_fmac_f64_e32 v[80:81], 0x80000000, v[46:47]
	v_fmac_f64_e32 v[72:73], v[0:1], v[46:47]
	v_fmac_f64_e32 v[70:71], 0x80000000, v[46:47]
	v_fmac_f64_e32 v[68:69], v[2:3], v[46:47]
	;; [unrolled: 17-line block ×4, first 2 shown]
	s_andn2_b64 exec, exec, s[4:5]
	s_cbranch_execnz .LBB143_31
; %bb.32:
	s_or_b64 exec, exec, s[4:5]
.LBB143_33:
	s_or_b64 exec, exec, s[2:3]
	s_mov_b64 s[0:1], 0x5f
	v_cmp_lt_u64_e32 vcc, s[0:1], v[16:17]
	s_and_saveexec_b64 s[16:17], vcc
	s_cbranch_execz .LBB143_37
; %bb.34:
	v_lshlrev_b64 v[0:1], 2, v[74:75]
	v_mov_b32_e32 v2, s13
	v_add_co_u32_e32 v0, vcc, s12, v0
	v_addc_co_u32_e32 v1, vcc, v1, v2, vcc
	v_add_co_u32_e32 v90, vcc, 0x100, v0
	v_addc_co_u32_e32 v91, vcc, 0, v1, vcc
	s_mov_b64 s[12:13], 0
	s_waitcnt lgkmcnt(0)
	v_mov_b32_e32 v65, s11
	s_movk_i32 s11, 0x1000
	s_movk_i32 s18, 0x2000
	;; [unrolled: 1-line block ×3, first 2 shown]
.LBB143_35:                             ; =>This Inner Loop Header: Depth=1
	global_load_dword v32, v[90:91], off offset:-256
	global_load_dwordx4 v[0:3], v[78:79], off offset:32
	global_load_dwordx4 v[4:7], v[78:79], off offset:16
	global_load_dwordx4 v[12:15], v[78:79], off
	global_load_dwordx4 v[8:11], v[78:79], off offset:112
	global_load_dwordx4 v[16:19], v[78:79], off offset:96
	;; [unrolled: 1-line block ×5, first 2 shown]
	v_add_co_u32_e64 v36, s[2:3], s11, v78
	v_add_co_u32_e64 v48, s[0:1], s18, v78
	;; [unrolled: 1-line block ×3, first 2 shown]
	v_add_co_u32_e32 v74, vcc, 0x80, v74
	s_mov_b64 s[4:5], vcc
	v_addc_co_u32_e64 v37, vcc, 0, v79, s[2:3]
	v_addc_co_u32_e64 v49, vcc, 0, v79, s[0:1]
	;; [unrolled: 1-line block ×3, first 2 shown]
	global_load_dword v38, v[90:91], off offset:-128
	global_load_dword v67, v[90:91], off
	global_load_dword v94, v[90:91], off offset:128
	v_add_co_u32_e32 v90, vcc, 0x200, v90
	s_mov_b64 s[0:1], vcc
	global_load_dwordx4 v[44:47], v[48:49], off offset:-4096
	global_load_dwordx4 v[96:99], v[36:37], off offset:32
	global_load_dwordx4 v[100:103], v[36:37], off offset:16
	v_addc_co_u32_e64 v91, s[0:1], 0, v91, s[0:1]
	global_load_dwordx4 v[104:107], v[36:37], off offset:80
	global_load_dwordx4 v[52:55], v[48:49], off offset:16
	s_waitcnt vmcnt(16)
	v_subrev_u32_e32 v32, s20, v32
	v_lshlrev_b32_e32 v32, 2, v32
	v_ashrrev_i32_e32 v33, 31, v32
	v_lshlrev_b64 v[32:33], 4, v[32:33]
	v_add_co_u32_e32 v50, vcc, s10, v32
	v_addc_co_u32_e32 v51, vcc, v65, v33, vcc
	global_load_dwordx4 v[40:43], v[50:51], off
	global_load_dwordx4 v[32:35], v[36:37], off offset:112
	s_waitcnt vmcnt(1)
	v_fmac_f64_e32 v[84:85], 0, v[40:41]
	v_fmac_f64_e32 v[82:83], 0, v[40:41]
	v_fmac_f64_e32 v[88:89], v[12:13], v[40:41]
	v_fmac_f64_e32 v[86:87], v[14:15], v[40:41]
	v_fmac_f64_e32 v[84:85], v[12:13], v[42:43]
	v_fmac_f64_e32 v[82:83], v[14:15], v[42:43]
	global_load_dwordx4 v[12:15], v[50:51], off offset:16
	v_fmac_f64_e32 v[88:89], 0x80000000, v[42:43]
	v_fmac_f64_e32 v[86:87], 0x80000000, v[42:43]
	;; [unrolled: 1-line block ×10, first 2 shown]
	global_load_dwordx4 v[40:43], v[36:37], off offset:96
	global_load_dwordx4 v[4:7], v[48:49], off offset:112
	s_waitcnt vmcnt(2)
	v_fmac_f64_e32 v[84:85], 0, v[12:13]
	v_fmac_f64_e32 v[82:83], 0, v[12:13]
	;; [unrolled: 1-line block ×6, first 2 shown]
	global_load_dwordx4 v[0:3], v[50:51], off offset:32
	v_fmac_f64_e32 v[80:81], v[28:29], v[12:13]
	v_fmac_f64_e32 v[72:73], 0, v[12:13]
	;; [unrolled: 1-line block ×10, first 2 shown]
	global_load_dwordx4 v[12:15], v[36:37], off offset:48
	global_load_dwordx4 v[28:31], v[48:49], off offset:80
	s_waitcnt vmcnt(2)
	v_fmac_f64_e32 v[88:89], v[24:25], v[0:1]
	v_fmac_f64_e32 v[84:85], 0, v[0:1]
	;; [unrolled: 1-line block ×8, first 2 shown]
	v_subrev_u32_e32 v0, s20, v38
	v_lshlrev_b32_e32 v0, 2, v0
	v_ashrrev_i32_e32 v1, 31, v0
	v_lshlrev_b64 v[0:1], 4, v[0:1]
	v_add_co_u32_e32 v108, vcc, s10, v0
	v_fmac_f64_e32 v[84:85], v[24:25], v[2:3]
	v_fmac_f64_e32 v[82:83], v[26:27], v[2:3]
	;; [unrolled: 1-line block ×8, first 2 shown]
	v_addc_co_u32_e32 v109, vcc, v65, v1, vcc
	global_load_dwordx4 v[0:3], v[50:51], off offset:48
	global_load_dwordx4 v[20:23], v[36:37], off offset:64
	global_load_dwordx4 v[24:27], v[48:49], off
	s_waitcnt vmcnt(2)
	v_fmac_f64_e32 v[72:73], 0, v[0:1]
	v_fmac_f64_e32 v[68:69], 0, v[0:1]
	;; [unrolled: 1-line block ×6, first 2 shown]
	global_load_dwordx4 v[8:11], v[108:109], off
	v_fmac_f64_e32 v[88:89], v[16:17], v[0:1]
	v_fmac_f64_e32 v[84:85], 0, v[0:1]
	;; [unrolled: 1-line block ×10, first 2 shown]
	global_load_dwordx4 v[36:39], v[48:49], off offset:32
	global_load_dwordx4 v[0:3], v[48:49], off offset:96
	s_waitcnt vmcnt(2)
	v_fmac_f64_e32 v[88:89], v[44:45], v[8:9]
	v_fmac_f64_e32 v[84:85], 0, v[8:9]
	;; [unrolled: 1-line block ×16, first 2 shown]
	global_load_dwordx4 v[8:11], v[108:109], off offset:16
	global_load_dwordx4 v[44:47], v[48:49], off offset:48
	s_waitcnt vmcnt(1)
	v_fmac_f64_e32 v[68:69], 0, v[8:9]
	v_fmac_f64_e32 v[70:71], v[14:15], v[8:9]
	;; [unrolled: 1-line block ×3, first 2 shown]
	global_load_dwordx4 v[14:17], v[108:109], off offset:32
	v_fmac_f64_e32 v[88:89], v[96:97], v[8:9]
	v_fmac_f64_e32 v[84:85], 0, v[8:9]
	;; [unrolled: 1-line block ×13, first 2 shown]
	global_load_dwordx4 v[48:51], v[48:49], off offset:64
	s_waitcnt vmcnt(1)
	v_fmac_f64_e32 v[88:89], v[20:21], v[14:15]
	v_fmac_f64_e32 v[84:85], 0, v[14:15]
	;; [unrolled: 1-line block ×8, first 2 shown]
	global_load_dwordx4 v[12:15], v[92:93], off offset:32
	v_fmac_f64_e32 v[84:85], v[20:21], v[16:17]
	v_fmac_f64_e32 v[82:83], v[22:23], v[16:17]
	global_load_dwordx4 v[8:11], v[92:93], off offset:48
	v_fmac_f64_e32 v[72:73], v[104:105], v[16:17]
	v_fmac_f64_e32 v[68:69], v[106:107], v[16:17]
	;; [unrolled: 1-line block ×6, first 2 shown]
	global_load_dwordx4 v[16:19], v[92:93], off
	global_load_dwordx4 v[96:99], v[108:109], off offset:48
	global_load_dwordx4 v[20:23], v[92:93], off offset:16
	s_waitcnt vmcnt(1)
	v_fmac_f64_e32 v[84:85], 0, v[96:97]
	v_fmac_f64_e32 v[88:89], v[40:41], v[96:97]
	;; [unrolled: 1-line block ×3, first 2 shown]
	v_subrev_u32_e32 v40, s20, v67
	v_fmac_f64_e32 v[72:73], 0, v[96:97]
	v_fmac_f64_e32 v[80:81], v[32:33], v[96:97]
	;; [unrolled: 1-line block ×3, first 2 shown]
	v_lshlrev_b32_e32 v32, 2, v40
	v_ashrrev_i32_e32 v33, 31, v32
	v_lshlrev_b64 v[32:33], 4, v[32:33]
	v_fmac_f64_e32 v[86:87], v[42:43], v[96:97]
	v_fmac_f64_e32 v[82:83], 0, v[96:97]
	;; [unrolled: 1-line block ×4, first 2 shown]
	v_add_co_u32_e32 v96, vcc, s10, v32
	v_addc_co_u32_e32 v97, vcc, v65, v33, vcc
	v_fmac_f64_e32 v[82:83], v[42:43], v[98:99]
	global_load_dwordx4 v[40:43], v[96:97], off
	v_fmac_f64_e32 v[68:69], v[34:35], v[98:99]
	v_fmac_f64_e32 v[88:89], 0x80000000, v[98:99]
	;; [unrolled: 1-line block ×5, first 2 shown]
	global_load_dwordx4 v[32:35], v[92:93], off offset:96
	s_waitcnt vmcnt(1)
	v_fmac_f64_e32 v[88:89], v[24:25], v[40:41]
	v_fmac_f64_e32 v[84:85], 0, v[40:41]
	;; [unrolled: 1-line block ×16, first 2 shown]
	global_load_dwordx4 v[40:43], v[96:97], off offset:16
	v_subrev_u32_e32 v52, s20, v94
	v_lshlrev_b32_e32 v52, 2, v52
	v_ashrrev_i32_e32 v53, 31, v52
	v_lshlrev_b64 v[52:53], 4, v[52:53]
	v_add_co_u32_e32 v98, vcc, s10, v52
	v_addc_co_u32_e32 v99, vcc, v65, v53, vcc
	global_load_dwordx4 v[52:55], v[92:93], off offset:64
	global_load_dwordx4 v[24:27], v[92:93], off offset:112
	v_addc_co_u32_e64 v75, vcc, 0, v75, s[4:5]
	v_add_co_u32_e32 v78, vcc, 0x4000, v78
	v_cmp_ge_i64_e64 s[0:1], v[74:75], v[76:77]
	v_addc_co_u32_e32 v79, vcc, 0, v79, vcc
	s_or_b64 s[12:13], s[0:1], s[12:13]
	s_waitcnt vmcnt(2)
	v_fmac_f64_e32 v[72:73], 0, v[40:41]
	v_fmac_f64_e32 v[68:69], 0, v[40:41]
	;; [unrolled: 1-line block ×6, first 2 shown]
	global_load_dwordx4 v[44:47], v[96:97], off offset:32
	v_fmac_f64_e32 v[88:89], v[36:37], v[40:41]
	v_fmac_f64_e32 v[84:85], 0, v[40:41]
	;; [unrolled: 1-line block ×10, first 2 shown]
	global_load_dwordx4 v[40:43], v[96:97], off offset:48
	global_load_dwordx4 v[36:39], v[92:93], off offset:80
	s_waitcnt vmcnt(2)
	v_fmac_f64_e32 v[84:85], 0, v[44:45]
	v_fmac_f64_e32 v[82:83], 0, v[44:45]
	;; [unrolled: 1-line block ×6, first 2 shown]
	global_load_dwordx4 v[48:51], v[98:99], off
	v_fmac_f64_e32 v[72:73], 0, v[44:45]
	v_fmac_f64_e32 v[68:69], 0, v[44:45]
	;; [unrolled: 1-line block ×6, first 2 shown]
	global_load_dwordx4 v[28:31], v[98:99], off offset:16
	v_fmac_f64_e32 v[88:89], 0x80000000, v[46:47]
	v_fmac_f64_e32 v[86:87], 0x80000000, v[46:47]
	;; [unrolled: 1-line block ×4, first 2 shown]
	global_load_dwordx4 v[44:47], v[98:99], off offset:32
	global_load_dwordx4 v[92:95], v[98:99], off offset:48
	s_waitcnt vmcnt(5)
	v_fmac_f64_e32 v[88:89], v[0:1], v[40:41]
	v_fmac_f64_e32 v[84:85], 0, v[40:41]
	v_fmac_f64_e32 v[86:87], v[2:3], v[40:41]
	v_fmac_f64_e32 v[82:83], 0, v[40:41]
	v_fmac_f64_e32 v[80:81], v[4:5], v[40:41]
	v_fmac_f64_e32 v[72:73], 0, v[40:41]
	v_fmac_f64_e32 v[70:71], v[6:7], v[40:41]
	v_fmac_f64_e32 v[68:69], 0, v[40:41]
	v_fmac_f64_e32 v[88:89], 0x80000000, v[42:43]
	v_fmac_f64_e32 v[84:85], v[0:1], v[42:43]
	v_fmac_f64_e32 v[86:87], 0x80000000, v[42:43]
	v_fmac_f64_e32 v[82:83], v[2:3], v[42:43]
	v_fmac_f64_e32 v[80:81], 0x80000000, v[42:43]
	v_fmac_f64_e32 v[72:73], v[4:5], v[42:43]
	v_fmac_f64_e32 v[70:71], 0x80000000, v[42:43]
	v_fmac_f64_e32 v[68:69], v[6:7], v[42:43]
	s_waitcnt vmcnt(3)
	v_fmac_f64_e32 v[88:89], v[16:17], v[48:49]
	v_fmac_f64_e32 v[84:85], 0, v[48:49]
	v_fmac_f64_e32 v[86:87], v[18:19], v[48:49]
	v_fmac_f64_e32 v[82:83], 0, v[48:49]
	v_fmac_f64_e32 v[80:81], v[20:21], v[48:49]
	v_fmac_f64_e32 v[72:73], 0, v[48:49]
	v_fmac_f64_e32 v[70:71], v[22:23], v[48:49]
	v_fmac_f64_e32 v[68:69], 0, v[48:49]
	v_fmac_f64_e32 v[88:89], 0x80000000, v[50:51]
	v_fmac_f64_e32 v[84:85], v[16:17], v[50:51]
	v_fmac_f64_e32 v[86:87], 0x80000000, v[50:51]
	v_fmac_f64_e32 v[82:83], v[18:19], v[50:51]
	v_fmac_f64_e32 v[80:81], 0x80000000, v[50:51]
	v_fmac_f64_e32 v[72:73], v[20:21], v[50:51]
	v_fmac_f64_e32 v[70:71], 0x80000000, v[50:51]
	v_fmac_f64_e32 v[68:69], v[22:23], v[50:51]
	;; [unrolled: 17-line block ×5, first 2 shown]
	s_andn2_b64 exec, exec, s[12:13]
	s_cbranch_execnz .LBB143_35
; %bb.36:
	s_or_b64 exec, exec, s[12:13]
.LBB143_37:
	s_or_b64 exec, exec, s[16:17]
.LBB143_38:
	s_or_b64 exec, exec, s[14:15]
.LBB143_39:
	v_mov_b32_dpp v0, v88 row_shr:1 row_mask:0xf bank_mask:0xf
	v_mov_b32_dpp v1, v89 row_shr:1 row_mask:0xf bank_mask:0xf
	v_mov_b32_dpp v4, v84 row_shr:1 row_mask:0xf bank_mask:0xf
	v_mov_b32_dpp v5, v85 row_shr:1 row_mask:0xf bank_mask:0xf
	v_mov_b32_dpp v8, v86 row_shr:1 row_mask:0xf bank_mask:0xf
	v_mov_b32_dpp v9, v87 row_shr:1 row_mask:0xf bank_mask:0xf
	v_mov_b32_dpp v12, v82 row_shr:1 row_mask:0xf bank_mask:0xf
	v_mov_b32_dpp v13, v83 row_shr:1 row_mask:0xf bank_mask:0xf
	v_mov_b32_dpp v16, v80 row_shr:1 row_mask:0xf bank_mask:0xf
	v_mov_b32_dpp v17, v81 row_shr:1 row_mask:0xf bank_mask:0xf
	v_mov_b32_dpp v20, v72 row_shr:1 row_mask:0xf bank_mask:0xf
	v_mov_b32_dpp v21, v73 row_shr:1 row_mask:0xf bank_mask:0xf
	v_mov_b32_dpp v24, v70 row_shr:1 row_mask:0xf bank_mask:0xf
	v_mov_b32_dpp v25, v71 row_shr:1 row_mask:0xf bank_mask:0xf
	v_mov_b32_dpp v28, v68 row_shr:1 row_mask:0xf bank_mask:0xf
	v_mov_b32_dpp v29, v69 row_shr:1 row_mask:0xf bank_mask:0xf
	v_add_f64 v[0:1], v[88:89], v[0:1]
	v_add_f64 v[4:5], v[84:85], v[4:5]
	v_add_f64 v[8:9], v[86:87], v[8:9]
	v_add_f64 v[12:13], v[82:83], v[12:13]
	v_add_f64 v[16:17], v[80:81], v[16:17]
	v_add_f64 v[20:21], v[72:73], v[20:21]
	v_add_f64 v[24:25], v[70:71], v[24:25]
	v_add_f64 v[28:29], v[68:69], v[28:29]
	v_mov_b32_dpp v2, v0 row_shr:2 row_mask:0xf bank_mask:0xf
	v_mov_b32_dpp v3, v1 row_shr:2 row_mask:0xf bank_mask:0xf
	v_mov_b32_dpp v6, v4 row_shr:2 row_mask:0xf bank_mask:0xf
	v_mov_b32_dpp v7, v5 row_shr:2 row_mask:0xf bank_mask:0xf
	v_mov_b32_dpp v10, v8 row_shr:2 row_mask:0xf bank_mask:0xf
	v_mov_b32_dpp v11, v9 row_shr:2 row_mask:0xf bank_mask:0xf
	v_mov_b32_dpp v14, v12 row_shr:2 row_mask:0xf bank_mask:0xf
	v_mov_b32_dpp v15, v13 row_shr:2 row_mask:0xf bank_mask:0xf
	v_mov_b32_dpp v18, v16 row_shr:2 row_mask:0xf bank_mask:0xf
	v_mov_b32_dpp v19, v17 row_shr:2 row_mask:0xf bank_mask:0xf
	v_mov_b32_dpp v22, v20 row_shr:2 row_mask:0xf bank_mask:0xf
	v_mov_b32_dpp v23, v21 row_shr:2 row_mask:0xf bank_mask:0xf
	v_mov_b32_dpp v26, v24 row_shr:2 row_mask:0xf bank_mask:0xf
	v_mov_b32_dpp v27, v25 row_shr:2 row_mask:0xf bank_mask:0xf
	v_mov_b32_dpp v30, v28 row_shr:2 row_mask:0xf bank_mask:0xf
	v_mov_b32_dpp v31, v29 row_shr:2 row_mask:0xf bank_mask:0xf
	v_add_f64 v[0:1], v[0:1], v[2:3]
	v_add_f64 v[4:5], v[4:5], v[6:7]
	v_add_f64 v[8:9], v[8:9], v[10:11]
	v_add_f64 v[12:13], v[12:13], v[14:15]
	v_add_f64 v[16:17], v[16:17], v[18:19]
	v_add_f64 v[20:21], v[20:21], v[22:23]
	v_add_f64 v[24:25], v[24:25], v[26:27]
	v_add_f64 v[28:29], v[28:29], v[30:31]
	;; [unrolled: 24-line block ×4, first 2 shown]
	v_mov_b32_dpp v2, v0 row_bcast:15 row_mask:0xa bank_mask:0xf
	v_mov_b32_dpp v3, v1 row_bcast:15 row_mask:0xa bank_mask:0xf
	;; [unrolled: 1-line block ×16, first 2 shown]
	v_cmp_eq_u32_e32 vcc, 31, v66
	s_and_b64 exec, exec, vcc
	s_cbranch_execz .LBB143_12
; %bb.40:
	s_load_dwordx2 s[2:3], s[6:7], 0x60
	v_add_f64 v[32:33], v[0:1], v[2:3]
	v_add_f64 v[0:1], v[4:5], v[6:7]
	;; [unrolled: 1-line block ×8, first 2 shown]
	v_cmp_eq_f64_e32 vcc, 0, v[56:57]
	v_cmp_eq_f64_e64 s[0:1], 0, v[58:59]
	v_mul_f64 v[12:13], v[0:1], -v[62:63]
	v_mul_f64 v[14:15], v[60:61], v[0:1]
	v_mul_f64 v[8:9], v[2:3], -v[62:63]
	v_mul_f64 v[10:11], v[60:61], v[2:3]
	;; [unrolled: 2-line block ×4, first 2 shown]
	s_and_b64 s[0:1], vcc, s[0:1]
	v_fmac_f64_e32 v[12:13], v[60:61], v[32:33]
	v_fmac_f64_e32 v[14:15], v[62:63], v[32:33]
	v_lshlrev_b32_e32 v16, 2, v64
	v_fmac_f64_e32 v[8:9], v[60:61], v[34:35]
	v_fmac_f64_e32 v[10:11], v[62:63], v[34:35]
	;; [unrolled: 1-line block ×6, first 2 shown]
	s_and_saveexec_b64 s[4:5], s[0:1]
	s_xor_b64 s[0:1], exec, s[4:5]
	s_cbranch_execz .LBB143_42
; %bb.41:
	v_ashrrev_i32_e32 v17, 31, v16
	v_lshlrev_b64 v[16:17], 4, v[16:17]
	s_waitcnt lgkmcnt(0)
	v_mov_b32_e32 v18, s3
	v_add_co_u32_e32 v16, vcc, s2, v16
	v_addc_co_u32_e32 v17, vcc, v18, v17, vcc
	global_store_dwordx4 v[16:17], v[12:15], off
	global_store_dwordx4 v[16:17], v[8:11], off offset:16
	global_store_dwordx4 v[16:17], v[4:7], off offset:32
	;; [unrolled: 1-line block ×3, first 2 shown]
                                        ; implicit-def: $vgpr56_vgpr57
                                        ; implicit-def: $vgpr58_vgpr59
                                        ; implicit-def: $vgpr12_vgpr13
                                        ; implicit-def: $vgpr16
                                        ; implicit-def: $vgpr8_vgpr9
                                        ; implicit-def: $vgpr4_vgpr5
                                        ; implicit-def: $vgpr0_vgpr1
.LBB143_42:
	s_andn2_saveexec_b64 s[0:1], s[0:1]
	s_cbranch_execz .LBB143_12
; %bb.43:
	v_ashrrev_i32_e32 v17, 31, v16
	v_lshlrev_b64 v[16:17], 4, v[16:17]
	s_waitcnt lgkmcnt(0)
	v_mov_b32_e32 v18, s3
	v_add_co_u32_e32 v32, vcc, s2, v16
	v_addc_co_u32_e32 v33, vcc, v18, v17, vcc
	global_load_dwordx4 v[16:19], v[32:33], off
	global_load_dwordx4 v[20:23], v[32:33], off offset:16
	global_load_dwordx4 v[24:27], v[32:33], off offset:32
	;; [unrolled: 1-line block ×3, first 2 shown]
	s_waitcnt vmcnt(3)
	v_fmac_f64_e32 v[12:13], v[56:57], v[16:17]
	v_fmac_f64_e32 v[14:15], v[58:59], v[16:17]
	s_waitcnt vmcnt(2)
	v_fmac_f64_e32 v[8:9], v[56:57], v[20:21]
	v_fmac_f64_e32 v[10:11], v[58:59], v[20:21]
	;; [unrolled: 3-line block ×4, first 2 shown]
	v_fma_f64 v[12:13], -v[58:59], v[18:19], v[12:13]
	v_fmac_f64_e32 v[14:15], v[56:57], v[18:19]
	v_fma_f64 v[8:9], -v[58:59], v[22:23], v[8:9]
	v_fmac_f64_e32 v[10:11], v[56:57], v[22:23]
	;; [unrolled: 2-line block ×4, first 2 shown]
	global_store_dwordx4 v[32:33], v[12:15], off
	global_store_dwordx4 v[32:33], v[8:11], off offset:16
	global_store_dwordx4 v[32:33], v[4:7], off offset:32
	;; [unrolled: 1-line block ×3, first 2 shown]
	s_endpgm
	.section	.rodata,"a",@progbits
	.p2align	6, 0x0
	.amdhsa_kernel _ZN9rocsparseL18bsrxmvn_4x4_kernelILj128ELj32E21rocsparse_complex_numIdElidS2_S2_EEvT3_20rocsparse_direction_NS_24const_host_device_scalarIT1_EES3_PKS3_PKT2_SC_S9_PKT4_PKT5_S7_PT6_21rocsparse_index_base_b
		.amdhsa_group_segment_fixed_size 2048
		.amdhsa_private_segment_fixed_size 0
		.amdhsa_kernarg_size 112
		.amdhsa_user_sgpr_count 8
		.amdhsa_user_sgpr_private_segment_buffer 1
		.amdhsa_user_sgpr_dispatch_ptr 1
		.amdhsa_user_sgpr_queue_ptr 0
		.amdhsa_user_sgpr_kernarg_segment_ptr 1
		.amdhsa_user_sgpr_dispatch_id 0
		.amdhsa_user_sgpr_flat_scratch_init 0
		.amdhsa_user_sgpr_kernarg_preload_length 0
		.amdhsa_user_sgpr_kernarg_preload_offset 0
		.amdhsa_user_sgpr_private_segment_size 0
		.amdhsa_uses_dynamic_stack 0
		.amdhsa_system_sgpr_private_segment_wavefront_offset 0
		.amdhsa_system_sgpr_workgroup_id_x 1
		.amdhsa_system_sgpr_workgroup_id_y 0
		.amdhsa_system_sgpr_workgroup_id_z 0
		.amdhsa_system_sgpr_workgroup_info 0
		.amdhsa_system_vgpr_workitem_id 2
		.amdhsa_next_free_vgpr 110
		.amdhsa_next_free_sgpr 23
		.amdhsa_accum_offset 112
		.amdhsa_reserve_vcc 1
		.amdhsa_reserve_flat_scratch 0
		.amdhsa_float_round_mode_32 0
		.amdhsa_float_round_mode_16_64 0
		.amdhsa_float_denorm_mode_32 3
		.amdhsa_float_denorm_mode_16_64 3
		.amdhsa_dx10_clamp 1
		.amdhsa_ieee_mode 1
		.amdhsa_fp16_overflow 0
		.amdhsa_tg_split 0
		.amdhsa_exception_fp_ieee_invalid_op 0
		.amdhsa_exception_fp_denorm_src 0
		.amdhsa_exception_fp_ieee_div_zero 0
		.amdhsa_exception_fp_ieee_overflow 0
		.amdhsa_exception_fp_ieee_underflow 0
		.amdhsa_exception_fp_ieee_inexact 0
		.amdhsa_exception_int_div_zero 0
	.end_amdhsa_kernel
	.section	.text._ZN9rocsparseL18bsrxmvn_4x4_kernelILj128ELj32E21rocsparse_complex_numIdElidS2_S2_EEvT3_20rocsparse_direction_NS_24const_host_device_scalarIT1_EES3_PKS3_PKT2_SC_S9_PKT4_PKT5_S7_PT6_21rocsparse_index_base_b,"axG",@progbits,_ZN9rocsparseL18bsrxmvn_4x4_kernelILj128ELj32E21rocsparse_complex_numIdElidS2_S2_EEvT3_20rocsparse_direction_NS_24const_host_device_scalarIT1_EES3_PKS3_PKT2_SC_S9_PKT4_PKT5_S7_PT6_21rocsparse_index_base_b,comdat
.Lfunc_end143:
	.size	_ZN9rocsparseL18bsrxmvn_4x4_kernelILj128ELj32E21rocsparse_complex_numIdElidS2_S2_EEvT3_20rocsparse_direction_NS_24const_host_device_scalarIT1_EES3_PKS3_PKT2_SC_S9_PKT4_PKT5_S7_PT6_21rocsparse_index_base_b, .Lfunc_end143-_ZN9rocsparseL18bsrxmvn_4x4_kernelILj128ELj32E21rocsparse_complex_numIdElidS2_S2_EEvT3_20rocsparse_direction_NS_24const_host_device_scalarIT1_EES3_PKS3_PKT2_SC_S9_PKT4_PKT5_S7_PT6_21rocsparse_index_base_b
                                        ; -- End function
	.section	.AMDGPU.csdata,"",@progbits
; Kernel info:
; codeLenInByte = 7992
; NumSgprs: 27
; NumVgprs: 110
; NumAgprs: 0
; TotalNumVgprs: 110
; ScratchSize: 0
; MemoryBound: 0
; FloatMode: 240
; IeeeMode: 1
; LDSByteSize: 2048 bytes/workgroup (compile time only)
; SGPRBlocks: 3
; VGPRBlocks: 13
; NumSGPRsForWavesPerEU: 27
; NumVGPRsForWavesPerEU: 110
; AccumOffset: 112
; Occupancy: 4
; WaveLimiterHint : 1
; COMPUTE_PGM_RSRC2:SCRATCH_EN: 0
; COMPUTE_PGM_RSRC2:USER_SGPR: 8
; COMPUTE_PGM_RSRC2:TRAP_HANDLER: 0
; COMPUTE_PGM_RSRC2:TGID_X_EN: 1
; COMPUTE_PGM_RSRC2:TGID_Y_EN: 0
; COMPUTE_PGM_RSRC2:TGID_Z_EN: 0
; COMPUTE_PGM_RSRC2:TIDIG_COMP_CNT: 2
; COMPUTE_PGM_RSRC3_GFX90A:ACCUM_OFFSET: 27
; COMPUTE_PGM_RSRC3_GFX90A:TG_SPLIT: 0
	.section	.text._ZN9rocsparseL18bsrxmvn_4x4_kernelILj128ELj64E21rocsparse_complex_numIdElidS2_S2_EEvT3_20rocsparse_direction_NS_24const_host_device_scalarIT1_EES3_PKS3_PKT2_SC_S9_PKT4_PKT5_S7_PT6_21rocsparse_index_base_b,"axG",@progbits,_ZN9rocsparseL18bsrxmvn_4x4_kernelILj128ELj64E21rocsparse_complex_numIdElidS2_S2_EEvT3_20rocsparse_direction_NS_24const_host_device_scalarIT1_EES3_PKS3_PKT2_SC_S9_PKT4_PKT5_S7_PT6_21rocsparse_index_base_b,comdat
	.globl	_ZN9rocsparseL18bsrxmvn_4x4_kernelILj128ELj64E21rocsparse_complex_numIdElidS2_S2_EEvT3_20rocsparse_direction_NS_24const_host_device_scalarIT1_EES3_PKS3_PKT2_SC_S9_PKT4_PKT5_S7_PT6_21rocsparse_index_base_b ; -- Begin function _ZN9rocsparseL18bsrxmvn_4x4_kernelILj128ELj64E21rocsparse_complex_numIdElidS2_S2_EEvT3_20rocsparse_direction_NS_24const_host_device_scalarIT1_EES3_PKS3_PKT2_SC_S9_PKT4_PKT5_S7_PT6_21rocsparse_index_base_b
	.p2align	8
	.type	_ZN9rocsparseL18bsrxmvn_4x4_kernelILj128ELj64E21rocsparse_complex_numIdElidS2_S2_EEvT3_20rocsparse_direction_NS_24const_host_device_scalarIT1_EES3_PKS3_PKT2_SC_S9_PKT4_PKT5_S7_PT6_21rocsparse_index_base_b,@function
_ZN9rocsparseL18bsrxmvn_4x4_kernelILj128ELj64E21rocsparse_complex_numIdElidS2_S2_EEvT3_20rocsparse_direction_NS_24const_host_device_scalarIT1_EES3_PKS3_PKT2_SC_S9_PKT4_PKT5_S7_PT6_21rocsparse_index_base_b: ; @_ZN9rocsparseL18bsrxmvn_4x4_kernelILj128ELj64E21rocsparse_complex_numIdElidS2_S2_EEvT3_20rocsparse_direction_NS_24const_host_device_scalarIT1_EES3_PKS3_PKT2_SC_S9_PKT4_PKT5_S7_PT6_21rocsparse_index_base_b
; %bb.0:
	s_load_dwordx2 s[20:21], s[6:7], 0x68
	s_load_dwordx4 s[12:15], s[6:7], 0x8
	s_load_dwordx2 s[10:11], s[4:5], 0x4
	s_load_dwordx4 s[16:19], s[6:7], 0x50
	s_mov_b64 s[2:3], src_shared_base
	v_bfe_u32 v2, v0, 10, 10
	s_waitcnt lgkmcnt(0)
	s_bitcmp1_b32 s21, 0
	s_cselect_b64 s[0:1], -1, 0
	s_and_b64 vcc, s[0:1], exec
	s_cselect_b32 s2, s3, s13
	s_lshr_b32 s4, s10, 16
	v_and_b32_e32 v1, 0x3ff, v0
	s_mul_i32 s4, s4, s11
	v_mul_u32_u24_e32 v2, s11, v2
	v_mad_u32_u24 v2, s4, v1, v2
	v_bfe_u32 v0, v0, 20, 10
	v_add_lshl_u32 v0, v2, v0, 3
	v_mov_b32_e32 v6, s12
	v_add_u32_e32 v7, 0x400, v0
	v_pk_mov_b32 v[2:3], s[12:13], s[12:13] op_sel:[0,1]
	v_pk_mov_b32 v[4:5], s[16:17], s[16:17] op_sel:[0,1]
	ds_write2st64_b64 v0, v[4:5], v[2:3] offset1:2
	v_cndmask_b32_e64 v2, v6, v7, s[0:1]
	v_mov_b32_e32 v3, s2
	flat_load_dwordx2 v[60:61], v[2:3]
	s_xor_b64 s[4:5], s[0:1], -1
	v_pk_mov_b32 v[62:63], s[14:15], s[14:15] op_sel:[0,1]
	s_cbranch_vccnz .LBB144_2
; %bb.1:
	v_pk_mov_b32 v[2:3], s[12:13], s[12:13] op_sel:[0,1]
	flat_load_dwordx2 v[62:63], v[2:3] offset:8
.LBB144_2:
	s_and_b64 s[10:11], s[0:1], exec
	s_cselect_b32 s2, s3, s17
	v_mov_b32_e32 v2, s16
	v_cndmask_b32_e64 v2, v2, v0, s[0:1]
	v_mov_b32_e32 v3, s2
	flat_load_dwordx2 v[56:57], v[2:3]
	s_andn2_b64 vcc, exec, s[4:5]
	v_pk_mov_b32 v[58:59], s[18:19], s[18:19] op_sel:[0,1]
	s_cbranch_vccnz .LBB144_4
; %bb.3:
	v_pk_mov_b32 v[2:3], s[16:17], s[16:17] op_sel:[0,1]
	flat_load_dwordx2 v[58:59], v[2:3] offset:8
.LBB144_4:
	s_waitcnt vmcnt(0) lgkmcnt(0)
	v_cmp_eq_f64_e32 vcc, 0, v[60:61]
	v_cmp_eq_f64_e64 s[0:1], 0, v[62:63]
	s_and_b64 s[4:5], vcc, s[0:1]
	s_mov_b64 s[0:1], -1
	s_and_saveexec_b64 s[2:3], s[4:5]
; %bb.5:
	v_cmp_neq_f64_e32 vcc, 1.0, v[56:57]
	v_cmp_neq_f64_e64 s[0:1], 0, v[58:59]
	s_or_b64 s[0:1], vcc, s[0:1]
	s_orn2_b64 s[0:1], s[0:1], exec
; %bb.6:
	s_or_b64 exec, exec, s[2:3]
	s_and_saveexec_b64 s[2:3], s[0:1]
	s_cbranch_execz .LBB144_12
; %bb.7:
	s_load_dwordx2 s[4:5], s[6:7], 0x20
	s_load_dwordx2 s[0:1], s[6:7], 0x0
	v_lshrrev_b32_e32 v0, 6, v1
	v_lshl_or_b32 v64, s8, 1, v0
	s_mov_b64 s[2:3], 0
	s_waitcnt lgkmcnt(0)
	s_cmp_lg_u64 s[4:5], 0
	s_cbranch_scc0 .LBB144_13
; %bb.8:
	s_load_dword s8, s[6:7], 0x18
                                        ; implicit-def: $vgpr0
	s_waitcnt lgkmcnt(0)
	v_cmp_gt_i32_e32 vcc, s8, v64
	s_and_saveexec_b64 s[8:9], vcc
	s_xor_b64 s[8:9], exec, s[8:9]
	s_cbranch_execz .LBB144_10
; %bb.9:
	v_ashrrev_i32_e32 v65, 31, v64
	v_lshlrev_b64 v[2:3], 2, v[64:65]
	v_mov_b32_e32 v0, s5
	v_add_co_u32_e32 v2, vcc, s4, v2
	v_addc_co_u32_e32 v3, vcc, v0, v3, vcc
	global_load_dword v0, v[2:3], off
	s_mov_b64 s[2:3], exec
	s_waitcnt vmcnt(0)
	v_subrev_u32_e32 v0, s20, v0
.LBB144_10:
	s_or_b64 exec, exec, s[8:9]
	s_branch .LBB144_14
.LBB144_11:
	v_cmp_gt_i32_e32 vcc, s0, v64
	s_andn2_b64 s[2:3], s[2:3], exec
	s_and_b64 s[4:5], vcc, exec
	s_or_b64 s[2:3], s[2:3], s[4:5]
	s_and_b64 exec, exec, s[2:3]
	s_cbranch_execnz .LBB144_15
.LBB144_12:
	s_endpgm
.LBB144_13:
                                        ; implicit-def: $vgpr0
	s_cbranch_execnz .LBB144_11
.LBB144_14:
	v_mov_b32_e32 v64, v0
	s_and_b64 exec, exec, s[2:3]
	s_cbranch_execz .LBB144_12
.LBB144_15:
	s_load_dwordx8 s[8:15], s[6:7], 0x28
	v_ashrrev_i32_e32 v65, 31, v64
	v_lshlrev_b64 v[2:3], 3, v[64:65]
	v_and_b32_e32 v66, 63, v1
	s_mov_b32 s18, 0
	s_waitcnt lgkmcnt(0)
	v_mov_b32_e32 v0, s9
	v_add_co_u32_e32 v4, vcc, s8, v2
	v_addc_co_u32_e32 v5, vcc, v0, v3, vcc
	v_add_co_u32_e32 v0, vcc, 8, v4
	global_load_dwordx2 v[16:17], v[4:5], off
	v_addc_co_u32_e32 v4, vcc, 0, v5, vcc
	v_mov_b32_e32 v5, s11
	v_add_co_u32_e32 v2, vcc, s10, v2
	s_cmp_eq_u64 s[10:11], 0
	v_addc_co_u32_e32 v3, vcc, v5, v3, vcc
	s_cselect_b64 vcc, -1, 0
	v_cndmask_b32_e32 v3, v3, v4, vcc
	v_cndmask_b32_e32 v2, v2, v0, vcc
	global_load_dwordx2 v[2:3], v[2:3], off
	s_load_dwordx2 s[10:11], s[6:7], 0x48
	v_mov_b32_e32 v4, s15
	s_cmp_eq_u32 s1, 1
	s_waitcnt vmcnt(1)
	v_subrev_co_u32_e32 v0, vcc, s20, v16
	v_subbrev_co_u32_e32 v1, vcc, 0, v17, vcc
	v_add_co_u32_e32 v76, vcc, v0, v66
	v_addc_co_u32_e32 v77, vcc, 0, v1, vcc
	v_lshlrev_b64 v[0:1], 7, v[76:77]
	s_waitcnt vmcnt(0)
	v_subrev_co_u32_e32 v78, vcc, s20, v2
	v_subbrev_co_u32_e32 v79, vcc, 0, v3, vcc
	v_add_co_u32_e32 v80, vcc, s14, v0
	v_addc_co_u32_e32 v81, vcc, v4, v1, vcc
	v_cmp_lt_i64_e64 s[0:1], v[76:77], v[78:79]
	s_cbranch_scc1 .LBB144_27
; %bb.16:
	v_pk_mov_b32 v[84:85], 0, 0
	s_mov_b64 s[4:5], 0
	v_pk_mov_b32 v[88:89], v[84:85], v[84:85] op_sel:[0,1]
	v_pk_mov_b32 v[82:83], v[84:85], v[84:85] op_sel:[0,1]
	;; [unrolled: 1-line block ×7, first 2 shown]
	s_and_saveexec_b64 s[8:9], s[0:1]
	s_cbranch_execz .LBB144_26
; %bb.17:
	v_or_b32_e32 v0, 64, v66
	v_mov_b32_e32 v1, s18
	v_subrev_co_u32_e32 v0, vcc, s20, v0
	v_subb_co_u32_e32 v1, vcc, 0, v1, vcc
	v_add_co_u32_e32 v0, vcc, v0, v16
	v_addc_co_u32_e32 v1, vcc, v1, v17, vcc
	v_cmp_gt_i64_e32 vcc, v[0:1], v[78:79]
	v_cndmask_b32_e32 v1, v79, v1, vcc
	v_cndmask_b32_e32 v0, v78, v0, vcc
	v_mov_b32_e32 v4, s18
	v_sub_co_u32_e32 v5, vcc, s20, v66
	v_not_b32_e32 v3, v16
	v_subbrev_co_u32_e32 v4, vcc, 0, v4, vcc
	v_not_b32_e32 v2, v17
	v_add_co_u32_e32 v3, vcc, v5, v3
	v_addc_co_u32_e32 v2, vcc, v4, v2, vcc
	v_add_co_u32_e32 v22, vcc, v3, v0
	v_lshrrev_b32_e32 v0, 6, v22
	v_add_u32_e32 v0, 1, v0
	v_addc_co_u32_e32 v23, vcc, v2, v1, vcc
	v_and_b32_e32 v0, 3, v0
	v_pk_mov_b32 v[70:71], 0, 0
	v_cmp_ne_u32_e32 vcc, 0, v0
	s_mov_b64 s[16:17], 0
	v_pk_mov_b32 v[68:69], v[70:71], v[70:71] op_sel:[0,1]
	v_pk_mov_b32 v[74:75], v[70:71], v[70:71] op_sel:[0,1]
	;; [unrolled: 1-line block ×9, first 2 shown]
	s_and_saveexec_b64 s[14:15], vcc
	s_cbranch_execz .LBB144_21
; %bb.18:
	v_lshlrev_b64 v[2:3], 2, v[76:77]
	v_mov_b32_e32 v1, s13
	v_add_co_u32_e32 v26, vcc, s12, v2
	v_pk_mov_b32 v[84:85], 0, 0
	v_mov_b32_e32 v25, 0
	v_addc_co_u32_e32 v27, vcc, v1, v3, vcc
	v_lshlrev_b32_e32 v24, 2, v0
	s_movk_i32 s19, 0x2000
	s_waitcnt lgkmcnt(0)
	v_mov_b32_e32 v28, s11
	v_pk_mov_b32 v[20:21], v[76:77], v[76:77] op_sel:[0,1]
	v_pk_mov_b32 v[18:19], v[80:81], v[80:81] op_sel:[0,1]
	;; [unrolled: 1-line block ×9, first 2 shown]
.LBB144_19:                             ; =>This Inner Loop Header: Depth=1
	global_load_dword v29, v[26:27], off
	global_load_dwordx4 v[0:3], v[18:19], off offset:48
	global_load_dwordx4 v[8:11], v[18:19], off offset:32
	global_load_dwordx4 v[4:7], v[18:19], off offset:16
	global_load_dwordx4 v[12:15], v[18:19], off
	global_load_dwordx4 v[30:33], v[18:19], off offset:112
	global_load_dwordx4 v[34:37], v[18:19], off offset:96
	;; [unrolled: 1-line block ×4, first 2 shown]
	v_add_co_u32_e32 v18, vcc, s19, v18
	v_addc_co_u32_e32 v19, vcc, 0, v19, vcc
	v_add_co_u32_e32 v26, vcc, 0x100, v26
	v_addc_co_u32_e32 v27, vcc, 0, v27, vcc
	s_waitcnt vmcnt(8)
	v_subrev_u32_e32 v29, s20, v29
	v_lshlrev_b32_e32 v46, 2, v29
	v_ashrrev_i32_e32 v47, 31, v46
	v_lshlrev_b64 v[46:47], 4, v[46:47]
	v_add_co_u32_e64 v54, s[2:3], s10, v46
	v_addc_co_u32_e64 v55, s[2:3], v28, v47, s[2:3]
	global_load_dwordx4 v[46:49], v[54:55], off
	global_load_dwordx4 v[50:53], v[54:55], off offset:16
	global_load_dwordx4 v[90:93], v[54:55], off offset:32
	;; [unrolled: 1-line block ×3, first 2 shown]
	v_add_co_u32_e64 v20, s[2:3], 64, v20
	v_addc_co_u32_e64 v21, s[2:3], 0, v21, s[2:3]
	v_add_co_u32_e64 v24, s[2:3], -4, v24
	v_addc_co_u32_e64 v25, s[2:3], -1, v25, s[2:3]
	v_cmp_eq_u64_e64 s[2:3], 0, v[24:25]
	s_or_b64 s[16:17], s[2:3], s[16:17]
	s_waitcnt vmcnt(3)
	v_fmac_f64_e32 v[88:89], v[12:13], v[46:47]
	v_fmac_f64_e32 v[84:85], 0, v[46:47]
	v_fmac_f64_e32 v[86:87], v[8:9], v[46:47]
	v_fmac_f64_e32 v[82:83], 0, v[46:47]
	v_fmac_f64_e32 v[74:75], v[38:39], v[46:47]
	v_fmac_f64_e32 v[72:73], 0, v[46:47]
	v_fmac_f64_e32 v[70:71], v[34:35], v[46:47]
	v_fmac_f64_e32 v[68:69], 0, v[46:47]
	v_fmac_f64_e32 v[88:89], 0x80000000, v[48:49]
	v_fmac_f64_e32 v[84:85], v[12:13], v[48:49]
	v_fmac_f64_e32 v[86:87], 0x80000000, v[48:49]
	v_fmac_f64_e32 v[82:83], v[8:9], v[48:49]
	v_fmac_f64_e32 v[74:75], 0x80000000, v[48:49]
	v_fmac_f64_e32 v[72:73], v[38:39], v[48:49]
	v_fmac_f64_e32 v[70:71], 0x80000000, v[48:49]
	v_fmac_f64_e32 v[68:69], v[34:35], v[48:49]
	s_waitcnt vmcnt(2)
	v_fmac_f64_e32 v[88:89], v[14:15], v[50:51]
	v_fmac_f64_e32 v[84:85], 0, v[50:51]
	v_fmac_f64_e32 v[86:87], v[10:11], v[50:51]
	v_fmac_f64_e32 v[82:83], 0, v[50:51]
	v_fmac_f64_e32 v[74:75], v[40:41], v[50:51]
	v_fmac_f64_e32 v[72:73], 0, v[50:51]
	v_fmac_f64_e32 v[70:71], v[36:37], v[50:51]
	v_fmac_f64_e32 v[68:69], 0, v[50:51]
	v_fmac_f64_e32 v[84:85], v[14:15], v[52:53]
	v_fmac_f64_e32 v[82:83], v[10:11], v[52:53]
	v_fmac_f64_e32 v[72:73], v[40:41], v[52:53]
	v_fmac_f64_e32 v[88:89], 0x80000000, v[52:53]
	v_fmac_f64_e32 v[86:87], 0x80000000, v[52:53]
	v_fmac_f64_e32 v[74:75], 0x80000000, v[52:53]
	v_fmac_f64_e32 v[70:71], 0x80000000, v[52:53]
	v_fmac_f64_e32 v[68:69], v[36:37], v[52:53]
	;; [unrolled: 17-line block ×4, first 2 shown]
	s_andn2_b64 exec, exec, s[16:17]
	s_cbranch_execnz .LBB144_19
; %bb.20:
	s_or_b64 exec, exec, s[16:17]
.LBB144_21:
	s_or_b64 exec, exec, s[14:15]
	s_mov_b64 s[2:3], 0xbf
	v_cmp_lt_u64_e32 vcc, s[2:3], v[22:23]
	s_and_saveexec_b64 s[14:15], vcc
	s_cbranch_execz .LBB144_25
; %bb.22:
	v_lshlrev_b64 v[0:1], 2, v[20:21]
	v_mov_b32_e32 v2, s13
	v_add_co_u32_e32 v0, vcc, s12, v0
	v_addc_co_u32_e32 v1, vcc, v1, v2, vcc
	v_add_co_u32_e32 v0, vcc, 0x200, v0
	v_addc_co_u32_e32 v1, vcc, 0, v1, vcc
	s_mov_b64 s[16:17], 0
	s_waitcnt lgkmcnt(0)
	v_mov_b32_e32 v4, s11
	s_movk_i32 s19, 0x2000
	s_movk_i32 s21, 0x4000
	;; [unrolled: 1-line block ×3, first 2 shown]
.LBB144_23:                             ; =>This Inner Loop Header: Depth=1
	global_load_dword v2, v[0:1], off offset:-512
	global_load_dwordx4 v[6:9], v[18:19], off offset:48
	global_load_dwordx4 v[10:13], v[18:19], off offset:32
	;; [unrolled: 1-line block ×3, first 2 shown]
	global_load_dwordx4 v[26:29], v[18:19], off
	s_waitcnt vmcnt(4)
	v_subrev_u32_e32 v2, s20, v2
	v_lshlrev_b32_e32 v2, 2, v2
	v_ashrrev_i32_e32 v3, 31, v2
	v_lshlrev_b64 v[2:3], 4, v[2:3]
	v_add_co_u32_e32 v2, vcc, s10, v2
	v_addc_co_u32_e32 v3, vcc, v4, v3, vcc
	global_load_dwordx4 v[30:33], v[2:3], off offset:48
	global_load_dwordx4 v[34:37], v[2:3], off offset:32
	;; [unrolled: 1-line block ×3, first 2 shown]
	global_load_dwordx4 v[42:45], v[2:3], off
	v_add_co_u32_e32 v2, vcc, s19, v18
	v_addc_co_u32_e32 v3, vcc, 0, v19, vcc
	s_waitcnt vmcnt(0)
	v_fmac_f64_e32 v[84:85], 0, v[42:43]
	v_fmac_f64_e32 v[82:83], 0, v[42:43]
	;; [unrolled: 1-line block ×30, first 2 shown]
	global_load_dwordx4 v[6:9], v[18:19], off offset:112
	global_load_dwordx4 v[10:13], v[18:19], off offset:96
	;; [unrolled: 1-line block ×4, first 2 shown]
	global_load_dword v5, v[0:1], off offset:-256
	v_fmac_f64_e32 v[72:73], 0, v[42:43]
	v_fmac_f64_e32 v[68:69], 0, v[42:43]
	;; [unrolled: 1-line block ×4, first 2 shown]
	s_waitcnt vmcnt(3)
	v_fmac_f64_e32 v[70:71], v[10:11], v[42:43]
	v_fmac_f64_e32 v[70:71], 0x80000000, v[44:45]
	s_waitcnt vmcnt(1)
	v_fmac_f64_e32 v[74:75], v[26:27], v[42:43]
	v_fmac_f64_e32 v[74:75], 0x80000000, v[44:45]
	;; [unrolled: 1-line block ×4, first 2 shown]
	s_waitcnt vmcnt(0)
	v_subrev_u32_e32 v5, s20, v5
	v_fmac_f64_e32 v[74:75], v[28:29], v[38:39]
	v_fmac_f64_e32 v[72:73], 0, v[38:39]
	;; [unrolled: 1-line block ×4, first 2 shown]
	v_lshlrev_b32_e32 v14, 2, v5
	v_fmac_f64_e32 v[74:75], 0x80000000, v[40:41]
	v_fmac_f64_e32 v[72:73], v[28:29], v[40:41]
	;; [unrolled: 1-line block ×4, first 2 shown]
	v_ashrrev_i32_e32 v15, 31, v14
	v_fmac_f64_e32 v[74:75], v[22:23], v[34:35]
	v_fmac_f64_e32 v[72:73], 0, v[34:35]
	;; [unrolled: 1-line block ×4, first 2 shown]
	v_lshlrev_b64 v[14:15], 4, v[14:15]
	v_fmac_f64_e32 v[74:75], 0x80000000, v[36:37]
	v_fmac_f64_e32 v[72:73], v[22:23], v[36:37]
	;; [unrolled: 1-line block ×4, first 2 shown]
	v_add_co_u32_e32 v14, vcc, s10, v14
	v_fmac_f64_e32 v[74:75], v[24:25], v[30:31]
	v_fmac_f64_e32 v[72:73], 0, v[30:31]
	;; [unrolled: 1-line block ×4, first 2 shown]
	v_addc_co_u32_e32 v15, vcc, v4, v15, vcc
	v_fmac_f64_e32 v[74:75], 0x80000000, v[32:33]
	v_fmac_f64_e32 v[72:73], v[24:25], v[32:33]
	;; [unrolled: 1-line block ×4, first 2 shown]
	global_load_dwordx4 v[6:9], v[2:3], off
	global_load_dwordx4 v[10:13], v[2:3], off offset:48
	global_load_dwordx4 v[22:25], v[2:3], off offset:32
	;; [unrolled: 1-line block ×6, first 2 shown]
	global_load_dwordx4 v[42:45], v[14:15], off
	v_add_co_u32_e32 v14, vcc, s21, v18
	v_addc_co_u32_e32 v15, vcc, 0, v19, vcc
	s_waitcnt vmcnt(0)
	v_fmac_f64_e32 v[84:85], 0, v[42:43]
	v_fmac_f64_e32 v[82:83], 0, v[42:43]
	;; [unrolled: 1-line block ×30, first 2 shown]
	global_load_dwordx4 v[6:9], v[2:3], off offset:112
	global_load_dwordx4 v[10:13], v[2:3], off offset:96
	;; [unrolled: 1-line block ×4, first 2 shown]
	v_fmac_f64_e32 v[72:73], 0, v[42:43]
	global_load_dword v2, v[0:1], off
	v_fmac_f64_e32 v[68:69], 0, v[42:43]
	v_fmac_f64_e32 v[88:89], 0x80000000, v[32:33]
	;; [unrolled: 1-line block ×3, first 2 shown]
	s_waitcnt vmcnt(3)
	v_fmac_f64_e32 v[70:71], v[10:11], v[42:43]
	v_fmac_f64_e32 v[70:71], 0x80000000, v[44:45]
	s_waitcnt vmcnt(1)
	v_fmac_f64_e32 v[74:75], v[26:27], v[42:43]
	v_fmac_f64_e32 v[74:75], 0x80000000, v[44:45]
	;; [unrolled: 1-line block ×4, first 2 shown]
	s_waitcnt vmcnt(0)
	v_subrev_u32_e32 v2, s20, v2
	v_fmac_f64_e32 v[74:75], v[28:29], v[38:39]
	v_fmac_f64_e32 v[72:73], 0, v[38:39]
	;; [unrolled: 1-line block ×4, first 2 shown]
	v_lshlrev_b32_e32 v2, 2, v2
	v_fmac_f64_e32 v[74:75], 0x80000000, v[40:41]
	v_fmac_f64_e32 v[72:73], v[28:29], v[40:41]
	;; [unrolled: 1-line block ×4, first 2 shown]
	v_ashrrev_i32_e32 v3, 31, v2
	v_fmac_f64_e32 v[74:75], v[22:23], v[34:35]
	v_fmac_f64_e32 v[72:73], 0, v[34:35]
	;; [unrolled: 1-line block ×4, first 2 shown]
	v_lshlrev_b64 v[2:3], 4, v[2:3]
	v_fmac_f64_e32 v[74:75], 0x80000000, v[36:37]
	v_fmac_f64_e32 v[72:73], v[22:23], v[36:37]
	;; [unrolled: 1-line block ×4, first 2 shown]
	v_add_co_u32_e32 v2, vcc, s10, v2
	v_fmac_f64_e32 v[74:75], v[24:25], v[30:31]
	v_fmac_f64_e32 v[72:73], 0, v[30:31]
	;; [unrolled: 1-line block ×4, first 2 shown]
	v_addc_co_u32_e32 v3, vcc, v4, v3, vcc
	v_fmac_f64_e32 v[74:75], 0x80000000, v[32:33]
	v_fmac_f64_e32 v[72:73], v[24:25], v[32:33]
	;; [unrolled: 1-line block ×4, first 2 shown]
	global_load_dwordx4 v[6:9], v[14:15], off
	global_load_dwordx4 v[10:13], v[14:15], off offset:48
	global_load_dwordx4 v[22:25], v[14:15], off offset:32
	;; [unrolled: 1-line block ×6, first 2 shown]
	global_load_dwordx4 v[42:45], v[2:3], off
	s_waitcnt vmcnt(0)
	v_fmac_f64_e32 v[84:85], 0, v[42:43]
	v_fmac_f64_e32 v[82:83], 0, v[42:43]
	;; [unrolled: 1-line block ×30, first 2 shown]
	global_load_dwordx4 v[6:9], v[14:15], off offset:112
	global_load_dwordx4 v[10:13], v[14:15], off offset:96
	;; [unrolled: 1-line block ×4, first 2 shown]
	global_load_dword v2, v[0:1], off offset:256
	v_fmac_f64_e32 v[72:73], 0, v[42:43]
	v_fmac_f64_e32 v[68:69], 0, v[42:43]
	v_add_co_u32_e32 v14, vcc, s22, v18
	v_addc_co_u32_e32 v15, vcc, 0, v19, vcc
	v_fmac_f64_e32 v[88:89], 0x80000000, v[32:33]
	v_fmac_f64_e32 v[86:87], 0x80000000, v[32:33]
	s_waitcnt vmcnt(3)
	v_fmac_f64_e32 v[70:71], v[10:11], v[42:43]
	v_fmac_f64_e32 v[70:71], 0x80000000, v[44:45]
	s_waitcnt vmcnt(1)
	v_fmac_f64_e32 v[74:75], v[26:27], v[42:43]
	v_fmac_f64_e32 v[74:75], 0x80000000, v[44:45]
	;; [unrolled: 1-line block ×4, first 2 shown]
	s_waitcnt vmcnt(0)
	v_subrev_u32_e32 v2, s20, v2
	v_fmac_f64_e32 v[74:75], v[28:29], v[38:39]
	v_fmac_f64_e32 v[72:73], 0, v[38:39]
	;; [unrolled: 1-line block ×4, first 2 shown]
	v_lshlrev_b32_e32 v2, 2, v2
	v_fmac_f64_e32 v[74:75], 0x80000000, v[40:41]
	v_fmac_f64_e32 v[72:73], v[28:29], v[40:41]
	;; [unrolled: 1-line block ×4, first 2 shown]
	v_ashrrev_i32_e32 v3, 31, v2
	v_fmac_f64_e32 v[74:75], v[22:23], v[34:35]
	v_fmac_f64_e32 v[72:73], 0, v[34:35]
	;; [unrolled: 1-line block ×4, first 2 shown]
	v_lshlrev_b64 v[2:3], 4, v[2:3]
	v_fmac_f64_e32 v[74:75], 0x80000000, v[36:37]
	v_fmac_f64_e32 v[72:73], v[22:23], v[36:37]
	;; [unrolled: 1-line block ×4, first 2 shown]
	v_add_co_u32_e32 v2, vcc, s10, v2
	v_fmac_f64_e32 v[74:75], v[24:25], v[30:31]
	v_fmac_f64_e32 v[72:73], 0, v[30:31]
	;; [unrolled: 1-line block ×4, first 2 shown]
	v_addc_co_u32_e32 v3, vcc, v4, v3, vcc
	v_fmac_f64_e32 v[74:75], 0x80000000, v[32:33]
	v_fmac_f64_e32 v[72:73], v[24:25], v[32:33]
	;; [unrolled: 1-line block ×4, first 2 shown]
	global_load_dwordx4 v[6:9], v[14:15], off
	global_load_dwordx4 v[10:13], v[14:15], off offset:48
	global_load_dwordx4 v[22:25], v[14:15], off offset:32
	;; [unrolled: 1-line block ×6, first 2 shown]
	global_load_dwordx4 v[42:45], v[2:3], off
	v_add_co_u32_e32 v20, vcc, 0x100, v20
	v_addc_co_u32_e32 v21, vcc, 0, v21, vcc
	v_add_co_u32_e32 v0, vcc, 0x400, v0
	v_addc_co_u32_e32 v1, vcc, 0, v1, vcc
	v_cmp_ge_i64_e64 s[2:3], v[20:21], v[78:79]
	v_add_co_u32_e32 v18, vcc, 0x8000, v18
	v_addc_co_u32_e32 v19, vcc, 0, v19, vcc
	s_or_b64 s[16:17], s[2:3], s[16:17]
	s_waitcnt vmcnt(0)
	v_fmac_f64_e32 v[84:85], 0, v[42:43]
	v_fmac_f64_e32 v[82:83], 0, v[42:43]
	;; [unrolled: 1-line block ×30, first 2 shown]
	global_load_dwordx4 v[6:9], v[14:15], off offset:112
	global_load_dwordx4 v[10:13], v[14:15], off offset:96
	;; [unrolled: 1-line block ×4, first 2 shown]
	v_fmac_f64_e32 v[72:73], 0, v[42:43]
	v_fmac_f64_e32 v[68:69], 0, v[42:43]
	;; [unrolled: 1-line block ×4, first 2 shown]
	s_waitcnt vmcnt(2)
	v_fmac_f64_e32 v[70:71], v[10:11], v[42:43]
	v_fmac_f64_e32 v[70:71], 0x80000000, v[44:45]
	s_waitcnt vmcnt(0)
	v_fmac_f64_e32 v[74:75], v[26:27], v[42:43]
	v_fmac_f64_e32 v[74:75], 0x80000000, v[44:45]
	;; [unrolled: 1-line block ×28, first 2 shown]
	s_andn2_b64 exec, exec, s[16:17]
	s_cbranch_execnz .LBB144_23
; %bb.24:
	s_or_b64 exec, exec, s[16:17]
.LBB144_25:
	s_or_b64 exec, exec, s[14:15]
.LBB144_26:
	s_or_b64 exec, exec, s[8:9]
	s_andn2_b64 vcc, exec, s[4:5]
	s_cbranch_vccz .LBB144_28
	s_branch .LBB144_39
.LBB144_27:
                                        ; implicit-def: $vgpr84_vgpr85
                                        ; implicit-def: $vgpr88_vgpr89
                                        ; implicit-def: $vgpr82_vgpr83
                                        ; implicit-def: $vgpr86_vgpr87
                                        ; implicit-def: $vgpr72_vgpr73
                                        ; implicit-def: $vgpr74_vgpr75
                                        ; implicit-def: $vgpr68_vgpr69
                                        ; implicit-def: $vgpr70_vgpr71
.LBB144_28:
	v_pk_mov_b32 v[84:85], 0, 0
	v_pk_mov_b32 v[88:89], v[84:85], v[84:85] op_sel:[0,1]
	v_pk_mov_b32 v[82:83], v[84:85], v[84:85] op_sel:[0,1]
	;; [unrolled: 1-line block ×7, first 2 shown]
	s_and_saveexec_b64 s[14:15], s[0:1]
	s_cbranch_execz .LBB144_38
; %bb.29:
	v_or_b32_e32 v0, 64, v66
	v_mov_b32_e32 v1, s18
	v_subrev_co_u32_e32 v0, vcc, s20, v0
	v_subb_co_u32_e32 v1, vcc, 0, v1, vcc
	v_add_co_u32_e32 v0, vcc, v0, v16
	v_addc_co_u32_e32 v1, vcc, v1, v17, vcc
	v_cmp_gt_i64_e32 vcc, v[0:1], v[78:79]
	v_cndmask_b32_e32 v1, v79, v1, vcc
	v_cndmask_b32_e32 v0, v78, v0, vcc
	v_mov_b32_e32 v4, s18
	v_sub_co_u32_e32 v5, vcc, s20, v66
	v_not_b32_e32 v3, v16
	v_subbrev_co_u32_e32 v4, vcc, 0, v4, vcc
	v_not_b32_e32 v2, v17
	v_add_co_u32_e32 v3, vcc, v5, v3
	v_addc_co_u32_e32 v2, vcc, v4, v2, vcc
	v_add_co_u32_e32 v16, vcc, v3, v0
	v_lshrrev_b32_e32 v0, 6, v16
	v_add_u32_e32 v0, 1, v0
	v_addc_co_u32_e32 v17, vcc, v2, v1, vcc
	v_and_b32_e32 v0, 3, v0
	v_pk_mov_b32 v[70:71], 0, 0
	v_cmp_ne_u32_e32 vcc, 0, v0
	s_mov_b64 s[4:5], 0
	v_pk_mov_b32 v[68:69], v[70:71], v[70:71] op_sel:[0,1]
	v_pk_mov_b32 v[74:75], v[70:71], v[70:71] op_sel:[0,1]
	;; [unrolled: 1-line block ×7, first 2 shown]
	s_and_saveexec_b64 s[2:3], vcc
	s_cbranch_execz .LBB144_33
; %bb.30:
	v_lshlrev_b64 v[2:3], 2, v[76:77]
	v_mov_b32_e32 v1, s13
	v_add_co_u32_e32 v20, vcc, s12, v2
	v_pk_mov_b32 v[84:85], 0, 0
	v_mov_b32_e32 v19, 0
	v_addc_co_u32_e32 v21, vcc, v1, v3, vcc
	v_lshlrev_b32_e32 v18, 2, v0
	s_movk_i32 s8, 0x2000
	s_waitcnt lgkmcnt(0)
	v_mov_b32_e32 v22, s11
	v_pk_mov_b32 v[88:89], v[84:85], v[84:85] op_sel:[0,1]
	v_pk_mov_b32 v[82:83], v[84:85], v[84:85] op_sel:[0,1]
	v_pk_mov_b32 v[86:87], v[84:85], v[84:85] op_sel:[0,1]
	v_pk_mov_b32 v[72:73], v[84:85], v[84:85] op_sel:[0,1]
	v_pk_mov_b32 v[74:75], v[84:85], v[84:85] op_sel:[0,1]
	v_pk_mov_b32 v[68:69], v[84:85], v[84:85] op_sel:[0,1]
	v_pk_mov_b32 v[70:71], v[84:85], v[84:85] op_sel:[0,1]
.LBB144_31:                             ; =>This Inner Loop Header: Depth=1
	global_load_dword v23, v[20:21], off
	global_load_dwordx4 v[0:3], v[80:81], off offset:48
	global_load_dwordx4 v[4:7], v[80:81], off offset:32
	;; [unrolled: 1-line block ×3, first 2 shown]
	global_load_dwordx4 v[12:15], v[80:81], off
	global_load_dwordx4 v[24:27], v[80:81], off offset:112
	global_load_dwordx4 v[28:31], v[80:81], off offset:96
	;; [unrolled: 1-line block ×4, first 2 shown]
	v_add_co_u32_e64 v76, s[0:1], 64, v76
	v_addc_co_u32_e64 v77, s[0:1], 0, v77, s[0:1]
	v_add_co_u32_e64 v18, s[0:1], -4, v18
	v_addc_co_u32_e64 v19, s[0:1], -1, v19, s[0:1]
	v_cmp_eq_u64_e64 s[0:1], 0, v[18:19]
	s_or_b64 s[4:5], s[0:1], s[4:5]
	s_waitcnt vmcnt(8)
	v_subrev_u32_e32 v23, s20, v23
	v_lshlrev_b32_e32 v40, 2, v23
	v_ashrrev_i32_e32 v41, 31, v40
	v_lshlrev_b64 v[40:41], 4, v[40:41]
	v_add_co_u32_e32 v90, vcc, s10, v40
	v_addc_co_u32_e32 v91, vcc, v22, v41, vcc
	global_load_dwordx4 v[40:43], v[90:91], off
	global_load_dwordx4 v[44:47], v[90:91], off offset:16
	global_load_dwordx4 v[48:51], v[90:91], off offset:32
	;; [unrolled: 1-line block ×3, first 2 shown]
	v_add_co_u32_e32 v80, vcc, s8, v80
	v_addc_co_u32_e32 v81, vcc, 0, v81, vcc
	v_add_co_u32_e32 v20, vcc, 0x100, v20
	v_addc_co_u32_e32 v21, vcc, 0, v21, vcc
	s_waitcnt vmcnt(3)
	v_fmac_f64_e32 v[88:89], v[12:13], v[40:41]
	v_fmac_f64_e32 v[84:85], 0, v[40:41]
	v_fmac_f64_e32 v[86:87], v[14:15], v[40:41]
	v_fmac_f64_e32 v[82:83], 0, v[40:41]
	v_fmac_f64_e32 v[74:75], v[8:9], v[40:41]
	v_fmac_f64_e32 v[72:73], 0, v[40:41]
	v_fmac_f64_e32 v[70:71], v[10:11], v[40:41]
	v_fmac_f64_e32 v[68:69], 0, v[40:41]
	v_fmac_f64_e32 v[88:89], 0x80000000, v[42:43]
	v_fmac_f64_e32 v[84:85], v[12:13], v[42:43]
	v_fmac_f64_e32 v[86:87], 0x80000000, v[42:43]
	v_fmac_f64_e32 v[82:83], v[14:15], v[42:43]
	v_fmac_f64_e32 v[74:75], 0x80000000, v[42:43]
	v_fmac_f64_e32 v[72:73], v[8:9], v[42:43]
	v_fmac_f64_e32 v[70:71], 0x80000000, v[42:43]
	v_fmac_f64_e32 v[68:69], v[10:11], v[42:43]
	s_waitcnt vmcnt(2)
	v_fmac_f64_e32 v[88:89], v[4:5], v[44:45]
	v_fmac_f64_e32 v[84:85], 0, v[44:45]
	v_fmac_f64_e32 v[86:87], v[6:7], v[44:45]
	v_fmac_f64_e32 v[82:83], 0, v[44:45]
	v_fmac_f64_e32 v[74:75], v[0:1], v[44:45]
	v_fmac_f64_e32 v[72:73], 0, v[44:45]
	v_fmac_f64_e32 v[70:71], v[2:3], v[44:45]
	v_fmac_f64_e32 v[68:69], 0, v[44:45]
	v_fmac_f64_e32 v[88:89], 0x80000000, v[46:47]
	v_fmac_f64_e32 v[84:85], v[4:5], v[46:47]
	v_fmac_f64_e32 v[86:87], 0x80000000, v[46:47]
	v_fmac_f64_e32 v[82:83], v[6:7], v[46:47]
	v_fmac_f64_e32 v[74:75], 0x80000000, v[46:47]
	v_fmac_f64_e32 v[72:73], v[0:1], v[46:47]
	v_fmac_f64_e32 v[70:71], 0x80000000, v[46:47]
	v_fmac_f64_e32 v[68:69], v[2:3], v[46:47]
	;; [unrolled: 17-line block ×4, first 2 shown]
	s_andn2_b64 exec, exec, s[4:5]
	s_cbranch_execnz .LBB144_31
; %bb.32:
	s_or_b64 exec, exec, s[4:5]
.LBB144_33:
	s_or_b64 exec, exec, s[2:3]
	s_mov_b64 s[0:1], 0xbf
	v_cmp_lt_u64_e32 vcc, s[0:1], v[16:17]
	s_and_saveexec_b64 s[16:17], vcc
	s_cbranch_execz .LBB144_37
; %bb.34:
	v_lshlrev_b64 v[0:1], 2, v[76:77]
	v_mov_b32_e32 v2, s13
	v_add_co_u32_e32 v0, vcc, s12, v0
	v_addc_co_u32_e32 v1, vcc, v1, v2, vcc
	v_add_co_u32_e32 v90, vcc, 0x200, v0
	v_addc_co_u32_e32 v91, vcc, 0, v1, vcc
	s_mov_b64 s[12:13], 0
	s_waitcnt lgkmcnt(0)
	v_mov_b32_e32 v65, s11
	s_movk_i32 s11, 0x2000
	s_movk_i32 s18, 0x4000
	;; [unrolled: 1-line block ×3, first 2 shown]
.LBB144_35:                             ; =>This Inner Loop Header: Depth=1
	global_load_dword v34, v[90:91], off offset:-512
	global_load_dwordx4 v[0:3], v[80:81], off offset:48
	global_load_dwordx4 v[4:7], v[80:81], off offset:32
	;; [unrolled: 1-line block ×3, first 2 shown]
	global_load_dwordx4 v[16:19], v[80:81], off
	global_load_dwordx4 v[12:15], v[80:81], off offset:112
	global_load_dwordx4 v[20:23], v[80:81], off offset:96
	;; [unrolled: 1-line block ×4, first 2 shown]
	v_add_co_u32_e64 v32, s[2:3], s11, v80
	v_add_co_u32_e64 v48, s[0:1], s18, v80
	;; [unrolled: 1-line block ×3, first 2 shown]
	v_add_co_u32_e32 v76, vcc, 0x100, v76
	s_mov_b64 s[4:5], vcc
	v_addc_co_u32_e64 v33, vcc, 0, v81, s[2:3]
	v_addc_co_u32_e64 v49, vcc, 0, v81, s[0:1]
	v_addc_co_u32_e64 v93, vcc, 0, v81, s[8:9]
	global_load_dword v40, v[90:91], off offset:-256
	global_load_dword v67, v[90:91], off
	global_load_dword v94, v[90:91], off offset:256
	v_add_co_u32_e32 v90, vcc, 0x400, v90
	s_mov_b64 s[0:1], vcc
	global_load_dwordx4 v[96:99], v[32:33], off offset:48
	global_load_dwordx4 v[100:103], v[32:33], off offset:32
	global_load_dwordx4 v[104:107], v[32:33], off
	global_load_dwordx4 v[108:111], v[32:33], off offset:16
	global_load_dwordx4 v[36:39], v[32:33], off offset:112
	v_addc_co_u32_e64 v91, s[0:1], 0, v91, s[0:1]
	global_load_dwordx4 v[112:115], v[32:33], off offset:80
	global_load_dwordx4 v[52:55], v[48:49], off offset:16
	s_waitcnt vmcnt(18)
	v_subrev_u32_e32 v34, s20, v34
	v_lshlrev_b32_e32 v34, 2, v34
	v_ashrrev_i32_e32 v35, 31, v34
	v_lshlrev_b64 v[34:35], 4, v[34:35]
	v_add_co_u32_e32 v50, vcc, s10, v34
	v_addc_co_u32_e32 v51, vcc, v65, v35, vcc
	global_load_dwordx4 v[42:45], v[50:51], off
	s_waitcnt vmcnt(0)
	v_fmac_f64_e32 v[72:73], 0, v[42:43]
	v_fmac_f64_e32 v[68:69], 0, v[42:43]
	;; [unrolled: 1-line block ×6, first 2 shown]
	global_load_dwordx4 v[8:11], v[50:51], off offset:16
	v_fmac_f64_e32 v[74:75], 0x80000000, v[44:45]
	v_fmac_f64_e32 v[70:71], 0x80000000, v[44:45]
	;; [unrolled: 1-line block ×10, first 2 shown]
	global_load_dwordx4 v[44:47], v[32:33], off offset:96
	global_load_dwordx4 v[16:19], v[48:49], off offset:48
	s_waitcnt vmcnt(2)
	v_fmac_f64_e32 v[72:73], 0, v[8:9]
	v_fmac_f64_e32 v[68:69], 0, v[8:9]
	;; [unrolled: 1-line block ×6, first 2 shown]
	global_load_dwordx4 v[0:3], v[50:51], off offset:32
	v_fmac_f64_e32 v[88:89], v[4:5], v[8:9]
	v_fmac_f64_e32 v[84:85], 0, v[8:9]
	v_fmac_f64_e32 v[86:87], v[6:7], v[8:9]
	v_fmac_f64_e32 v[82:83], 0, v[8:9]
	v_fmac_f64_e32 v[84:85], v[4:5], v[10:11]
	v_fmac_f64_e32 v[82:83], v[6:7], v[10:11]
	v_fmac_f64_e32 v[88:89], 0x80000000, v[10:11]
	v_fmac_f64_e32 v[86:87], 0x80000000, v[10:11]
	v_fmac_f64_e32 v[74:75], 0x80000000, v[10:11]
	v_fmac_f64_e32 v[70:71], 0x80000000, v[10:11]
	global_load_dwordx4 v[8:11], v[32:33], off offset:64
	global_load_dwordx4 v[4:7], v[48:49], off offset:96
	s_waitcnt vmcnt(2)
	v_fmac_f64_e32 v[88:89], v[28:29], v[0:1]
	v_fmac_f64_e32 v[84:85], 0, v[0:1]
	;; [unrolled: 1-line block ×8, first 2 shown]
	v_subrev_u32_e32 v0, s20, v40
	global_load_dwordx4 v[40:43], v[48:49], off offset:80
	v_lshlrev_b32_e32 v0, 2, v0
	v_ashrrev_i32_e32 v1, 31, v0
	v_lshlrev_b64 v[0:1], 4, v[0:1]
	v_fmac_f64_e32 v[72:73], v[24:25], v[2:3]
	v_add_co_u32_e32 v24, vcc, s10, v0
	v_fmac_f64_e32 v[84:85], v[28:29], v[2:3]
	v_fmac_f64_e32 v[82:83], v[30:31], v[2:3]
	v_fmac_f64_e32 v[68:69], v[26:27], v[2:3]
	v_fmac_f64_e32 v[88:89], 0x80000000, v[2:3]
	v_fmac_f64_e32 v[86:87], 0x80000000, v[2:3]
	v_fmac_f64_e32 v[74:75], 0x80000000, v[2:3]
	v_fmac_f64_e32 v[70:71], 0x80000000, v[2:3]
	v_addc_co_u32_e32 v25, vcc, v65, v1, vcc
	global_load_dwordx4 v[0:3], v[50:51], off offset:48
	global_load_dwordx4 v[28:31], v[48:49], off
	global_load_dwordx4 v[32:35], v[48:49], off offset:32
	s_waitcnt vmcnt(2)
	v_fmac_f64_e32 v[72:73], 0, v[0:1]
	v_fmac_f64_e32 v[68:69], 0, v[0:1]
	v_fmac_f64_e32 v[74:75], v[12:13], v[0:1]
	v_fmac_f64_e32 v[70:71], v[14:15], v[0:1]
	v_fmac_f64_e32 v[72:73], v[12:13], v[2:3]
	v_fmac_f64_e32 v[68:69], v[14:15], v[2:3]
	global_load_dwordx4 v[12:15], v[24:25], off
	v_fmac_f64_e32 v[88:89], v[20:21], v[0:1]
	v_fmac_f64_e32 v[84:85], 0, v[0:1]
	;; [unrolled: 1-line block ×6, first 2 shown]
	global_load_dwordx4 v[20:23], v[24:25], off offset:32
	v_fmac_f64_e32 v[88:89], 0x80000000, v[2:3]
	v_fmac_f64_e32 v[86:87], 0x80000000, v[2:3]
	;; [unrolled: 1-line block ×4, first 2 shown]
	global_load_dwordx4 v[0:3], v[48:49], off offset:112
	s_waitcnt vmcnt(2)
	v_fmac_f64_e32 v[88:89], v[104:105], v[12:13]
	v_fmac_f64_e32 v[84:85], 0, v[12:13]
	;; [unrolled: 1-line block ×16, first 2 shown]
	global_load_dwordx4 v[12:15], v[24:25], off offset:16
	s_waitcnt vmcnt(0)
	v_fmac_f64_e32 v[88:89], v[100:101], v[12:13]
	v_fmac_f64_e32 v[84:85], 0, v[12:13]
	;; [unrolled: 1-line block ×24, first 2 shown]
	global_load_dwordx4 v[48:51], v[48:49], off offset:64
	v_fmac_f64_e32 v[84:85], v[8:9], v[22:23]
	global_load_dwordx4 v[12:15], v[92:93], off offset:32
	v_fmac_f64_e32 v[82:83], v[10:11], v[22:23]
	;; [unrolled: 2-line block ×3, first 2 shown]
	v_fmac_f64_e32 v[68:69], v[114:115], v[22:23]
	v_fmac_f64_e32 v[88:89], 0x80000000, v[22:23]
	;; [unrolled: 1-line block ×5, first 2 shown]
	global_load_dwordx4 v[20:23], v[92:93], off
	global_load_dwordx4 v[96:99], v[24:25], off offset:48
	s_waitcnt vmcnt(0)
	v_fmac_f64_e32 v[84:85], 0, v[96:97]
	v_fmac_f64_e32 v[88:89], v[44:45], v[96:97]
	;; [unrolled: 1-line block ×3, first 2 shown]
	v_subrev_u32_e32 v44, s20, v67
	v_fmac_f64_e32 v[72:73], 0, v[96:97]
	v_fmac_f64_e32 v[74:75], v[36:37], v[96:97]
	;; [unrolled: 1-line block ×3, first 2 shown]
	v_lshlrev_b32_e32 v36, 2, v44
	v_ashrrev_i32_e32 v37, 31, v36
	v_lshlrev_b64 v[36:37], 4, v[36:37]
	v_fmac_f64_e32 v[86:87], v[46:47], v[96:97]
	v_fmac_f64_e32 v[82:83], 0, v[96:97]
	v_fmac_f64_e32 v[70:71], v[38:39], v[96:97]
	v_fmac_f64_e32 v[68:69], 0, v[96:97]
	v_add_co_u32_e32 v96, vcc, s10, v36
	v_addc_co_u32_e32 v97, vcc, v65, v37, vcc
	v_fmac_f64_e32 v[82:83], v[46:47], v[98:99]
	global_load_dwordx4 v[44:47], v[96:97], off
	v_fmac_f64_e32 v[68:69], v[38:39], v[98:99]
	v_fmac_f64_e32 v[88:89], 0x80000000, v[98:99]
	;; [unrolled: 1-line block ×5, first 2 shown]
	global_load_dwordx4 v[24:27], v[92:93], off offset:16
	global_load_dwordx4 v[36:39], v[92:93], off offset:96
	s_waitcnt vmcnt(2)
	v_fmac_f64_e32 v[88:89], v[28:29], v[44:45]
	v_fmac_f64_e32 v[84:85], 0, v[44:45]
	;; [unrolled: 1-line block ×16, first 2 shown]
	global_load_dwordx4 v[44:47], v[96:97], off offset:16
	v_subrev_u32_e32 v52, s20, v94
	v_lshlrev_b32_e32 v52, 2, v52
	v_ashrrev_i32_e32 v53, 31, v52
	v_lshlrev_b64 v[52:53], 4, v[52:53]
	v_add_co_u32_e32 v98, vcc, s10, v52
	v_addc_co_u32_e32 v99, vcc, v65, v53, vcc
	global_load_dwordx4 v[52:55], v[92:93], off offset:64
	global_load_dwordx4 v[28:31], v[92:93], off offset:112
	v_addc_co_u32_e64 v77, vcc, 0, v77, s[4:5]
	v_add_co_u32_e32 v80, vcc, 0x8000, v80
	v_cmp_ge_i64_e64 s[0:1], v[76:77], v[78:79]
	v_addc_co_u32_e32 v81, vcc, 0, v81, vcc
	s_or_b64 s[12:13], s[0:1], s[12:13]
	s_waitcnt vmcnt(2)
	v_fmac_f64_e32 v[72:73], 0, v[44:45]
	v_fmac_f64_e32 v[68:69], 0, v[44:45]
	;; [unrolled: 1-line block ×6, first 2 shown]
	global_load_dwordx4 v[16:19], v[96:97], off offset:32
	v_fmac_f64_e32 v[88:89], v[32:33], v[44:45]
	v_fmac_f64_e32 v[84:85], 0, v[44:45]
	;; [unrolled: 1-line block ×10, first 2 shown]
	global_load_dwordx4 v[44:47], v[96:97], off offset:48
	global_load_dwordx4 v[32:35], v[92:93], off offset:80
	s_waitcnt vmcnt(2)
	v_fmac_f64_e32 v[84:85], 0, v[16:17]
	v_fmac_f64_e32 v[82:83], 0, v[16:17]
	;; [unrolled: 1-line block ×6, first 2 shown]
	global_load_dwordx4 v[48:51], v[98:99], off
	v_fmac_f64_e32 v[72:73], 0, v[16:17]
	v_fmac_f64_e32 v[68:69], 0, v[16:17]
	;; [unrolled: 1-line block ×6, first 2 shown]
	global_load_dwordx4 v[40:43], v[98:99], off offset:16
	v_fmac_f64_e32 v[88:89], 0x80000000, v[18:19]
	v_fmac_f64_e32 v[86:87], 0x80000000, v[18:19]
	;; [unrolled: 1-line block ×4, first 2 shown]
	global_load_dwordx4 v[16:19], v[98:99], off offset:32
	global_load_dwordx4 v[92:95], v[98:99], off offset:48
	s_waitcnt vmcnt(5)
	v_fmac_f64_e32 v[88:89], v[4:5], v[44:45]
	v_fmac_f64_e32 v[84:85], 0, v[44:45]
	v_fmac_f64_e32 v[86:87], v[6:7], v[44:45]
	v_fmac_f64_e32 v[82:83], 0, v[44:45]
	v_fmac_f64_e32 v[74:75], v[0:1], v[44:45]
	v_fmac_f64_e32 v[72:73], 0, v[44:45]
	v_fmac_f64_e32 v[70:71], v[2:3], v[44:45]
	v_fmac_f64_e32 v[68:69], 0, v[44:45]
	v_fmac_f64_e32 v[88:89], 0x80000000, v[46:47]
	v_fmac_f64_e32 v[84:85], v[4:5], v[46:47]
	v_fmac_f64_e32 v[86:87], 0x80000000, v[46:47]
	v_fmac_f64_e32 v[82:83], v[6:7], v[46:47]
	v_fmac_f64_e32 v[74:75], 0x80000000, v[46:47]
	v_fmac_f64_e32 v[72:73], v[0:1], v[46:47]
	v_fmac_f64_e32 v[70:71], 0x80000000, v[46:47]
	v_fmac_f64_e32 v[68:69], v[2:3], v[46:47]
	s_waitcnt vmcnt(3)
	v_fmac_f64_e32 v[88:89], v[20:21], v[48:49]
	v_fmac_f64_e32 v[84:85], 0, v[48:49]
	v_fmac_f64_e32 v[86:87], v[22:23], v[48:49]
	v_fmac_f64_e32 v[82:83], 0, v[48:49]
	v_fmac_f64_e32 v[74:75], v[24:25], v[48:49]
	v_fmac_f64_e32 v[72:73], 0, v[48:49]
	v_fmac_f64_e32 v[70:71], v[26:27], v[48:49]
	v_fmac_f64_e32 v[68:69], 0, v[48:49]
	v_fmac_f64_e32 v[88:89], 0x80000000, v[50:51]
	v_fmac_f64_e32 v[84:85], v[20:21], v[50:51]
	v_fmac_f64_e32 v[86:87], 0x80000000, v[50:51]
	v_fmac_f64_e32 v[82:83], v[22:23], v[50:51]
	v_fmac_f64_e32 v[74:75], 0x80000000, v[50:51]
	v_fmac_f64_e32 v[72:73], v[24:25], v[50:51]
	v_fmac_f64_e32 v[70:71], 0x80000000, v[50:51]
	v_fmac_f64_e32 v[68:69], v[26:27], v[50:51]
	;; [unrolled: 17-line block ×5, first 2 shown]
	s_andn2_b64 exec, exec, s[12:13]
	s_cbranch_execnz .LBB144_35
; %bb.36:
	s_or_b64 exec, exec, s[12:13]
.LBB144_37:
	s_or_b64 exec, exec, s[16:17]
.LBB144_38:
	s_or_b64 exec, exec, s[14:15]
.LBB144_39:
	v_mov_b32_dpp v0, v88 row_shr:1 row_mask:0xf bank_mask:0xf
	v_mov_b32_dpp v1, v89 row_shr:1 row_mask:0xf bank_mask:0xf
	v_mov_b32_dpp v4, v84 row_shr:1 row_mask:0xf bank_mask:0xf
	v_mov_b32_dpp v5, v85 row_shr:1 row_mask:0xf bank_mask:0xf
	v_mov_b32_dpp v8, v86 row_shr:1 row_mask:0xf bank_mask:0xf
	v_mov_b32_dpp v9, v87 row_shr:1 row_mask:0xf bank_mask:0xf
	v_mov_b32_dpp v12, v82 row_shr:1 row_mask:0xf bank_mask:0xf
	v_mov_b32_dpp v13, v83 row_shr:1 row_mask:0xf bank_mask:0xf
	v_mov_b32_dpp v16, v74 row_shr:1 row_mask:0xf bank_mask:0xf
	v_mov_b32_dpp v17, v75 row_shr:1 row_mask:0xf bank_mask:0xf
	v_mov_b32_dpp v20, v72 row_shr:1 row_mask:0xf bank_mask:0xf
	v_mov_b32_dpp v21, v73 row_shr:1 row_mask:0xf bank_mask:0xf
	v_mov_b32_dpp v24, v70 row_shr:1 row_mask:0xf bank_mask:0xf
	v_mov_b32_dpp v25, v71 row_shr:1 row_mask:0xf bank_mask:0xf
	v_mov_b32_dpp v28, v68 row_shr:1 row_mask:0xf bank_mask:0xf
	v_mov_b32_dpp v29, v69 row_shr:1 row_mask:0xf bank_mask:0xf
	v_add_f64 v[0:1], v[88:89], v[0:1]
	v_add_f64 v[4:5], v[84:85], v[4:5]
	v_add_f64 v[8:9], v[86:87], v[8:9]
	v_add_f64 v[12:13], v[82:83], v[12:13]
	v_add_f64 v[16:17], v[74:75], v[16:17]
	v_add_f64 v[20:21], v[72:73], v[20:21]
	v_add_f64 v[24:25], v[70:71], v[24:25]
	v_add_f64 v[28:29], v[68:69], v[28:29]
	v_mov_b32_dpp v2, v0 row_shr:2 row_mask:0xf bank_mask:0xf
	v_mov_b32_dpp v3, v1 row_shr:2 row_mask:0xf bank_mask:0xf
	v_mov_b32_dpp v6, v4 row_shr:2 row_mask:0xf bank_mask:0xf
	v_mov_b32_dpp v7, v5 row_shr:2 row_mask:0xf bank_mask:0xf
	v_mov_b32_dpp v10, v8 row_shr:2 row_mask:0xf bank_mask:0xf
	v_mov_b32_dpp v11, v9 row_shr:2 row_mask:0xf bank_mask:0xf
	v_mov_b32_dpp v14, v12 row_shr:2 row_mask:0xf bank_mask:0xf
	v_mov_b32_dpp v15, v13 row_shr:2 row_mask:0xf bank_mask:0xf
	v_mov_b32_dpp v18, v16 row_shr:2 row_mask:0xf bank_mask:0xf
	v_mov_b32_dpp v19, v17 row_shr:2 row_mask:0xf bank_mask:0xf
	v_mov_b32_dpp v22, v20 row_shr:2 row_mask:0xf bank_mask:0xf
	v_mov_b32_dpp v23, v21 row_shr:2 row_mask:0xf bank_mask:0xf
	v_mov_b32_dpp v26, v24 row_shr:2 row_mask:0xf bank_mask:0xf
	v_mov_b32_dpp v27, v25 row_shr:2 row_mask:0xf bank_mask:0xf
	v_mov_b32_dpp v30, v28 row_shr:2 row_mask:0xf bank_mask:0xf
	v_mov_b32_dpp v31, v29 row_shr:2 row_mask:0xf bank_mask:0xf
	v_add_f64 v[0:1], v[0:1], v[2:3]
	v_add_f64 v[4:5], v[4:5], v[6:7]
	v_add_f64 v[8:9], v[8:9], v[10:11]
	v_add_f64 v[12:13], v[12:13], v[14:15]
	v_add_f64 v[16:17], v[16:17], v[18:19]
	v_add_f64 v[20:21], v[20:21], v[22:23]
	v_add_f64 v[24:25], v[24:25], v[26:27]
	v_add_f64 v[28:29], v[28:29], v[30:31]
	v_mov_b32_dpp v2, v0 row_shr:4 row_mask:0xf bank_mask:0xe
	v_mov_b32_dpp v3, v1 row_shr:4 row_mask:0xf bank_mask:0xe
	v_mov_b32_dpp v6, v4 row_shr:4 row_mask:0xf bank_mask:0xe
	v_mov_b32_dpp v7, v5 row_shr:4 row_mask:0xf bank_mask:0xe
	v_mov_b32_dpp v10, v8 row_shr:4 row_mask:0xf bank_mask:0xe
	v_mov_b32_dpp v11, v9 row_shr:4 row_mask:0xf bank_mask:0xe
	v_mov_b32_dpp v14, v12 row_shr:4 row_mask:0xf bank_mask:0xe
	v_mov_b32_dpp v15, v13 row_shr:4 row_mask:0xf bank_mask:0xe
	v_mov_b32_dpp v18, v16 row_shr:4 row_mask:0xf bank_mask:0xe
	v_mov_b32_dpp v19, v17 row_shr:4 row_mask:0xf bank_mask:0xe
	v_mov_b32_dpp v22, v20 row_shr:4 row_mask:0xf bank_mask:0xe
	v_mov_b32_dpp v23, v21 row_shr:4 row_mask:0xf bank_mask:0xe
	v_mov_b32_dpp v26, v24 row_shr:4 row_mask:0xf bank_mask:0xe
	v_mov_b32_dpp v27, v25 row_shr:4 row_mask:0xf bank_mask:0xe
	v_mov_b32_dpp v30, v28 row_shr:4 row_mask:0xf bank_mask:0xe
	v_mov_b32_dpp v31, v29 row_shr:4 row_mask:0xf bank_mask:0xe
	v_add_f64 v[0:1], v[0:1], v[2:3]
	v_add_f64 v[4:5], v[4:5], v[6:7]
	v_add_f64 v[8:9], v[8:9], v[10:11]
	v_add_f64 v[12:13], v[12:13], v[14:15]
	v_add_f64 v[16:17], v[16:17], v[18:19]
	v_add_f64 v[20:21], v[20:21], v[22:23]
	v_add_f64 v[24:25], v[24:25], v[26:27]
	v_add_f64 v[28:29], v[28:29], v[30:31]
	v_mov_b32_dpp v2, v0 row_shr:8 row_mask:0xf bank_mask:0xc
	v_mov_b32_dpp v3, v1 row_shr:8 row_mask:0xf bank_mask:0xc
	v_mov_b32_dpp v6, v4 row_shr:8 row_mask:0xf bank_mask:0xc
	v_mov_b32_dpp v7, v5 row_shr:8 row_mask:0xf bank_mask:0xc
	v_mov_b32_dpp v10, v8 row_shr:8 row_mask:0xf bank_mask:0xc
	v_mov_b32_dpp v11, v9 row_shr:8 row_mask:0xf bank_mask:0xc
	v_mov_b32_dpp v14, v12 row_shr:8 row_mask:0xf bank_mask:0xc
	v_mov_b32_dpp v15, v13 row_shr:8 row_mask:0xf bank_mask:0xc
	v_mov_b32_dpp v18, v16 row_shr:8 row_mask:0xf bank_mask:0xc
	v_mov_b32_dpp v19, v17 row_shr:8 row_mask:0xf bank_mask:0xc
	v_mov_b32_dpp v22, v20 row_shr:8 row_mask:0xf bank_mask:0xc
	v_mov_b32_dpp v23, v21 row_shr:8 row_mask:0xf bank_mask:0xc
	v_mov_b32_dpp v26, v24 row_shr:8 row_mask:0xf bank_mask:0xc
	v_mov_b32_dpp v27, v25 row_shr:8 row_mask:0xf bank_mask:0xc
	v_mov_b32_dpp v30, v28 row_shr:8 row_mask:0xf bank_mask:0xc
	v_mov_b32_dpp v31, v29 row_shr:8 row_mask:0xf bank_mask:0xc
	v_add_f64 v[0:1], v[0:1], v[2:3]
	v_add_f64 v[4:5], v[4:5], v[6:7]
	v_add_f64 v[8:9], v[8:9], v[10:11]
	v_add_f64 v[12:13], v[12:13], v[14:15]
	v_add_f64 v[16:17], v[16:17], v[18:19]
	v_add_f64 v[20:21], v[20:21], v[22:23]
	v_add_f64 v[24:25], v[24:25], v[26:27]
	v_add_f64 v[28:29], v[28:29], v[30:31]
	v_mov_b32_dpp v2, v0 row_bcast:15 row_mask:0xa bank_mask:0xf
	v_mov_b32_dpp v3, v1 row_bcast:15 row_mask:0xa bank_mask:0xf
	;; [unrolled: 1-line block ×16, first 2 shown]
	v_add_f64 v[0:1], v[0:1], v[2:3]
	v_add_f64 v[4:5], v[4:5], v[6:7]
	;; [unrolled: 1-line block ×8, first 2 shown]
	v_mov_b32_dpp v2, v0 row_bcast:31 row_mask:0xc bank_mask:0xf
	v_mov_b32_dpp v3, v1 row_bcast:31 row_mask:0xc bank_mask:0xf
	;; [unrolled: 1-line block ×16, first 2 shown]
	v_cmp_eq_u32_e32 vcc, 63, v66
	s_and_b64 exec, exec, vcc
	s_cbranch_execz .LBB144_12
; %bb.40:
	s_load_dwordx2 s[2:3], s[6:7], 0x60
	v_add_f64 v[32:33], v[0:1], v[2:3]
	v_add_f64 v[0:1], v[4:5], v[6:7]
	;; [unrolled: 1-line block ×8, first 2 shown]
	v_cmp_eq_f64_e32 vcc, 0, v[56:57]
	v_cmp_eq_f64_e64 s[0:1], 0, v[58:59]
	v_mul_f64 v[12:13], v[0:1], -v[62:63]
	v_mul_f64 v[14:15], v[60:61], v[0:1]
	v_mul_f64 v[8:9], v[2:3], -v[62:63]
	v_mul_f64 v[10:11], v[60:61], v[2:3]
	;; [unrolled: 2-line block ×4, first 2 shown]
	s_and_b64 s[0:1], vcc, s[0:1]
	v_fmac_f64_e32 v[12:13], v[60:61], v[32:33]
	v_fmac_f64_e32 v[14:15], v[62:63], v[32:33]
	v_lshlrev_b32_e32 v16, 2, v64
	v_fmac_f64_e32 v[8:9], v[60:61], v[34:35]
	v_fmac_f64_e32 v[10:11], v[62:63], v[34:35]
	;; [unrolled: 1-line block ×6, first 2 shown]
	s_and_saveexec_b64 s[4:5], s[0:1]
	s_xor_b64 s[0:1], exec, s[4:5]
	s_cbranch_execz .LBB144_42
; %bb.41:
	v_ashrrev_i32_e32 v17, 31, v16
	v_lshlrev_b64 v[16:17], 4, v[16:17]
	s_waitcnt lgkmcnt(0)
	v_mov_b32_e32 v18, s3
	v_add_co_u32_e32 v16, vcc, s2, v16
	v_addc_co_u32_e32 v17, vcc, v18, v17, vcc
	global_store_dwordx4 v[16:17], v[12:15], off
	global_store_dwordx4 v[16:17], v[8:11], off offset:16
	global_store_dwordx4 v[16:17], v[4:7], off offset:32
	;; [unrolled: 1-line block ×3, first 2 shown]
                                        ; implicit-def: $vgpr56_vgpr57
                                        ; implicit-def: $vgpr58_vgpr59
                                        ; implicit-def: $vgpr12_vgpr13
                                        ; implicit-def: $vgpr16
                                        ; implicit-def: $vgpr8_vgpr9
                                        ; implicit-def: $vgpr4_vgpr5
                                        ; implicit-def: $vgpr0_vgpr1
.LBB144_42:
	s_andn2_saveexec_b64 s[0:1], s[0:1]
	s_cbranch_execz .LBB144_12
; %bb.43:
	v_ashrrev_i32_e32 v17, 31, v16
	v_lshlrev_b64 v[16:17], 4, v[16:17]
	s_waitcnt lgkmcnt(0)
	v_mov_b32_e32 v18, s3
	v_add_co_u32_e32 v32, vcc, s2, v16
	v_addc_co_u32_e32 v33, vcc, v18, v17, vcc
	global_load_dwordx4 v[16:19], v[32:33], off
	global_load_dwordx4 v[20:23], v[32:33], off offset:16
	global_load_dwordx4 v[24:27], v[32:33], off offset:32
	;; [unrolled: 1-line block ×3, first 2 shown]
	s_waitcnt vmcnt(3)
	v_fmac_f64_e32 v[12:13], v[56:57], v[16:17]
	v_fmac_f64_e32 v[14:15], v[58:59], v[16:17]
	s_waitcnt vmcnt(2)
	v_fmac_f64_e32 v[8:9], v[56:57], v[20:21]
	v_fmac_f64_e32 v[10:11], v[58:59], v[20:21]
	;; [unrolled: 3-line block ×4, first 2 shown]
	v_fma_f64 v[12:13], -v[58:59], v[18:19], v[12:13]
	v_fmac_f64_e32 v[14:15], v[56:57], v[18:19]
	v_fma_f64 v[8:9], -v[58:59], v[22:23], v[8:9]
	v_fmac_f64_e32 v[10:11], v[56:57], v[22:23]
	;; [unrolled: 2-line block ×4, first 2 shown]
	global_store_dwordx4 v[32:33], v[12:15], off
	global_store_dwordx4 v[32:33], v[8:11], off offset:16
	global_store_dwordx4 v[32:33], v[4:7], off offset:32
	global_store_dwordx4 v[32:33], v[0:3], off offset:48
	s_endpgm
	.section	.rodata,"a",@progbits
	.p2align	6, 0x0
	.amdhsa_kernel _ZN9rocsparseL18bsrxmvn_4x4_kernelILj128ELj64E21rocsparse_complex_numIdElidS2_S2_EEvT3_20rocsparse_direction_NS_24const_host_device_scalarIT1_EES3_PKS3_PKT2_SC_S9_PKT4_PKT5_S7_PT6_21rocsparse_index_base_b
		.amdhsa_group_segment_fixed_size 2048
		.amdhsa_private_segment_fixed_size 0
		.amdhsa_kernarg_size 112
		.amdhsa_user_sgpr_count 8
		.amdhsa_user_sgpr_private_segment_buffer 1
		.amdhsa_user_sgpr_dispatch_ptr 1
		.amdhsa_user_sgpr_queue_ptr 0
		.amdhsa_user_sgpr_kernarg_segment_ptr 1
		.amdhsa_user_sgpr_dispatch_id 0
		.amdhsa_user_sgpr_flat_scratch_init 0
		.amdhsa_user_sgpr_kernarg_preload_length 0
		.amdhsa_user_sgpr_kernarg_preload_offset 0
		.amdhsa_user_sgpr_private_segment_size 0
		.amdhsa_uses_dynamic_stack 0
		.amdhsa_system_sgpr_private_segment_wavefront_offset 0
		.amdhsa_system_sgpr_workgroup_id_x 1
		.amdhsa_system_sgpr_workgroup_id_y 0
		.amdhsa_system_sgpr_workgroup_id_z 0
		.amdhsa_system_sgpr_workgroup_info 0
		.amdhsa_system_vgpr_workitem_id 2
		.amdhsa_next_free_vgpr 116
		.amdhsa_next_free_sgpr 23
		.amdhsa_accum_offset 116
		.amdhsa_reserve_vcc 1
		.amdhsa_reserve_flat_scratch 0
		.amdhsa_float_round_mode_32 0
		.amdhsa_float_round_mode_16_64 0
		.amdhsa_float_denorm_mode_32 3
		.amdhsa_float_denorm_mode_16_64 3
		.amdhsa_dx10_clamp 1
		.amdhsa_ieee_mode 1
		.amdhsa_fp16_overflow 0
		.amdhsa_tg_split 0
		.amdhsa_exception_fp_ieee_invalid_op 0
		.amdhsa_exception_fp_denorm_src 0
		.amdhsa_exception_fp_ieee_div_zero 0
		.amdhsa_exception_fp_ieee_overflow 0
		.amdhsa_exception_fp_ieee_underflow 0
		.amdhsa_exception_fp_ieee_inexact 0
		.amdhsa_exception_int_div_zero 0
	.end_amdhsa_kernel
	.section	.text._ZN9rocsparseL18bsrxmvn_4x4_kernelILj128ELj64E21rocsparse_complex_numIdElidS2_S2_EEvT3_20rocsparse_direction_NS_24const_host_device_scalarIT1_EES3_PKS3_PKT2_SC_S9_PKT4_PKT5_S7_PT6_21rocsparse_index_base_b,"axG",@progbits,_ZN9rocsparseL18bsrxmvn_4x4_kernelILj128ELj64E21rocsparse_complex_numIdElidS2_S2_EEvT3_20rocsparse_direction_NS_24const_host_device_scalarIT1_EES3_PKS3_PKT2_SC_S9_PKT4_PKT5_S7_PT6_21rocsparse_index_base_b,comdat
.Lfunc_end144:
	.size	_ZN9rocsparseL18bsrxmvn_4x4_kernelILj128ELj64E21rocsparse_complex_numIdElidS2_S2_EEvT3_20rocsparse_direction_NS_24const_host_device_scalarIT1_EES3_PKS3_PKT2_SC_S9_PKT4_PKT5_S7_PT6_21rocsparse_index_base_b, .Lfunc_end144-_ZN9rocsparseL18bsrxmvn_4x4_kernelILj128ELj64E21rocsparse_complex_numIdElidS2_S2_EEvT3_20rocsparse_direction_NS_24const_host_device_scalarIT1_EES3_PKS3_PKT2_SC_S9_PKT4_PKT5_S7_PT6_21rocsparse_index_base_b
                                        ; -- End function
	.section	.AMDGPU.csdata,"",@progbits
; Kernel info:
; codeLenInByte = 8180
; NumSgprs: 27
; NumVgprs: 116
; NumAgprs: 0
; TotalNumVgprs: 116
; ScratchSize: 0
; MemoryBound: 0
; FloatMode: 240
; IeeeMode: 1
; LDSByteSize: 2048 bytes/workgroup (compile time only)
; SGPRBlocks: 3
; VGPRBlocks: 14
; NumSGPRsForWavesPerEU: 27
; NumVGPRsForWavesPerEU: 116
; AccumOffset: 116
; Occupancy: 4
; WaveLimiterHint : 1
; COMPUTE_PGM_RSRC2:SCRATCH_EN: 0
; COMPUTE_PGM_RSRC2:USER_SGPR: 8
; COMPUTE_PGM_RSRC2:TRAP_HANDLER: 0
; COMPUTE_PGM_RSRC2:TGID_X_EN: 1
; COMPUTE_PGM_RSRC2:TGID_Y_EN: 0
; COMPUTE_PGM_RSRC2:TGID_Z_EN: 0
; COMPUTE_PGM_RSRC2:TIDIG_COMP_CNT: 2
; COMPUTE_PGM_RSRC3_GFX90A:ACCUM_OFFSET: 28
; COMPUTE_PGM_RSRC3_GFX90A:TG_SPLIT: 0
	.section	.text._ZN9rocsparseL18bsrxmvn_4x4_kernelILj128ELj4E21rocsparse_complex_numIdElldS2_S2_EEvT3_20rocsparse_direction_NS_24const_host_device_scalarIT1_EES3_PKS3_PKT2_SC_S9_PKT4_PKT5_S7_PT6_21rocsparse_index_base_b,"axG",@progbits,_ZN9rocsparseL18bsrxmvn_4x4_kernelILj128ELj4E21rocsparse_complex_numIdElldS2_S2_EEvT3_20rocsparse_direction_NS_24const_host_device_scalarIT1_EES3_PKS3_PKT2_SC_S9_PKT4_PKT5_S7_PT6_21rocsparse_index_base_b,comdat
	.globl	_ZN9rocsparseL18bsrxmvn_4x4_kernelILj128ELj4E21rocsparse_complex_numIdElldS2_S2_EEvT3_20rocsparse_direction_NS_24const_host_device_scalarIT1_EES3_PKS3_PKT2_SC_S9_PKT4_PKT5_S7_PT6_21rocsparse_index_base_b ; -- Begin function _ZN9rocsparseL18bsrxmvn_4x4_kernelILj128ELj4E21rocsparse_complex_numIdElldS2_S2_EEvT3_20rocsparse_direction_NS_24const_host_device_scalarIT1_EES3_PKS3_PKT2_SC_S9_PKT4_PKT5_S7_PT6_21rocsparse_index_base_b
	.p2align	8
	.type	_ZN9rocsparseL18bsrxmvn_4x4_kernelILj128ELj4E21rocsparse_complex_numIdElldS2_S2_EEvT3_20rocsparse_direction_NS_24const_host_device_scalarIT1_EES3_PKS3_PKT2_SC_S9_PKT4_PKT5_S7_PT6_21rocsparse_index_base_b,@function
_ZN9rocsparseL18bsrxmvn_4x4_kernelILj128ELj4E21rocsparse_complex_numIdElldS2_S2_EEvT3_20rocsparse_direction_NS_24const_host_device_scalarIT1_EES3_PKS3_PKT2_SC_S9_PKT4_PKT5_S7_PT6_21rocsparse_index_base_b: ; @_ZN9rocsparseL18bsrxmvn_4x4_kernelILj128ELj4E21rocsparse_complex_numIdElldS2_S2_EEvT3_20rocsparse_direction_NS_24const_host_device_scalarIT1_EES3_PKS3_PKT2_SC_S9_PKT4_PKT5_S7_PT6_21rocsparse_index_base_b
; %bb.0:
	s_load_dwordx2 s[20:21], s[6:7], 0x70
	s_load_dwordx4 s[16:19], s[6:7], 0x10
	s_load_dwordx2 s[10:11], s[4:5], 0x4
	s_load_dwordx4 s[12:15], s[6:7], 0x58
	s_mov_b64 s[2:3], src_shared_base
	v_bfe_u32 v3, v0, 10, 10
	s_waitcnt lgkmcnt(0)
	s_bitcmp1_b32 s21, 0
	s_cselect_b64 s[0:1], -1, 0
	s_and_b64 vcc, s[0:1], exec
	s_cselect_b32 s2, s3, s17
	s_lshr_b32 s4, s10, 16
	v_and_b32_e32 v2, 0x3ff, v0
	s_mul_i32 s4, s4, s11
	v_mul_u32_u24_e32 v3, s11, v3
	v_mad_u32_u24 v3, s4, v2, v3
	v_bfe_u32 v0, v0, 20, 10
	v_add_lshl_u32 v0, v3, v0, 3
	v_mov_b32_e32 v1, s16
	v_add_u32_e32 v3, 0x400, v0
	v_pk_mov_b32 v[4:5], s[16:17], s[16:17] op_sel:[0,1]
	v_pk_mov_b32 v[6:7], s[12:13], s[12:13] op_sel:[0,1]
	ds_write2st64_b64 v0, v[6:7], v[4:5] offset1:2
	v_cndmask_b32_e64 v4, v1, v3, s[0:1]
	v_mov_b32_e32 v5, s2
	flat_load_dwordx2 v[68:69], v[4:5]
	s_xor_b64 s[4:5], s[0:1], -1
	v_pk_mov_b32 v[70:71], s[18:19], s[18:19] op_sel:[0,1]
	s_cbranch_vccnz .LBB145_2
; %bb.1:
	v_pk_mov_b32 v[4:5], s[16:17], s[16:17] op_sel:[0,1]
	flat_load_dwordx2 v[70:71], v[4:5] offset:8
.LBB145_2:
	s_and_b64 s[10:11], s[0:1], exec
	s_cselect_b32 s2, s3, s13
	v_mov_b32_e32 v1, s12
	v_cndmask_b32_e64 v0, v1, v0, s[0:1]
	v_mov_b32_e32 v1, s2
	flat_load_dwordx2 v[64:65], v[0:1]
	s_andn2_b64 vcc, exec, s[4:5]
	v_pk_mov_b32 v[66:67], s[14:15], s[14:15] op_sel:[0,1]
	s_cbranch_vccnz .LBB145_4
; %bb.3:
	v_pk_mov_b32 v[0:1], s[12:13], s[12:13] op_sel:[0,1]
	flat_load_dwordx2 v[66:67], v[0:1] offset:8
.LBB145_4:
	s_waitcnt vmcnt(0) lgkmcnt(0)
	v_cmp_eq_f64_e32 vcc, 0, v[68:69]
	v_cmp_eq_f64_e64 s[0:1], 0, v[70:71]
	s_and_b64 s[4:5], vcc, s[0:1]
	s_mov_b64 s[0:1], -1
	s_and_saveexec_b64 s[2:3], s[4:5]
; %bb.5:
	v_cmp_neq_f64_e32 vcc, 1.0, v[64:65]
	v_cmp_neq_f64_e64 s[0:1], 0, v[66:67]
	s_or_b64 s[0:1], vcc, s[0:1]
	s_orn2_b64 s[0:1], s[0:1], exec
; %bb.6:
	s_or_b64 exec, exec, s[2:3]
	s_and_saveexec_b64 s[2:3], s[0:1]
	s_cbranch_execz .LBB145_12
; %bb.7:
	s_load_dwordx2 s[2:3], s[6:7], 0x28
	v_lshrrev_b32_e32 v0, 2, v2
	v_lshl_or_b32 v0, s8, 5, v0
	v_mov_b32_e32 v1, 0
	s_mov_b64 s[0:1], 0
	s_waitcnt lgkmcnt(0)
	s_cmp_lg_u64 s[2:3], 0
	s_cbranch_scc0 .LBB145_13
; %bb.8:
	s_load_dwordx2 s[4:5], s[6:7], 0x20
                                        ; implicit-def: $vgpr72_vgpr73
	s_waitcnt lgkmcnt(0)
	v_cmp_gt_i64_e32 vcc, s[4:5], v[0:1]
	s_and_saveexec_b64 s[4:5], vcc
	s_xor_b64 s[4:5], exec, s[4:5]
                                        ; implicit-def: $sgpr16_sgpr17
	s_cbranch_execz .LBB145_10
; %bb.9:
	v_lshlrev_b64 v[4:5], 3, v[0:1]
	v_mov_b32_e32 v3, s3
	v_add_co_u32_e32 v4, vcc, s2, v4
	v_addc_co_u32_e32 v5, vcc, v3, v5, vcc
	global_load_dwordx2 v[4:5], v[4:5], off
	s_mov_b64 s[0:1], exec
	s_mov_b32 s17, 0
	s_waitcnt vmcnt(0)
	v_subrev_co_u32_e32 v72, vcc, s20, v4
	v_subbrev_co_u32_e32 v73, vcc, 0, v5, vcc
.LBB145_10:
	s_or_b64 exec, exec, s[4:5]
.LBB145_11:
	s_and_b64 exec, exec, s[0:1]
	s_cbranch_execnz .LBB145_17
.LBB145_12:
	s_endpgm
.LBB145_13:
                                        ; implicit-def: $vgpr72_vgpr73
                                        ; implicit-def: $sgpr16_sgpr17
	s_cbranch_execz .LBB145_11
; %bb.14:
	s_load_dwordx2 s[2:3], s[6:7], 0x0
                                        ; implicit-def: $vgpr72_vgpr73
	s_waitcnt lgkmcnt(0)
	v_cmp_gt_i64_e32 vcc, s[2:3], v[0:1]
	s_and_saveexec_b64 s[2:3], vcc
                                        ; implicit-def: $sgpr16_sgpr17
; %bb.15:
	s_mov_b32 s17, 0
	s_or_b64 s[0:1], s[0:1], exec
	v_pk_mov_b32 v[72:73], v[0:1], v[0:1] op_sel:[0,1]
; %bb.16:
	s_or_b64 exec, exec, s[2:3]
	s_and_b64 exec, exec, s[0:1]
	s_cbranch_execz .LBB145_12
.LBB145_17:
	s_load_dwordx8 s[8:15], s[6:7], 0x30
	v_lshlrev_b64 v[0:1], 3, v[72:73]
	v_and_b32_e32 v74, 3, v2
	v_mov_b32_e32 v2, s17
	s_waitcnt lgkmcnt(0)
	v_mov_b32_e32 v3, s9
	v_add_co_u32_e32 v4, vcc, s8, v0
	v_addc_co_u32_e32 v5, vcc, v3, v1, vcc
	v_add_co_u32_e32 v3, vcc, 8, v4
	global_load_dwordx2 v[16:17], v[4:5], off
	v_addc_co_u32_e32 v4, vcc, 0, v5, vcc
	v_mov_b32_e32 v5, s11
	v_add_co_u32_e32 v0, vcc, s10, v0
	s_cmp_eq_u64 s[10:11], 0
	v_addc_co_u32_e32 v1, vcc, v5, v1, vcc
	s_cselect_b64 vcc, -1, 0
	v_cndmask_b32_e32 v1, v1, v4, vcc
	v_cndmask_b32_e32 v0, v0, v3, vcc
	global_load_dwordx2 v[0:1], v[0:1], off
	s_load_dword s0, s[6:7], 0x8
	s_load_dwordx2 s[4:5], s[6:7], 0x50
	v_mov_b32_e32 v3, s15
	s_waitcnt lgkmcnt(0)
	s_cmp_eq_u32 s0, 1
	s_waitcnt vmcnt(1)
	v_subrev_co_u32_e32 v4, vcc, s20, v16
	v_subb_co_u32_e32 v5, vcc, v17, v2, vcc
	v_add_co_u32_e32 v76, vcc, v4, v74
	v_addc_co_u32_e32 v77, vcc, 0, v5, vcc
	s_waitcnt vmcnt(0)
	v_subrev_co_u32_e32 v78, vcc, s20, v0
	v_subb_co_u32_e32 v79, vcc, v1, v2, vcc
	v_lshlrev_b64 v[0:1], 7, v[76:77]
	v_add_co_u32_e32 v80, vcc, s14, v0
	v_addc_co_u32_e32 v81, vcc, v3, v1, vcc
	v_cmp_lt_i64_e64 s[0:1], v[76:77], v[78:79]
	s_cbranch_scc1 .LBB145_29
; %bb.18:
	v_pk_mov_b32 v[86:87], 0, 0
	s_mov_b64 s[8:9], 0
	v_pk_mov_b32 v[96:97], v[86:87], v[86:87] op_sel:[0,1]
	v_pk_mov_b32 v[90:91], v[86:87], v[86:87] op_sel:[0,1]
	;; [unrolled: 1-line block ×7, first 2 shown]
	s_and_saveexec_b64 s[10:11], s[0:1]
	s_cbranch_execz .LBB145_28
; %bb.19:
	v_or_b32_e32 v0, 4, v74
	v_mov_b32_e32 v1, s17
	v_subrev_co_u32_e32 v0, vcc, s20, v0
	v_subb_co_u32_e32 v1, vcc, 0, v1, vcc
	v_add_co_u32_e32 v0, vcc, v0, v16
	v_addc_co_u32_e32 v1, vcc, v1, v17, vcc
	v_cmp_gt_i64_e32 vcc, v[0:1], v[78:79]
	v_cndmask_b32_e32 v1, v79, v1, vcc
	v_cndmask_b32_e32 v0, v78, v0, vcc
	v_mov_b32_e32 v4, s17
	v_sub_co_u32_e32 v5, vcc, s20, v74
	v_not_b32_e32 v3, v16
	v_subbrev_co_u32_e32 v4, vcc, 0, v4, vcc
	v_not_b32_e32 v2, v17
	v_add_co_u32_e32 v3, vcc, v5, v3
	v_addc_co_u32_e32 v2, vcc, v4, v2, vcc
	v_add_co_u32_e32 v22, vcc, v3, v0
	v_lshrrev_b32_e32 v0, 2, v22
	v_add_u32_e32 v0, 1, v0
	v_addc_co_u32_e32 v23, vcc, v2, v1, vcc
	v_and_b32_e32 v0, 3, v0
	v_pk_mov_b32 v[82:83], 0, 0
	v_cmp_ne_u32_e32 vcc, 0, v0
	s_mov_b64 s[18:19], 0
	v_pk_mov_b32 v[84:85], v[82:83], v[82:83] op_sel:[0,1]
	v_pk_mov_b32 v[92:93], v[82:83], v[82:83] op_sel:[0,1]
	;; [unrolled: 1-line block ×9, first 2 shown]
	s_and_saveexec_b64 s[14:15], vcc
	s_cbranch_execz .LBB145_23
; %bb.20:
	v_lshlrev_b64 v[2:3], 3, v[76:77]
	v_mov_b32_e32 v1, s13
	v_add_co_u32_e32 v26, vcc, s12, v2
	v_pk_mov_b32 v[86:87], 0, 0
	v_mov_b32_e32 v25, 0
	v_addc_co_u32_e32 v27, vcc, v1, v3, vcc
	v_lshlrev_b32_e32 v24, 3, v0
	s_movk_i32 s16, 0x200
	v_mov_b32_e32 v30, s17
	v_mov_b32_e32 v31, s5
	v_pk_mov_b32 v[20:21], v[76:77], v[76:77] op_sel:[0,1]
	v_pk_mov_b32 v[18:19], v[80:81], v[80:81] op_sel:[0,1]
	;; [unrolled: 1-line block ×9, first 2 shown]
.LBB145_21:                             ; =>This Inner Loop Header: Depth=1
	global_load_dwordx2 v[28:29], v[26:27], off
	global_load_dwordx4 v[0:3], v[18:19], off offset:48
	global_load_dwordx4 v[8:11], v[18:19], off offset:32
	;; [unrolled: 1-line block ×3, first 2 shown]
	global_load_dwordx4 v[12:15], v[18:19], off
	global_load_dwordx4 v[32:35], v[18:19], off offset:112
	global_load_dwordx4 v[36:39], v[18:19], off offset:96
	;; [unrolled: 1-line block ×4, first 2 shown]
	v_add_co_u32_e32 v18, vcc, s16, v18
	v_addc_co_u32_e32 v19, vcc, 0, v19, vcc
	s_waitcnt vmcnt(8)
	v_subrev_co_u32_e64 v28, s[2:3], s20, v28
	v_subb_co_u32_e64 v29, s[2:3], v29, v30, s[2:3]
	v_lshlrev_b64 v[28:29], 6, v[28:29]
	v_add_co_u32_e64 v28, s[2:3], s4, v28
	v_addc_co_u32_e64 v29, s[2:3], v31, v29, s[2:3]
	global_load_dwordx4 v[48:51], v[28:29], off
	global_load_dwordx4 v[52:55], v[28:29], off offset:16
	global_load_dwordx4 v[56:59], v[28:29], off offset:32
	;; [unrolled: 1-line block ×3, first 2 shown]
	v_add_co_u32_e64 v20, s[2:3], 4, v20
	v_addc_co_u32_e64 v21, s[2:3], 0, v21, s[2:3]
	v_add_co_u32_e64 v26, s[2:3], 32, v26
	v_addc_co_u32_e64 v27, s[2:3], 0, v27, s[2:3]
	v_add_co_u32_e64 v24, s[2:3], -8, v24
	v_addc_co_u32_e64 v25, s[2:3], -1, v25, s[2:3]
	v_cmp_eq_u64_e32 vcc, 0, v[24:25]
	s_or_b64 s[18:19], vcc, s[18:19]
	s_waitcnt vmcnt(3)
	v_fmac_f64_e32 v[96:97], v[12:13], v[48:49]
	v_fmac_f64_e32 v[86:87], 0, v[48:49]
	v_fmac_f64_e32 v[94:95], v[8:9], v[48:49]
	v_fmac_f64_e32 v[90:91], 0, v[48:49]
	v_fmac_f64_e32 v[92:93], v[40:41], v[48:49]
	v_fmac_f64_e32 v[88:89], 0, v[48:49]
	v_fmac_f64_e32 v[82:83], v[36:37], v[48:49]
	v_fmac_f64_e32 v[84:85], 0, v[48:49]
	v_fmac_f64_e32 v[96:97], 0x80000000, v[50:51]
	v_fmac_f64_e32 v[86:87], v[12:13], v[50:51]
	v_fmac_f64_e32 v[94:95], 0x80000000, v[50:51]
	v_fmac_f64_e32 v[90:91], v[8:9], v[50:51]
	v_fmac_f64_e32 v[92:93], 0x80000000, v[50:51]
	v_fmac_f64_e32 v[88:89], v[40:41], v[50:51]
	v_fmac_f64_e32 v[82:83], 0x80000000, v[50:51]
	v_fmac_f64_e32 v[84:85], v[36:37], v[50:51]
	s_waitcnt vmcnt(2)
	v_fmac_f64_e32 v[96:97], v[14:15], v[52:53]
	v_fmac_f64_e32 v[86:87], 0, v[52:53]
	v_fmac_f64_e32 v[94:95], v[10:11], v[52:53]
	v_fmac_f64_e32 v[90:91], 0, v[52:53]
	v_fmac_f64_e32 v[92:93], v[42:43], v[52:53]
	v_fmac_f64_e32 v[88:89], 0, v[52:53]
	v_fmac_f64_e32 v[82:83], v[38:39], v[52:53]
	v_fmac_f64_e32 v[84:85], 0, v[52:53]
	v_fmac_f64_e32 v[86:87], v[14:15], v[54:55]
	v_fmac_f64_e32 v[90:91], v[10:11], v[54:55]
	v_fmac_f64_e32 v[88:89], v[42:43], v[54:55]
	v_fmac_f64_e32 v[96:97], 0x80000000, v[54:55]
	v_fmac_f64_e32 v[94:95], 0x80000000, v[54:55]
	v_fmac_f64_e32 v[92:93], 0x80000000, v[54:55]
	v_fmac_f64_e32 v[82:83], 0x80000000, v[54:55]
	v_fmac_f64_e32 v[84:85], v[38:39], v[54:55]
	;; [unrolled: 17-line block ×4, first 2 shown]
	s_andn2_b64 exec, exec, s[18:19]
	s_cbranch_execnz .LBB145_21
; %bb.22:
	s_or_b64 exec, exec, s[18:19]
.LBB145_23:
	s_or_b64 exec, exec, s[14:15]
	v_cmp_lt_u64_e32 vcc, 11, v[22:23]
	s_and_saveexec_b64 s[2:3], vcc
	s_cbranch_execz .LBB145_27
; %bb.24:
	v_lshlrev_b64 v[0:1], 3, v[20:21]
	v_mov_b32_e32 v2, s13
	v_add_co_u32_e32 v0, vcc, s12, v0
	v_addc_co_u32_e32 v1, vcc, v1, v2, vcc
	v_add_co_u32_e32 v22, vcc, 64, v0
	v_addc_co_u32_e32 v23, vcc, 0, v1, vcc
	s_mov_b64 s[14:15], 0
	v_mov_b32_e32 v24, s17
	v_mov_b32_e32 v25, s5
	s_movk_i32 s16, 0x800
.LBB145_25:                             ; =>This Inner Loop Header: Depth=1
	global_load_dwordx2 v[0:1], v[22:23], off offset:-64
	s_waitcnt vmcnt(0)
	v_subrev_co_u32_e32 v26, vcc, s20, v0
	v_subb_co_u32_e32 v27, vcc, v1, v24, vcc
	v_lshlrev_b64 v[26:27], 6, v[26:27]
	v_add_co_u32_e32 v42, vcc, s4, v26
	v_addc_co_u32_e32 v43, vcc, v25, v27, vcc
	global_load_dwordx4 v[0:3], v[18:19], off offset:48
	global_load_dwordx4 v[4:7], v[18:19], off offset:32
	;; [unrolled: 1-line block ×3, first 2 shown]
	global_load_dwordx4 v[12:15], v[18:19], off
	global_load_dwordx4 v[26:29], v[42:43], off offset:48
	global_load_dwordx4 v[30:33], v[42:43], off offset:32
	;; [unrolled: 1-line block ×3, first 2 shown]
	global_load_dwordx4 v[38:41], v[42:43], off
	s_waitcnt vmcnt(0)
	v_fmac_f64_e32 v[86:87], 0, v[38:39]
	v_fmac_f64_e32 v[90:91], 0, v[38:39]
	;; [unrolled: 1-line block ×30, first 2 shown]
	global_load_dwordx4 v[0:3], v[18:19], off offset:112
	global_load_dwordx4 v[4:7], v[18:19], off offset:96
	;; [unrolled: 1-line block ×4, first 2 shown]
	v_fmac_f64_e32 v[84:85], 0, v[38:39]
	v_fmac_f64_e32 v[88:89], 0, v[38:39]
	;; [unrolled: 1-line block ×4, first 2 shown]
	s_waitcnt vmcnt(2)
	v_fmac_f64_e32 v[82:83], v[4:5], v[38:39]
	v_fmac_f64_e32 v[84:85], v[4:5], v[40:41]
	;; [unrolled: 1-line block ×10, first 2 shown]
	global_load_dwordx2 v[0:1], v[22:23], off offset:-32
	s_waitcnt vmcnt(1)
	v_fmac_f64_e32 v[92:93], v[12:13], v[38:39]
	v_fmac_f64_e32 v[92:93], 0x80000000, v[40:41]
	;; [unrolled: 1-line block ×20, first 2 shown]
	s_waitcnt vmcnt(0)
	v_subrev_co_u32_e32 v26, vcc, s20, v0
	v_subb_co_u32_e32 v27, vcc, v1, v24, vcc
	v_lshlrev_b64 v[26:27], 6, v[26:27]
	v_add_co_u32_e32 v42, vcc, s4, v26
	v_addc_co_u32_e32 v43, vcc, v25, v27, vcc
	global_load_dwordx4 v[0:3], v[18:19], off offset:560
	global_load_dwordx4 v[4:7], v[18:19], off offset:544
	global_load_dwordx4 v[8:11], v[18:19], off offset:528
	global_load_dwordx4 v[12:15], v[18:19], off offset:512
	global_load_dwordx4 v[26:29], v[42:43], off offset:48
	global_load_dwordx4 v[30:33], v[42:43], off offset:32
	global_load_dwordx4 v[34:37], v[42:43], off offset:16
	global_load_dwordx4 v[38:41], v[42:43], off
	s_waitcnt vmcnt(0)
	v_fmac_f64_e32 v[86:87], 0, v[38:39]
	v_fmac_f64_e32 v[90:91], 0, v[38:39]
	;; [unrolled: 1-line block ×30, first 2 shown]
	global_load_dwordx4 v[0:3], v[18:19], off offset:624
	global_load_dwordx4 v[4:7], v[18:19], off offset:608
	global_load_dwordx4 v[8:11], v[18:19], off offset:592
	global_load_dwordx4 v[12:15], v[18:19], off offset:576
	v_fmac_f64_e32 v[84:85], 0, v[38:39]
	v_fmac_f64_e32 v[88:89], 0, v[38:39]
	;; [unrolled: 1-line block ×4, first 2 shown]
	s_waitcnt vmcnt(2)
	v_fmac_f64_e32 v[82:83], v[4:5], v[38:39]
	v_fmac_f64_e32 v[84:85], v[4:5], v[40:41]
	;; [unrolled: 1-line block ×10, first 2 shown]
	global_load_dwordx2 v[0:1], v[22:23], off
	s_waitcnt vmcnt(1)
	v_fmac_f64_e32 v[92:93], v[12:13], v[38:39]
	v_fmac_f64_e32 v[92:93], 0x80000000, v[40:41]
	;; [unrolled: 1-line block ×20, first 2 shown]
	s_waitcnt vmcnt(0)
	v_subrev_co_u32_e32 v26, vcc, s20, v0
	v_subb_co_u32_e32 v27, vcc, v1, v24, vcc
	v_lshlrev_b64 v[26:27], 6, v[26:27]
	v_add_co_u32_e32 v42, vcc, s4, v26
	v_addc_co_u32_e32 v43, vcc, v25, v27, vcc
	global_load_dwordx4 v[0:3], v[18:19], off offset:1072
	global_load_dwordx4 v[4:7], v[18:19], off offset:1056
	;; [unrolled: 1-line block ×7, first 2 shown]
	global_load_dwordx4 v[38:41], v[42:43], off
	s_waitcnt vmcnt(0)
	v_fmac_f64_e32 v[86:87], 0, v[38:39]
	v_fmac_f64_e32 v[90:91], 0, v[38:39]
	;; [unrolled: 1-line block ×30, first 2 shown]
	global_load_dwordx4 v[0:3], v[18:19], off offset:1136
	global_load_dwordx4 v[4:7], v[18:19], off offset:1120
	;; [unrolled: 1-line block ×4, first 2 shown]
	v_fmac_f64_e32 v[84:85], 0, v[38:39]
	v_fmac_f64_e32 v[88:89], 0, v[38:39]
	;; [unrolled: 1-line block ×4, first 2 shown]
	s_waitcnt vmcnt(2)
	v_fmac_f64_e32 v[82:83], v[4:5], v[38:39]
	v_fmac_f64_e32 v[84:85], v[4:5], v[40:41]
	;; [unrolled: 1-line block ×10, first 2 shown]
	global_load_dwordx2 v[0:1], v[22:23], off offset:32
	s_waitcnt vmcnt(1)
	v_fmac_f64_e32 v[92:93], v[12:13], v[38:39]
	v_fmac_f64_e32 v[92:93], 0x80000000, v[40:41]
	;; [unrolled: 1-line block ×20, first 2 shown]
	global_load_dwordx4 v[26:29], v[18:19], off offset:1584
	global_load_dwordx4 v[30:33], v[18:19], off offset:1568
	;; [unrolled: 1-line block ×4, first 2 shown]
	s_waitcnt vmcnt(4)
	v_subrev_co_u32_e32 v0, vcc, s20, v0
	v_subb_co_u32_e32 v1, vcc, v1, v24, vcc
	v_lshlrev_b64 v[0:1], 6, v[0:1]
	v_add_co_u32_e32 v42, vcc, s4, v0
	v_addc_co_u32_e32 v43, vcc, v25, v1, vcc
	global_load_dwordx4 v[0:3], v[42:43], off offset:48
	global_load_dwordx4 v[4:7], v[42:43], off offset:32
	;; [unrolled: 1-line block ×3, first 2 shown]
	global_load_dwordx4 v[12:15], v[42:43], off
	s_waitcnt vmcnt(0)
	v_fmac_f64_e32 v[86:87], 0, v[12:13]
	v_fmac_f64_e32 v[90:91], 0, v[12:13]
	;; [unrolled: 1-line block ×30, first 2 shown]
	global_load_dwordx4 v[26:29], v[18:19], off offset:1648
	global_load_dwordx4 v[30:33], v[18:19], off offset:1632
	;; [unrolled: 1-line block ×4, first 2 shown]
	v_fmac_f64_e32 v[88:89], 0, v[12:13]
	v_fmac_f64_e32 v[84:85], 0, v[12:13]
	v_add_co_u32_e32 v18, vcc, s16, v18
	v_addc_co_u32_e32 v19, vcc, 0, v19, vcc
	v_add_co_u32_e32 v20, vcc, 16, v20
	v_addc_co_u32_e32 v21, vcc, 0, v21, vcc
	;; [unrolled: 2-line block ×3, first 2 shown]
	v_cmp_ge_i64_e32 vcc, v[20:21], v[78:79]
	v_fmac_f64_e32 v[96:97], 0x80000000, v[2:3]
	v_fmac_f64_e32 v[94:95], 0x80000000, v[2:3]
	s_or_b64 s[14:15], vcc, s[14:15]
	s_waitcnt vmcnt(2)
	v_fmac_f64_e32 v[82:83], v[30:31], v[12:13]
	v_fmac_f64_e32 v[82:83], 0x80000000, v[14:15]
	s_waitcnt vmcnt(0)
	v_fmac_f64_e32 v[92:93], v[38:39], v[12:13]
	v_fmac_f64_e32 v[92:93], 0x80000000, v[14:15]
	;; [unrolled: 1-line block ×28, first 2 shown]
	s_andn2_b64 exec, exec, s[14:15]
	s_cbranch_execnz .LBB145_25
; %bb.26:
	s_or_b64 exec, exec, s[14:15]
.LBB145_27:
	s_or_b64 exec, exec, s[2:3]
.LBB145_28:
	s_or_b64 exec, exec, s[10:11]
	s_andn2_b64 vcc, exec, s[8:9]
	s_cbranch_vccz .LBB145_30
	s_branch .LBB145_41
.LBB145_29:
                                        ; implicit-def: $vgpr86_vgpr87
                                        ; implicit-def: $vgpr96_vgpr97
                                        ; implicit-def: $vgpr90_vgpr91
                                        ; implicit-def: $vgpr94_vgpr95
                                        ; implicit-def: $vgpr88_vgpr89
                                        ; implicit-def: $vgpr92_vgpr93
                                        ; implicit-def: $vgpr84_vgpr85
                                        ; implicit-def: $vgpr82_vgpr83
.LBB145_30:
	v_pk_mov_b32 v[86:87], 0, 0
	v_pk_mov_b32 v[96:97], v[86:87], v[86:87] op_sel:[0,1]
	v_pk_mov_b32 v[90:91], v[86:87], v[86:87] op_sel:[0,1]
	;; [unrolled: 1-line block ×7, first 2 shown]
	s_and_saveexec_b64 s[8:9], s[0:1]
	s_cbranch_execz .LBB145_40
; %bb.31:
	v_or_b32_e32 v0, 4, v74
	v_mov_b32_e32 v1, s17
	v_subrev_co_u32_e32 v0, vcc, s20, v0
	v_subb_co_u32_e32 v1, vcc, 0, v1, vcc
	v_add_co_u32_e32 v0, vcc, v0, v16
	v_addc_co_u32_e32 v1, vcc, v1, v17, vcc
	v_cmp_gt_i64_e32 vcc, v[0:1], v[78:79]
	v_cndmask_b32_e32 v1, v79, v1, vcc
	v_cndmask_b32_e32 v0, v78, v0, vcc
	v_mov_b32_e32 v4, s17
	v_sub_co_u32_e32 v5, vcc, s20, v74
	v_not_b32_e32 v3, v16
	v_subbrev_co_u32_e32 v4, vcc, 0, v4, vcc
	v_not_b32_e32 v2, v17
	v_add_co_u32_e32 v3, vcc, v5, v3
	v_addc_co_u32_e32 v2, vcc, v4, v2, vcc
	v_add_co_u32_e32 v16, vcc, v3, v0
	v_lshrrev_b32_e32 v0, 2, v16
	v_add_u32_e32 v0, 1, v0
	v_addc_co_u32_e32 v17, vcc, v2, v1, vcc
	v_and_b32_e32 v0, 3, v0
	v_pk_mov_b32 v[82:83], 0, 0
	v_cmp_ne_u32_e32 vcc, 0, v0
	s_mov_b64 s[10:11], 0
	v_pk_mov_b32 v[84:85], v[82:83], v[82:83] op_sel:[0,1]
	v_pk_mov_b32 v[92:93], v[82:83], v[82:83] op_sel:[0,1]
	;; [unrolled: 1-line block ×7, first 2 shown]
	s_and_saveexec_b64 s[2:3], vcc
	s_cbranch_execz .LBB145_35
; %bb.32:
	v_lshlrev_b64 v[2:3], 3, v[76:77]
	v_mov_b32_e32 v1, s13
	v_add_co_u32_e32 v20, vcc, s12, v2
	v_pk_mov_b32 v[86:87], 0, 0
	v_mov_b32_e32 v19, 0
	v_addc_co_u32_e32 v21, vcc, v1, v3, vcc
	v_lshlrev_b32_e32 v18, 3, v0
	s_movk_i32 s14, 0x200
	v_mov_b32_e32 v22, s17
	v_mov_b32_e32 v23, s5
	v_pk_mov_b32 v[96:97], v[86:87], v[86:87] op_sel:[0,1]
	v_pk_mov_b32 v[90:91], v[86:87], v[86:87] op_sel:[0,1]
	;; [unrolled: 1-line block ×7, first 2 shown]
.LBB145_33:                             ; =>This Inner Loop Header: Depth=1
	global_load_dwordx2 v[40:41], v[20:21], off
	global_load_dwordx4 v[0:3], v[80:81], off offset:48
	global_load_dwordx4 v[4:7], v[80:81], off offset:32
	;; [unrolled: 1-line block ×3, first 2 shown]
	global_load_dwordx4 v[12:15], v[80:81], off
	global_load_dwordx4 v[24:27], v[80:81], off offset:112
	global_load_dwordx4 v[28:31], v[80:81], off offset:96
	;; [unrolled: 1-line block ×4, first 2 shown]
	v_add_co_u32_e64 v76, s[0:1], 4, v76
	v_addc_co_u32_e64 v77, s[0:1], 0, v77, s[0:1]
	v_add_co_u32_e64 v20, s[0:1], 32, v20
	v_addc_co_u32_e64 v21, s[0:1], 0, v21, s[0:1]
	v_add_co_u32_e64 v18, s[0:1], -8, v18
	v_addc_co_u32_e64 v19, s[0:1], -1, v19, s[0:1]
	s_waitcnt vmcnt(8)
	v_subrev_co_u32_e32 v40, vcc, s20, v40
	v_subb_co_u32_e32 v41, vcc, v41, v22, vcc
	v_lshlrev_b64 v[40:41], 6, v[40:41]
	v_add_co_u32_e32 v56, vcc, s4, v40
	v_addc_co_u32_e32 v57, vcc, v23, v41, vcc
	global_load_dwordx4 v[40:43], v[56:57], off
	global_load_dwordx4 v[44:47], v[56:57], off offset:16
	global_load_dwordx4 v[48:51], v[56:57], off offset:32
	global_load_dwordx4 v[52:55], v[56:57], off offset:48
	v_add_co_u32_e32 v80, vcc, s14, v80
	v_addc_co_u32_e32 v81, vcc, 0, v81, vcc
	v_cmp_eq_u64_e32 vcc, 0, v[18:19]
	s_or_b64 s[10:11], vcc, s[10:11]
	s_waitcnt vmcnt(3)
	v_fmac_f64_e32 v[96:97], v[12:13], v[40:41]
	v_fmac_f64_e32 v[86:87], 0, v[40:41]
	v_fmac_f64_e32 v[94:95], v[14:15], v[40:41]
	v_fmac_f64_e32 v[90:91], 0, v[40:41]
	v_fmac_f64_e32 v[92:93], v[8:9], v[40:41]
	v_fmac_f64_e32 v[88:89], 0, v[40:41]
	v_fmac_f64_e32 v[82:83], v[10:11], v[40:41]
	v_fmac_f64_e32 v[84:85], 0, v[40:41]
	v_fmac_f64_e32 v[96:97], 0x80000000, v[42:43]
	v_fmac_f64_e32 v[86:87], v[12:13], v[42:43]
	v_fmac_f64_e32 v[94:95], 0x80000000, v[42:43]
	v_fmac_f64_e32 v[90:91], v[14:15], v[42:43]
	v_fmac_f64_e32 v[92:93], 0x80000000, v[42:43]
	v_fmac_f64_e32 v[88:89], v[8:9], v[42:43]
	v_fmac_f64_e32 v[82:83], 0x80000000, v[42:43]
	v_fmac_f64_e32 v[84:85], v[10:11], v[42:43]
	s_waitcnt vmcnt(2)
	v_fmac_f64_e32 v[96:97], v[4:5], v[44:45]
	v_fmac_f64_e32 v[86:87], 0, v[44:45]
	v_fmac_f64_e32 v[94:95], v[6:7], v[44:45]
	v_fmac_f64_e32 v[90:91], 0, v[44:45]
	v_fmac_f64_e32 v[92:93], v[0:1], v[44:45]
	v_fmac_f64_e32 v[88:89], 0, v[44:45]
	v_fmac_f64_e32 v[82:83], v[2:3], v[44:45]
	v_fmac_f64_e32 v[84:85], 0, v[44:45]
	v_fmac_f64_e32 v[96:97], 0x80000000, v[46:47]
	v_fmac_f64_e32 v[86:87], v[4:5], v[46:47]
	v_fmac_f64_e32 v[94:95], 0x80000000, v[46:47]
	v_fmac_f64_e32 v[90:91], v[6:7], v[46:47]
	v_fmac_f64_e32 v[92:93], 0x80000000, v[46:47]
	v_fmac_f64_e32 v[88:89], v[0:1], v[46:47]
	v_fmac_f64_e32 v[82:83], 0x80000000, v[46:47]
	v_fmac_f64_e32 v[84:85], v[2:3], v[46:47]
	;; [unrolled: 17-line block ×4, first 2 shown]
	s_andn2_b64 exec, exec, s[10:11]
	s_cbranch_execnz .LBB145_33
; %bb.34:
	s_or_b64 exec, exec, s[10:11]
.LBB145_35:
	s_or_b64 exec, exec, s[2:3]
	v_cmp_lt_u64_e32 vcc, 11, v[16:17]
	s_and_saveexec_b64 s[10:11], vcc
	s_cbranch_execz .LBB145_39
; %bb.36:
	v_lshlrev_b64 v[0:1], 3, v[76:77]
	v_mov_b32_e32 v2, s13
	v_add_co_u32_e32 v0, vcc, s12, v0
	v_addc_co_u32_e32 v1, vcc, v1, v2, vcc
	v_add_co_u32_e32 v98, vcc, 64, v0
	v_addc_co_u32_e32 v99, vcc, 0, v1, vcc
	s_mov_b64 s[12:13], 0
	v_mov_b32_e32 v75, s17
	v_mov_b32_e32 v104, s5
	s_movk_i32 s5, 0x800
.LBB145_37:                             ; =>This Inner Loop Header: Depth=1
	global_load_dwordx2 v[48:49], v[98:99], off offset:-64
	global_load_dwordx4 v[4:7], v[80:81], off offset:48
	global_load_dwordx4 v[8:11], v[80:81], off offset:32
	;; [unrolled: 1-line block ×3, first 2 shown]
	global_load_dwordx4 v[52:55], v[80:81], off
	global_load_dwordx4 v[16:19], v[80:81], off offset:112
	global_load_dwordx4 v[24:27], v[80:81], off offset:96
	;; [unrolled: 1-line block ×9, first 2 shown]
	s_waitcnt vmcnt(13)
	v_subrev_co_u32_e32 v48, vcc, s20, v48
	v_subb_co_u32_e32 v49, vcc, v49, v75, vcc
	v_lshlrev_b64 v[48:49], 6, v[48:49]
	v_add_co_u32_e32 v56, vcc, s4, v48
	v_addc_co_u32_e32 v57, vcc, v104, v49, vcc
	global_load_dwordx4 v[48:51], v[56:57], off
	s_waitcnt vmcnt(0)
	v_fmac_f64_e32 v[86:87], 0, v[48:49]
	v_fmac_f64_e32 v[88:89], 0, v[48:49]
	v_fmac_f64_e32 v[84:85], 0, v[48:49]
	v_fmac_f64_e32 v[96:97], v[52:53], v[48:49]
	v_fmac_f64_e32 v[86:87], v[52:53], v[50:51]
	global_load_dwordx2 v[52:53], v[98:99], off offset:-32
	global_load_dwordx2 v[102:103], v[98:99], off
	v_fmac_f64_e32 v[92:93], v[12:13], v[48:49]
	v_fmac_f64_e32 v[82:83], v[14:15], v[48:49]
	;; [unrolled: 1-line block ×4, first 2 shown]
	global_load_dwordx4 v[12:15], v[56:57], off offset:16
	v_fmac_f64_e32 v[92:93], 0x80000000, v[50:51]
	v_fmac_f64_e32 v[82:83], 0x80000000, v[50:51]
	;; [unrolled: 1-line block ×7, first 2 shown]
	global_load_dwordx4 v[106:109], v[80:81], off offset:592
	global_load_dwordx4 v[60:63], v[80:81], off offset:608
	;; [unrolled: 1-line block ×3, first 2 shown]
	global_load_dwordx2 v[100:101], v[98:99], off offset:32
	s_waitcnt vmcnt(4)
	v_fmac_f64_e32 v[88:89], 0, v[12:13]
	v_fmac_f64_e32 v[84:85], 0, v[12:13]
	;; [unrolled: 1-line block ×6, first 2 shown]
	global_load_dwordx4 v[4:7], v[56:57], off offset:32
	v_fmac_f64_e32 v[96:97], v[8:9], v[12:13]
	v_fmac_f64_e32 v[86:87], 0, v[12:13]
	;; [unrolled: 1-line block ×10, first 2 shown]
	global_load_dwordx4 v[8:11], v[80:81], off offset:576
	s_waitcnt vmcnt(1)
	v_fmac_f64_e32 v[96:97], v[40:41], v[4:5]
	v_fmac_f64_e32 v[86:87], 0, v[4:5]
	;; [unrolled: 1-line block ×8, first 2 shown]
	v_subrev_co_u32_e32 v4, vcc, s20, v52
	v_subb_co_u32_e32 v5, vcc, v53, v75, vcc
	v_lshlrev_b64 v[4:5], 6, v[4:5]
	v_add_co_u32_e32 v110, vcc, s4, v4
	v_fmac_f64_e32 v[86:87], v[40:41], v[6:7]
	v_fmac_f64_e32 v[90:91], v[42:43], v[6:7]
	;; [unrolled: 1-line block ×8, first 2 shown]
	v_addc_co_u32_e32 v111, vcc, v104, v5, vcc
	global_load_dwordx4 v[4:7], v[56:57], off offset:48
	global_load_dwordx4 v[12:15], v[110:111], off
	global_load_dwordx4 v[32:35], v[80:81], off offset:1056
	global_load_dwordx4 v[52:55], v[80:81], off offset:1040
	;; [unrolled: 1-line block ×3, first 2 shown]
	s_waitcnt vmcnt(4)
	v_fmac_f64_e32 v[96:97], v[24:25], v[4:5]
	v_fmac_f64_e32 v[86:87], 0, v[4:5]
	;; [unrolled: 1-line block ×16, first 2 shown]
	s_waitcnt vmcnt(3)
	v_fmac_f64_e32 v[96:97], v[44:45], v[12:13]
	v_fmac_f64_e32 v[86:87], 0, v[12:13]
	;; [unrolled: 1-line block ×16, first 2 shown]
	global_load_dwordx4 v[12:15], v[110:111], off offset:16
	global_load_dwordx4 v[56:59], v[80:81], off offset:1024
	;; [unrolled: 1-line block ×5, first 2 shown]
	s_waitcnt vmcnt(4)
	v_fmac_f64_e32 v[96:97], v[28:29], v[12:13]
	v_fmac_f64_e32 v[86:87], 0, v[12:13]
	;; [unrolled: 1-line block ×16, first 2 shown]
	global_load_dwordx4 v[14:17], v[110:111], off offset:32
	global_load_dwordx4 v[20:23], v[110:111], off offset:48
	;; [unrolled: 1-line block ×3, first 2 shown]
	s_waitcnt vmcnt(2)
	v_fmac_f64_e32 v[96:97], v[8:9], v[14:15]
	v_fmac_f64_e32 v[86:87], 0, v[14:15]
	;; [unrolled: 1-line block ×16, first 2 shown]
	s_waitcnt vmcnt(1)
	v_fmac_f64_e32 v[96:97], v[60:61], v[20:21]
	v_fmac_f64_e32 v[86:87], 0, v[20:21]
	;; [unrolled: 1-line block ×8, first 2 shown]
	v_subrev_co_u32_e32 v20, vcc, s20, v102
	v_subb_co_u32_e32 v21, vcc, v103, v75, vcc
	v_lshlrev_b64 v[20:21], 6, v[20:21]
	v_fmac_f64_e32 v[86:87], v[60:61], v[22:23]
	v_add_co_u32_e32 v60, vcc, s4, v20
	v_addc_co_u32_e32 v61, vcc, v104, v21, vcc
	global_load_dwordx4 v[36:39], v[60:61], off
	v_fmac_f64_e32 v[88:89], v[0:1], v[22:23]
	v_fmac_f64_e32 v[84:85], v[2:3], v[22:23]
	;; [unrolled: 1-line block ×7, first 2 shown]
	global_load_dwordx4 v[8:11], v[80:81], off offset:1584
	global_load_dwordx4 v[12:15], v[80:81], off offset:1568
	;; [unrolled: 1-line block ×5, first 2 shown]
	s_waitcnt vmcnt(5)
	v_fmac_f64_e32 v[88:89], 0, v[36:37]
	v_fmac_f64_e32 v[84:85], 0, v[36:37]
	;; [unrolled: 1-line block ×6, first 2 shown]
	global_load_dwordx4 v[52:55], v[60:61], off offset:16
	v_fmac_f64_e32 v[96:97], v[56:57], v[36:37]
	v_fmac_f64_e32 v[86:87], 0, v[36:37]
	;; [unrolled: 1-line block ×10, first 2 shown]
	global_load_dwordx4 v[36:39], v[80:81], off offset:1600
	s_waitcnt vmcnt(1)
	v_fmac_f64_e32 v[96:97], v[32:33], v[52:53]
	v_fmac_f64_e32 v[86:87], 0, v[52:53]
	;; [unrolled: 1-line block ×10, first 2 shown]
	global_load_dwordx4 v[32:35], v[80:81], off offset:1616
	v_fmac_f64_e32 v[88:89], v[48:49], v[54:55]
	v_fmac_f64_e32 v[84:85], v[50:51], v[54:55]
	;; [unrolled: 1-line block ×6, first 2 shown]
	global_load_dwordx4 v[56:59], v[60:61], off offset:32
	global_load_dwordx4 v[52:55], v[60:61], off offset:48
	v_subrev_co_u32_e64 v48, s[2:3], s20, v100
	v_subb_co_u32_e64 v49, s[2:3], v101, v75, s[2:3]
	v_lshlrev_b64 v[48:49], 6, v[48:49]
	v_add_co_u32_e64 v62, s[2:3], s4, v48
	v_addc_co_u32_e64 v63, s[2:3], v104, v49, s[2:3]
	global_load_dwordx4 v[48:51], v[62:63], off
	v_add_co_u32_e32 v80, vcc, s5, v80
	s_mov_b64 s[0:1], vcc
	v_add_co_u32_e32 v76, vcc, 16, v76
	v_addc_co_u32_e32 v77, vcc, 0, v77, vcc
	v_addc_co_u32_e64 v81, s[0:1], 0, v81, s[0:1]
	v_add_co_u32_e32 v98, vcc, 0x80, v98
	v_cmp_ge_i64_e64 s[0:1], v[76:77], v[78:79]
	v_addc_co_u32_e32 v99, vcc, 0, v99, vcc
	s_or_b64 s[12:13], s[0:1], s[12:13]
	s_waitcnt vmcnt(2)
	v_fmac_f64_e32 v[86:87], 0, v[56:57]
	v_fmac_f64_e32 v[90:91], 0, v[56:57]
	;; [unrolled: 1-line block ×6, first 2 shown]
	global_load_dwordx4 v[44:47], v[62:63], off offset:16
	v_fmac_f64_e32 v[88:89], 0, v[56:57]
	v_fmac_f64_e32 v[84:85], 0, v[56:57]
	v_fmac_f64_e32 v[92:93], v[40:41], v[56:57]
	v_fmac_f64_e32 v[82:83], v[42:43], v[56:57]
	v_fmac_f64_e32 v[88:89], v[40:41], v[58:59]
	v_fmac_f64_e32 v[84:85], v[42:43], v[58:59]
	global_load_dwordx4 v[40:43], v[62:63], off offset:32
	v_fmac_f64_e32 v[96:97], 0x80000000, v[58:59]
	v_fmac_f64_e32 v[94:95], 0x80000000, v[58:59]
	s_waitcnt vmcnt(3)
	v_fmac_f64_e32 v[86:87], 0, v[52:53]
	v_fmac_f64_e32 v[90:91], 0, v[52:53]
	;; [unrolled: 1-line block ×6, first 2 shown]
	global_load_dwordx4 v[24:27], v[62:63], off offset:48
	v_fmac_f64_e32 v[92:93], 0x80000000, v[58:59]
	v_fmac_f64_e32 v[82:83], 0x80000000, v[58:59]
	v_fmac_f64_e32 v[92:93], v[4:5], v[52:53]
	v_fmac_f64_e32 v[88:89], 0, v[52:53]
	v_fmac_f64_e32 v[82:83], v[6:7], v[52:53]
	v_fmac_f64_e32 v[84:85], 0, v[52:53]
	v_fmac_f64_e32 v[96:97], 0x80000000, v[54:55]
	v_fmac_f64_e32 v[94:95], 0x80000000, v[54:55]
	v_fmac_f64_e32 v[92:93], 0x80000000, v[54:55]
	v_fmac_f64_e32 v[88:89], v[4:5], v[54:55]
	v_fmac_f64_e32 v[82:83], 0x80000000, v[54:55]
	v_fmac_f64_e32 v[84:85], v[6:7], v[54:55]
	s_waitcnt vmcnt(3)
	v_fmac_f64_e32 v[96:97], v[0:1], v[48:49]
	v_fmac_f64_e32 v[86:87], 0, v[48:49]
	v_fmac_f64_e32 v[94:95], v[2:3], v[48:49]
	v_fmac_f64_e32 v[90:91], 0, v[48:49]
	v_fmac_f64_e32 v[92:93], v[16:17], v[48:49]
	v_fmac_f64_e32 v[88:89], 0, v[48:49]
	v_fmac_f64_e32 v[82:83], v[18:19], v[48:49]
	v_fmac_f64_e32 v[84:85], 0, v[48:49]
	v_fmac_f64_e32 v[96:97], 0x80000000, v[50:51]
	v_fmac_f64_e32 v[86:87], v[0:1], v[50:51]
	v_fmac_f64_e32 v[94:95], 0x80000000, v[50:51]
	v_fmac_f64_e32 v[90:91], v[2:3], v[50:51]
	v_fmac_f64_e32 v[92:93], 0x80000000, v[50:51]
	v_fmac_f64_e32 v[88:89], v[16:17], v[50:51]
	v_fmac_f64_e32 v[82:83], 0x80000000, v[50:51]
	v_fmac_f64_e32 v[84:85], v[18:19], v[50:51]
	s_waitcnt vmcnt(2)
	v_fmac_f64_e32 v[96:97], v[12:13], v[44:45]
	v_fmac_f64_e32 v[86:87], 0, v[44:45]
	v_fmac_f64_e32 v[94:95], v[14:15], v[44:45]
	v_fmac_f64_e32 v[90:91], 0, v[44:45]
	;; [unrolled: 17-line block ×4, first 2 shown]
	v_fmac_f64_e32 v[92:93], v[20:21], v[24:25]
	v_fmac_f64_e32 v[88:89], 0, v[24:25]
	;; [unrolled: 1-line block ×12, first 2 shown]
	s_andn2_b64 exec, exec, s[12:13]
	s_cbranch_execnz .LBB145_37
; %bb.38:
	s_or_b64 exec, exec, s[12:13]
.LBB145_39:
	s_or_b64 exec, exec, s[10:11]
.LBB145_40:
	s_or_b64 exec, exec, s[8:9]
.LBB145_41:
	v_mov_b32_dpp v0, v96 row_shr:1 row_mask:0xf bank_mask:0xf
	v_mov_b32_dpp v1, v97 row_shr:1 row_mask:0xf bank_mask:0xf
	v_mov_b32_dpp v4, v86 row_shr:1 row_mask:0xf bank_mask:0xf
	v_mov_b32_dpp v5, v87 row_shr:1 row_mask:0xf bank_mask:0xf
	v_mov_b32_dpp v8, v94 row_shr:1 row_mask:0xf bank_mask:0xf
	v_mov_b32_dpp v9, v95 row_shr:1 row_mask:0xf bank_mask:0xf
	v_mov_b32_dpp v12, v90 row_shr:1 row_mask:0xf bank_mask:0xf
	v_mov_b32_dpp v13, v91 row_shr:1 row_mask:0xf bank_mask:0xf
	v_mov_b32_dpp v16, v92 row_shr:1 row_mask:0xf bank_mask:0xf
	v_mov_b32_dpp v17, v93 row_shr:1 row_mask:0xf bank_mask:0xf
	v_mov_b32_dpp v20, v88 row_shr:1 row_mask:0xf bank_mask:0xf
	v_mov_b32_dpp v21, v89 row_shr:1 row_mask:0xf bank_mask:0xf
	v_mov_b32_dpp v24, v82 row_shr:1 row_mask:0xf bank_mask:0xf
	v_mov_b32_dpp v25, v83 row_shr:1 row_mask:0xf bank_mask:0xf
	v_mov_b32_dpp v28, v84 row_shr:1 row_mask:0xf bank_mask:0xf
	v_mov_b32_dpp v29, v85 row_shr:1 row_mask:0xf bank_mask:0xf
	v_add_f64 v[0:1], v[96:97], v[0:1]
	v_add_f64 v[4:5], v[86:87], v[4:5]
	;; [unrolled: 1-line block ×8, first 2 shown]
	v_mov_b32_dpp v2, v0 row_shr:2 row_mask:0xf bank_mask:0xf
	v_mov_b32_dpp v3, v1 row_shr:2 row_mask:0xf bank_mask:0xf
	;; [unrolled: 1-line block ×16, first 2 shown]
	v_cmp_eq_u32_e32 vcc, 3, v74
	s_and_b64 exec, exec, vcc
	s_cbranch_execz .LBB145_12
; %bb.42:
	s_load_dwordx2 s[2:3], s[6:7], 0x68
	v_add_f64 v[32:33], v[0:1], v[2:3]
	v_add_f64 v[0:1], v[4:5], v[6:7]
	;; [unrolled: 1-line block ×8, first 2 shown]
	v_cmp_eq_f64_e32 vcc, 0, v[64:65]
	v_cmp_eq_f64_e64 s[0:1], 0, v[66:67]
	v_mul_f64 v[12:13], v[0:1], -v[70:71]
	v_mul_f64 v[14:15], v[68:69], v[0:1]
	v_mul_f64 v[8:9], v[2:3], -v[70:71]
	v_mul_f64 v[10:11], v[68:69], v[2:3]
	;; [unrolled: 2-line block ×4, first 2 shown]
	s_and_b64 s[0:1], vcc, s[0:1]
	v_fmac_f64_e32 v[12:13], v[68:69], v[32:33]
	v_fmac_f64_e32 v[14:15], v[70:71], v[32:33]
	v_lshlrev_b64 v[16:17], 6, v[72:73]
	v_fmac_f64_e32 v[8:9], v[68:69], v[34:35]
	v_fmac_f64_e32 v[10:11], v[70:71], v[34:35]
	v_fmac_f64_e32 v[4:5], v[68:69], v[18:19]
	v_fmac_f64_e32 v[6:7], v[70:71], v[18:19]
	v_fmac_f64_e32 v[0:1], v[68:69], v[20:21]
	v_fmac_f64_e32 v[2:3], v[70:71], v[20:21]
	s_and_saveexec_b64 s[4:5], s[0:1]
	s_xor_b64 s[0:1], exec, s[4:5]
	s_cbranch_execz .LBB145_44
; %bb.43:
	s_waitcnt lgkmcnt(0)
	v_mov_b32_e32 v18, s3
	v_add_co_u32_e32 v16, vcc, s2, v16
	v_addc_co_u32_e32 v17, vcc, v18, v17, vcc
	global_store_dwordx4 v[16:17], v[12:15], off
	global_store_dwordx4 v[16:17], v[8:11], off offset:16
	global_store_dwordx4 v[16:17], v[4:7], off offset:32
	;; [unrolled: 1-line block ×3, first 2 shown]
                                        ; implicit-def: $vgpr64_vgpr65
                                        ; implicit-def: $vgpr66_vgpr67
                                        ; implicit-def: $vgpr12_vgpr13
                                        ; implicit-def: $vgpr16_vgpr17
                                        ; implicit-def: $vgpr8_vgpr9
                                        ; implicit-def: $vgpr4_vgpr5
                                        ; implicit-def: $vgpr0_vgpr1
.LBB145_44:
	s_andn2_saveexec_b64 s[0:1], s[0:1]
	s_cbranch_execz .LBB145_12
; %bb.45:
	s_waitcnt lgkmcnt(0)
	v_mov_b32_e32 v18, s3
	v_add_co_u32_e32 v32, vcc, s2, v16
	v_addc_co_u32_e32 v33, vcc, v18, v17, vcc
	global_load_dwordx4 v[16:19], v[32:33], off
	global_load_dwordx4 v[20:23], v[32:33], off offset:16
	global_load_dwordx4 v[24:27], v[32:33], off offset:32
	;; [unrolled: 1-line block ×3, first 2 shown]
	s_waitcnt vmcnt(3)
	v_fmac_f64_e32 v[12:13], v[64:65], v[16:17]
	v_fmac_f64_e32 v[14:15], v[66:67], v[16:17]
	s_waitcnt vmcnt(2)
	v_fmac_f64_e32 v[8:9], v[64:65], v[20:21]
	v_fmac_f64_e32 v[10:11], v[66:67], v[20:21]
	;; [unrolled: 3-line block ×4, first 2 shown]
	v_fma_f64 v[12:13], -v[66:67], v[18:19], v[12:13]
	v_fmac_f64_e32 v[14:15], v[64:65], v[18:19]
	v_fma_f64 v[8:9], -v[66:67], v[22:23], v[8:9]
	v_fmac_f64_e32 v[10:11], v[64:65], v[22:23]
	v_fma_f64 v[4:5], -v[66:67], v[26:27], v[4:5]
	v_fmac_f64_e32 v[6:7], v[64:65], v[26:27]
	v_fma_f64 v[0:1], -v[66:67], v[30:31], v[0:1]
	v_fmac_f64_e32 v[2:3], v[64:65], v[30:31]
	global_store_dwordx4 v[32:33], v[12:15], off
	global_store_dwordx4 v[32:33], v[8:11], off offset:16
	global_store_dwordx4 v[32:33], v[4:7], off offset:32
	;; [unrolled: 1-line block ×3, first 2 shown]
	s_endpgm
	.section	.rodata,"a",@progbits
	.p2align	6, 0x0
	.amdhsa_kernel _ZN9rocsparseL18bsrxmvn_4x4_kernelILj128ELj4E21rocsparse_complex_numIdElldS2_S2_EEvT3_20rocsparse_direction_NS_24const_host_device_scalarIT1_EES3_PKS3_PKT2_SC_S9_PKT4_PKT5_S7_PT6_21rocsparse_index_base_b
		.amdhsa_group_segment_fixed_size 2048
		.amdhsa_private_segment_fixed_size 0
		.amdhsa_kernarg_size 120
		.amdhsa_user_sgpr_count 8
		.amdhsa_user_sgpr_private_segment_buffer 1
		.amdhsa_user_sgpr_dispatch_ptr 1
		.amdhsa_user_sgpr_queue_ptr 0
		.amdhsa_user_sgpr_kernarg_segment_ptr 1
		.amdhsa_user_sgpr_dispatch_id 0
		.amdhsa_user_sgpr_flat_scratch_init 0
		.amdhsa_user_sgpr_kernarg_preload_length 0
		.amdhsa_user_sgpr_kernarg_preload_offset 0
		.amdhsa_user_sgpr_private_segment_size 0
		.amdhsa_uses_dynamic_stack 0
		.amdhsa_system_sgpr_private_segment_wavefront_offset 0
		.amdhsa_system_sgpr_workgroup_id_x 1
		.amdhsa_system_sgpr_workgroup_id_y 0
		.amdhsa_system_sgpr_workgroup_id_z 0
		.amdhsa_system_sgpr_workgroup_info 0
		.amdhsa_system_vgpr_workitem_id 2
		.amdhsa_next_free_vgpr 112
		.amdhsa_next_free_sgpr 22
		.amdhsa_accum_offset 112
		.amdhsa_reserve_vcc 1
		.amdhsa_reserve_flat_scratch 0
		.amdhsa_float_round_mode_32 0
		.amdhsa_float_round_mode_16_64 0
		.amdhsa_float_denorm_mode_32 3
		.amdhsa_float_denorm_mode_16_64 3
		.amdhsa_dx10_clamp 1
		.amdhsa_ieee_mode 1
		.amdhsa_fp16_overflow 0
		.amdhsa_tg_split 0
		.amdhsa_exception_fp_ieee_invalid_op 0
		.amdhsa_exception_fp_denorm_src 0
		.amdhsa_exception_fp_ieee_div_zero 0
		.amdhsa_exception_fp_ieee_overflow 0
		.amdhsa_exception_fp_ieee_underflow 0
		.amdhsa_exception_fp_ieee_inexact 0
		.amdhsa_exception_int_div_zero 0
	.end_amdhsa_kernel
	.section	.text._ZN9rocsparseL18bsrxmvn_4x4_kernelILj128ELj4E21rocsparse_complex_numIdElldS2_S2_EEvT3_20rocsparse_direction_NS_24const_host_device_scalarIT1_EES3_PKS3_PKT2_SC_S9_PKT4_PKT5_S7_PT6_21rocsparse_index_base_b,"axG",@progbits,_ZN9rocsparseL18bsrxmvn_4x4_kernelILj128ELj4E21rocsparse_complex_numIdElldS2_S2_EEvT3_20rocsparse_direction_NS_24const_host_device_scalarIT1_EES3_PKS3_PKT2_SC_S9_PKT4_PKT5_S7_PT6_21rocsparse_index_base_b,comdat
.Lfunc_end145:
	.size	_ZN9rocsparseL18bsrxmvn_4x4_kernelILj128ELj4E21rocsparse_complex_numIdElldS2_S2_EEvT3_20rocsparse_direction_NS_24const_host_device_scalarIT1_EES3_PKS3_PKT2_SC_S9_PKT4_PKT5_S7_PT6_21rocsparse_index_base_b, .Lfunc_end145-_ZN9rocsparseL18bsrxmvn_4x4_kernelILj128ELj4E21rocsparse_complex_numIdElldS2_S2_EEvT3_20rocsparse_direction_NS_24const_host_device_scalarIT1_EES3_PKS3_PKT2_SC_S9_PKT4_PKT5_S7_PT6_21rocsparse_index_base_b
                                        ; -- End function
	.section	.AMDGPU.csdata,"",@progbits
; Kernel info:
; codeLenInByte = 7264
; NumSgprs: 26
; NumVgprs: 112
; NumAgprs: 0
; TotalNumVgprs: 112
; ScratchSize: 0
; MemoryBound: 0
; FloatMode: 240
; IeeeMode: 1
; LDSByteSize: 2048 bytes/workgroup (compile time only)
; SGPRBlocks: 3
; VGPRBlocks: 13
; NumSGPRsForWavesPerEU: 26
; NumVGPRsForWavesPerEU: 112
; AccumOffset: 112
; Occupancy: 4
; WaveLimiterHint : 1
; COMPUTE_PGM_RSRC2:SCRATCH_EN: 0
; COMPUTE_PGM_RSRC2:USER_SGPR: 8
; COMPUTE_PGM_RSRC2:TRAP_HANDLER: 0
; COMPUTE_PGM_RSRC2:TGID_X_EN: 1
; COMPUTE_PGM_RSRC2:TGID_Y_EN: 0
; COMPUTE_PGM_RSRC2:TGID_Z_EN: 0
; COMPUTE_PGM_RSRC2:TIDIG_COMP_CNT: 2
; COMPUTE_PGM_RSRC3_GFX90A:ACCUM_OFFSET: 27
; COMPUTE_PGM_RSRC3_GFX90A:TG_SPLIT: 0
	.section	.text._ZN9rocsparseL18bsrxmvn_4x4_kernelILj128ELj8E21rocsparse_complex_numIdElldS2_S2_EEvT3_20rocsparse_direction_NS_24const_host_device_scalarIT1_EES3_PKS3_PKT2_SC_S9_PKT4_PKT5_S7_PT6_21rocsparse_index_base_b,"axG",@progbits,_ZN9rocsparseL18bsrxmvn_4x4_kernelILj128ELj8E21rocsparse_complex_numIdElldS2_S2_EEvT3_20rocsparse_direction_NS_24const_host_device_scalarIT1_EES3_PKS3_PKT2_SC_S9_PKT4_PKT5_S7_PT6_21rocsparse_index_base_b,comdat
	.globl	_ZN9rocsparseL18bsrxmvn_4x4_kernelILj128ELj8E21rocsparse_complex_numIdElldS2_S2_EEvT3_20rocsparse_direction_NS_24const_host_device_scalarIT1_EES3_PKS3_PKT2_SC_S9_PKT4_PKT5_S7_PT6_21rocsparse_index_base_b ; -- Begin function _ZN9rocsparseL18bsrxmvn_4x4_kernelILj128ELj8E21rocsparse_complex_numIdElldS2_S2_EEvT3_20rocsparse_direction_NS_24const_host_device_scalarIT1_EES3_PKS3_PKT2_SC_S9_PKT4_PKT5_S7_PT6_21rocsparse_index_base_b
	.p2align	8
	.type	_ZN9rocsparseL18bsrxmvn_4x4_kernelILj128ELj8E21rocsparse_complex_numIdElldS2_S2_EEvT3_20rocsparse_direction_NS_24const_host_device_scalarIT1_EES3_PKS3_PKT2_SC_S9_PKT4_PKT5_S7_PT6_21rocsparse_index_base_b,@function
_ZN9rocsparseL18bsrxmvn_4x4_kernelILj128ELj8E21rocsparse_complex_numIdElldS2_S2_EEvT3_20rocsparse_direction_NS_24const_host_device_scalarIT1_EES3_PKS3_PKT2_SC_S9_PKT4_PKT5_S7_PT6_21rocsparse_index_base_b: ; @_ZN9rocsparseL18bsrxmvn_4x4_kernelILj128ELj8E21rocsparse_complex_numIdElldS2_S2_EEvT3_20rocsparse_direction_NS_24const_host_device_scalarIT1_EES3_PKS3_PKT2_SC_S9_PKT4_PKT5_S7_PT6_21rocsparse_index_base_b
; %bb.0:
	s_load_dwordx2 s[20:21], s[6:7], 0x70
	s_load_dwordx4 s[16:19], s[6:7], 0x10
	s_load_dwordx2 s[10:11], s[4:5], 0x4
	s_load_dwordx4 s[12:15], s[6:7], 0x58
	s_mov_b64 s[2:3], src_shared_base
	v_bfe_u32 v3, v0, 10, 10
	s_waitcnt lgkmcnt(0)
	s_bitcmp1_b32 s21, 0
	s_cselect_b64 s[0:1], -1, 0
	s_and_b64 vcc, s[0:1], exec
	s_cselect_b32 s2, s3, s17
	s_lshr_b32 s4, s10, 16
	v_and_b32_e32 v2, 0x3ff, v0
	s_mul_i32 s4, s4, s11
	v_mul_u32_u24_e32 v3, s11, v3
	v_mad_u32_u24 v3, s4, v2, v3
	v_bfe_u32 v0, v0, 20, 10
	v_add_lshl_u32 v0, v3, v0, 3
	v_mov_b32_e32 v1, s16
	v_add_u32_e32 v3, 0x400, v0
	v_pk_mov_b32 v[4:5], s[16:17], s[16:17] op_sel:[0,1]
	v_pk_mov_b32 v[6:7], s[12:13], s[12:13] op_sel:[0,1]
	ds_write2st64_b64 v0, v[6:7], v[4:5] offset1:2
	v_cndmask_b32_e64 v4, v1, v3, s[0:1]
	v_mov_b32_e32 v5, s2
	flat_load_dwordx2 v[68:69], v[4:5]
	s_xor_b64 s[4:5], s[0:1], -1
	v_pk_mov_b32 v[70:71], s[18:19], s[18:19] op_sel:[0,1]
	s_cbranch_vccnz .LBB146_2
; %bb.1:
	v_pk_mov_b32 v[4:5], s[16:17], s[16:17] op_sel:[0,1]
	flat_load_dwordx2 v[70:71], v[4:5] offset:8
.LBB146_2:
	s_and_b64 s[10:11], s[0:1], exec
	s_cselect_b32 s2, s3, s13
	v_mov_b32_e32 v1, s12
	v_cndmask_b32_e64 v0, v1, v0, s[0:1]
	v_mov_b32_e32 v1, s2
	flat_load_dwordx2 v[64:65], v[0:1]
	s_andn2_b64 vcc, exec, s[4:5]
	v_pk_mov_b32 v[66:67], s[14:15], s[14:15] op_sel:[0,1]
	s_cbranch_vccnz .LBB146_4
; %bb.3:
	v_pk_mov_b32 v[0:1], s[12:13], s[12:13] op_sel:[0,1]
	flat_load_dwordx2 v[66:67], v[0:1] offset:8
.LBB146_4:
	s_waitcnt vmcnt(0) lgkmcnt(0)
	v_cmp_eq_f64_e32 vcc, 0, v[68:69]
	v_cmp_eq_f64_e64 s[0:1], 0, v[70:71]
	s_and_b64 s[4:5], vcc, s[0:1]
	s_mov_b64 s[0:1], -1
	s_and_saveexec_b64 s[2:3], s[4:5]
; %bb.5:
	v_cmp_neq_f64_e32 vcc, 1.0, v[64:65]
	v_cmp_neq_f64_e64 s[0:1], 0, v[66:67]
	s_or_b64 s[0:1], vcc, s[0:1]
	s_orn2_b64 s[0:1], s[0:1], exec
; %bb.6:
	s_or_b64 exec, exec, s[2:3]
	s_and_saveexec_b64 s[2:3], s[0:1]
	s_cbranch_execz .LBB146_12
; %bb.7:
	s_load_dwordx2 s[2:3], s[6:7], 0x28
	v_lshrrev_b32_e32 v0, 3, v2
	v_lshl_or_b32 v0, s8, 4, v0
	v_mov_b32_e32 v1, 0
	s_mov_b64 s[0:1], 0
	s_waitcnt lgkmcnt(0)
	s_cmp_lg_u64 s[2:3], 0
	s_cbranch_scc0 .LBB146_13
; %bb.8:
	s_load_dwordx2 s[4:5], s[6:7], 0x20
                                        ; implicit-def: $vgpr72_vgpr73
	s_waitcnt lgkmcnt(0)
	v_cmp_gt_i64_e32 vcc, s[4:5], v[0:1]
	s_and_saveexec_b64 s[4:5], vcc
	s_xor_b64 s[4:5], exec, s[4:5]
                                        ; implicit-def: $sgpr16_sgpr17
	s_cbranch_execz .LBB146_10
; %bb.9:
	v_lshlrev_b64 v[4:5], 3, v[0:1]
	v_mov_b32_e32 v3, s3
	v_add_co_u32_e32 v4, vcc, s2, v4
	v_addc_co_u32_e32 v5, vcc, v3, v5, vcc
	global_load_dwordx2 v[4:5], v[4:5], off
	s_mov_b64 s[0:1], exec
	s_mov_b32 s17, 0
	s_waitcnt vmcnt(0)
	v_subrev_co_u32_e32 v72, vcc, s20, v4
	v_subbrev_co_u32_e32 v73, vcc, 0, v5, vcc
.LBB146_10:
	s_or_b64 exec, exec, s[4:5]
.LBB146_11:
	s_and_b64 exec, exec, s[0:1]
	s_cbranch_execnz .LBB146_17
.LBB146_12:
	s_endpgm
.LBB146_13:
                                        ; implicit-def: $vgpr72_vgpr73
                                        ; implicit-def: $sgpr16_sgpr17
	s_cbranch_execz .LBB146_11
; %bb.14:
	s_load_dwordx2 s[2:3], s[6:7], 0x0
                                        ; implicit-def: $vgpr72_vgpr73
	s_waitcnt lgkmcnt(0)
	v_cmp_gt_i64_e32 vcc, s[2:3], v[0:1]
	s_and_saveexec_b64 s[2:3], vcc
                                        ; implicit-def: $sgpr16_sgpr17
; %bb.15:
	s_mov_b32 s17, 0
	s_or_b64 s[0:1], s[0:1], exec
	v_pk_mov_b32 v[72:73], v[0:1], v[0:1] op_sel:[0,1]
; %bb.16:
	s_or_b64 exec, exec, s[2:3]
	s_and_b64 exec, exec, s[0:1]
	s_cbranch_execz .LBB146_12
.LBB146_17:
	s_load_dwordx8 s[8:15], s[6:7], 0x30
	v_lshlrev_b64 v[0:1], 3, v[72:73]
	v_and_b32_e32 v74, 7, v2
	v_mov_b32_e32 v2, s17
	s_waitcnt lgkmcnt(0)
	v_mov_b32_e32 v3, s9
	v_add_co_u32_e32 v4, vcc, s8, v0
	v_addc_co_u32_e32 v5, vcc, v3, v1, vcc
	v_add_co_u32_e32 v3, vcc, 8, v4
	global_load_dwordx2 v[16:17], v[4:5], off
	v_addc_co_u32_e32 v4, vcc, 0, v5, vcc
	v_mov_b32_e32 v5, s11
	v_add_co_u32_e32 v0, vcc, s10, v0
	s_cmp_eq_u64 s[10:11], 0
	v_addc_co_u32_e32 v1, vcc, v5, v1, vcc
	s_cselect_b64 vcc, -1, 0
	v_cndmask_b32_e32 v1, v1, v4, vcc
	v_cndmask_b32_e32 v0, v0, v3, vcc
	global_load_dwordx2 v[0:1], v[0:1], off
	s_load_dword s0, s[6:7], 0x8
	s_load_dwordx2 s[4:5], s[6:7], 0x50
	v_mov_b32_e32 v3, s15
	s_waitcnt lgkmcnt(0)
	s_cmp_eq_u32 s0, 1
	s_waitcnt vmcnt(1)
	v_subrev_co_u32_e32 v4, vcc, s20, v16
	v_subb_co_u32_e32 v5, vcc, v17, v2, vcc
	v_add_co_u32_e32 v76, vcc, v4, v74
	v_addc_co_u32_e32 v77, vcc, 0, v5, vcc
	s_waitcnt vmcnt(0)
	v_subrev_co_u32_e32 v78, vcc, s20, v0
	v_subb_co_u32_e32 v79, vcc, v1, v2, vcc
	v_lshlrev_b64 v[0:1], 7, v[76:77]
	v_add_co_u32_e32 v80, vcc, s14, v0
	v_addc_co_u32_e32 v81, vcc, v3, v1, vcc
	v_cmp_lt_i64_e64 s[0:1], v[76:77], v[78:79]
	s_cbranch_scc1 .LBB146_29
; %bb.18:
	v_pk_mov_b32 v[90:91], 0, 0
	s_mov_b64 s[8:9], 0
	v_pk_mov_b32 v[96:97], v[90:91], v[90:91] op_sel:[0,1]
	v_pk_mov_b32 v[92:93], v[90:91], v[90:91] op_sel:[0,1]
	;; [unrolled: 1-line block ×7, first 2 shown]
	s_and_saveexec_b64 s[10:11], s[0:1]
	s_cbranch_execz .LBB146_28
; %bb.19:
	v_or_b32_e32 v0, 8, v74
	v_mov_b32_e32 v1, s17
	v_subrev_co_u32_e32 v0, vcc, s20, v0
	v_subb_co_u32_e32 v1, vcc, 0, v1, vcc
	v_add_co_u32_e32 v0, vcc, v0, v16
	v_addc_co_u32_e32 v1, vcc, v1, v17, vcc
	v_cmp_gt_i64_e32 vcc, v[0:1], v[78:79]
	v_cndmask_b32_e32 v1, v79, v1, vcc
	v_cndmask_b32_e32 v0, v78, v0, vcc
	v_mov_b32_e32 v4, s17
	v_sub_co_u32_e32 v5, vcc, s20, v74
	v_not_b32_e32 v3, v16
	v_subbrev_co_u32_e32 v4, vcc, 0, v4, vcc
	v_not_b32_e32 v2, v17
	v_add_co_u32_e32 v3, vcc, v5, v3
	v_addc_co_u32_e32 v2, vcc, v4, v2, vcc
	v_add_co_u32_e32 v22, vcc, v3, v0
	v_lshrrev_b32_e32 v0, 3, v22
	v_add_u32_e32 v0, 1, v0
	v_addc_co_u32_e32 v23, vcc, v2, v1, vcc
	v_and_b32_e32 v0, 3, v0
	v_pk_mov_b32 v[82:83], 0, 0
	v_cmp_ne_u32_e32 vcc, 0, v0
	s_mov_b64 s[18:19], 0
	v_pk_mov_b32 v[84:85], v[82:83], v[82:83] op_sel:[0,1]
	v_pk_mov_b32 v[88:89], v[82:83], v[82:83] op_sel:[0,1]
	;; [unrolled: 1-line block ×9, first 2 shown]
	s_and_saveexec_b64 s[14:15], vcc
	s_cbranch_execz .LBB146_23
; %bb.20:
	v_lshlrev_b64 v[2:3], 3, v[76:77]
	v_mov_b32_e32 v1, s13
	v_add_co_u32_e32 v26, vcc, s12, v2
	v_pk_mov_b32 v[90:91], 0, 0
	v_mov_b32_e32 v25, 0
	v_addc_co_u32_e32 v27, vcc, v1, v3, vcc
	v_lshlrev_b32_e32 v24, 3, v0
	s_movk_i32 s16, 0x400
	v_mov_b32_e32 v30, s17
	v_mov_b32_e32 v31, s5
	v_pk_mov_b32 v[20:21], v[76:77], v[76:77] op_sel:[0,1]
	v_pk_mov_b32 v[18:19], v[80:81], v[80:81] op_sel:[0,1]
	v_pk_mov_b32 v[96:97], v[90:91], v[90:91] op_sel:[0,1]
	v_pk_mov_b32 v[92:93], v[90:91], v[90:91] op_sel:[0,1]
	v_pk_mov_b32 v[94:95], v[90:91], v[90:91] op_sel:[0,1]
	v_pk_mov_b32 v[86:87], v[90:91], v[90:91] op_sel:[0,1]
	v_pk_mov_b32 v[88:89], v[90:91], v[90:91] op_sel:[0,1]
	v_pk_mov_b32 v[84:85], v[90:91], v[90:91] op_sel:[0,1]
	v_pk_mov_b32 v[82:83], v[90:91], v[90:91] op_sel:[0,1]
.LBB146_21:                             ; =>This Inner Loop Header: Depth=1
	global_load_dwordx2 v[28:29], v[26:27], off
	global_load_dwordx4 v[0:3], v[18:19], off offset:48
	global_load_dwordx4 v[8:11], v[18:19], off offset:32
	;; [unrolled: 1-line block ×3, first 2 shown]
	global_load_dwordx4 v[12:15], v[18:19], off
	global_load_dwordx4 v[32:35], v[18:19], off offset:112
	global_load_dwordx4 v[36:39], v[18:19], off offset:96
	;; [unrolled: 1-line block ×4, first 2 shown]
	v_add_co_u32_e32 v18, vcc, s16, v18
	v_addc_co_u32_e32 v19, vcc, 0, v19, vcc
	s_waitcnt vmcnt(8)
	v_subrev_co_u32_e64 v28, s[2:3], s20, v28
	v_subb_co_u32_e64 v29, s[2:3], v29, v30, s[2:3]
	v_lshlrev_b64 v[28:29], 6, v[28:29]
	v_add_co_u32_e64 v28, s[2:3], s4, v28
	v_addc_co_u32_e64 v29, s[2:3], v31, v29, s[2:3]
	global_load_dwordx4 v[48:51], v[28:29], off
	global_load_dwordx4 v[52:55], v[28:29], off offset:16
	global_load_dwordx4 v[56:59], v[28:29], off offset:32
	;; [unrolled: 1-line block ×3, first 2 shown]
	v_add_co_u32_e64 v20, s[2:3], 8, v20
	v_addc_co_u32_e64 v21, s[2:3], 0, v21, s[2:3]
	v_add_co_u32_e64 v26, s[2:3], 64, v26
	v_addc_co_u32_e64 v27, s[2:3], 0, v27, s[2:3]
	v_add_co_u32_e64 v24, s[2:3], -8, v24
	v_addc_co_u32_e64 v25, s[2:3], -1, v25, s[2:3]
	v_cmp_eq_u64_e32 vcc, 0, v[24:25]
	s_or_b64 s[18:19], vcc, s[18:19]
	s_waitcnt vmcnt(3)
	v_fmac_f64_e32 v[96:97], v[12:13], v[48:49]
	v_fmac_f64_e32 v[90:91], 0, v[48:49]
	v_fmac_f64_e32 v[94:95], v[8:9], v[48:49]
	v_fmac_f64_e32 v[92:93], 0, v[48:49]
	v_fmac_f64_e32 v[88:89], v[40:41], v[48:49]
	v_fmac_f64_e32 v[86:87], 0, v[48:49]
	v_fmac_f64_e32 v[82:83], v[36:37], v[48:49]
	v_fmac_f64_e32 v[84:85], 0, v[48:49]
	v_fmac_f64_e32 v[96:97], 0x80000000, v[50:51]
	v_fmac_f64_e32 v[90:91], v[12:13], v[50:51]
	v_fmac_f64_e32 v[94:95], 0x80000000, v[50:51]
	v_fmac_f64_e32 v[92:93], v[8:9], v[50:51]
	v_fmac_f64_e32 v[88:89], 0x80000000, v[50:51]
	v_fmac_f64_e32 v[86:87], v[40:41], v[50:51]
	v_fmac_f64_e32 v[82:83], 0x80000000, v[50:51]
	v_fmac_f64_e32 v[84:85], v[36:37], v[50:51]
	s_waitcnt vmcnt(2)
	v_fmac_f64_e32 v[96:97], v[14:15], v[52:53]
	v_fmac_f64_e32 v[90:91], 0, v[52:53]
	v_fmac_f64_e32 v[94:95], v[10:11], v[52:53]
	v_fmac_f64_e32 v[92:93], 0, v[52:53]
	v_fmac_f64_e32 v[88:89], v[42:43], v[52:53]
	v_fmac_f64_e32 v[86:87], 0, v[52:53]
	v_fmac_f64_e32 v[82:83], v[38:39], v[52:53]
	v_fmac_f64_e32 v[84:85], 0, v[52:53]
	v_fmac_f64_e32 v[90:91], v[14:15], v[54:55]
	v_fmac_f64_e32 v[92:93], v[10:11], v[54:55]
	v_fmac_f64_e32 v[86:87], v[42:43], v[54:55]
	v_fmac_f64_e32 v[96:97], 0x80000000, v[54:55]
	v_fmac_f64_e32 v[94:95], 0x80000000, v[54:55]
	v_fmac_f64_e32 v[88:89], 0x80000000, v[54:55]
	v_fmac_f64_e32 v[82:83], 0x80000000, v[54:55]
	v_fmac_f64_e32 v[84:85], v[38:39], v[54:55]
	;; [unrolled: 17-line block ×4, first 2 shown]
	s_andn2_b64 exec, exec, s[18:19]
	s_cbranch_execnz .LBB146_21
; %bb.22:
	s_or_b64 exec, exec, s[18:19]
.LBB146_23:
	s_or_b64 exec, exec, s[14:15]
	v_cmp_lt_u64_e32 vcc, 23, v[22:23]
	s_and_saveexec_b64 s[2:3], vcc
	s_cbranch_execz .LBB146_27
; %bb.24:
	v_lshlrev_b64 v[0:1], 3, v[20:21]
	v_mov_b32_e32 v2, s13
	v_add_co_u32_e32 v0, vcc, s12, v0
	v_addc_co_u32_e32 v1, vcc, v1, v2, vcc
	v_add_co_u32_e32 v22, vcc, 0x80, v0
	v_addc_co_u32_e32 v23, vcc, 0, v1, vcc
	s_mov_b64 s[14:15], 0
	v_mov_b32_e32 v24, s17
	v_mov_b32_e32 v25, s5
	s_movk_i32 s16, 0x1000
.LBB146_25:                             ; =>This Inner Loop Header: Depth=1
	global_load_dwordx2 v[0:1], v[22:23], off offset:-128
	s_waitcnt vmcnt(0)
	v_subrev_co_u32_e32 v26, vcc, s20, v0
	v_subb_co_u32_e32 v27, vcc, v1, v24, vcc
	v_lshlrev_b64 v[26:27], 6, v[26:27]
	v_add_co_u32_e32 v42, vcc, s4, v26
	v_addc_co_u32_e32 v43, vcc, v25, v27, vcc
	global_load_dwordx4 v[0:3], v[18:19], off offset:48
	global_load_dwordx4 v[4:7], v[18:19], off offset:32
	;; [unrolled: 1-line block ×3, first 2 shown]
	global_load_dwordx4 v[12:15], v[18:19], off
	global_load_dwordx4 v[26:29], v[42:43], off offset:48
	global_load_dwordx4 v[30:33], v[42:43], off offset:32
	;; [unrolled: 1-line block ×3, first 2 shown]
	global_load_dwordx4 v[38:41], v[42:43], off
	s_waitcnt vmcnt(0)
	v_fmac_f64_e32 v[90:91], 0, v[38:39]
	v_fmac_f64_e32 v[92:93], 0, v[38:39]
	v_fmac_f64_e32 v[96:97], v[12:13], v[38:39]
	v_fmac_f64_e32 v[90:91], v[12:13], v[40:41]
	v_fmac_f64_e32 v[94:95], v[4:5], v[38:39]
	v_fmac_f64_e32 v[92:93], v[4:5], v[40:41]
	v_fmac_f64_e32 v[96:97], 0x80000000, v[40:41]
	v_fmac_f64_e32 v[90:91], 0, v[34:35]
	v_fmac_f64_e32 v[94:95], 0x80000000, v[40:41]
	v_fmac_f64_e32 v[92:93], 0, v[34:35]
	v_fmac_f64_e32 v[96:97], v[14:15], v[34:35]
	v_fmac_f64_e32 v[90:91], v[14:15], v[36:37]
	v_fmac_f64_e32 v[94:95], v[6:7], v[34:35]
	v_fmac_f64_e32 v[92:93], v[6:7], v[36:37]
	v_fmac_f64_e32 v[96:97], 0x80000000, v[36:37]
	v_fmac_f64_e32 v[90:91], 0, v[30:31]
	v_fmac_f64_e32 v[94:95], 0x80000000, v[36:37]
	v_fmac_f64_e32 v[92:93], 0, v[30:31]
	v_fmac_f64_e32 v[96:97], v[8:9], v[30:31]
	v_fmac_f64_e32 v[90:91], v[8:9], v[32:33]
	v_fmac_f64_e32 v[94:95], v[0:1], v[30:31]
	v_fmac_f64_e32 v[92:93], v[0:1], v[32:33]
	v_fmac_f64_e32 v[96:97], 0x80000000, v[32:33]
	v_fmac_f64_e32 v[90:91], 0, v[26:27]
	v_fmac_f64_e32 v[94:95], 0x80000000, v[32:33]
	v_fmac_f64_e32 v[92:93], 0, v[26:27]
	v_fmac_f64_e32 v[96:97], v[10:11], v[26:27]
	v_fmac_f64_e32 v[90:91], v[10:11], v[28:29]
	v_fmac_f64_e32 v[94:95], v[2:3], v[26:27]
	v_fmac_f64_e32 v[92:93], v[2:3], v[28:29]
	global_load_dwordx4 v[0:3], v[18:19], off offset:112
	global_load_dwordx4 v[4:7], v[18:19], off offset:96
	;; [unrolled: 1-line block ×4, first 2 shown]
	v_fmac_f64_e32 v[84:85], 0, v[38:39]
	v_fmac_f64_e32 v[86:87], 0, v[38:39]
	;; [unrolled: 1-line block ×4, first 2 shown]
	s_waitcnt vmcnt(2)
	v_fmac_f64_e32 v[82:83], v[4:5], v[38:39]
	v_fmac_f64_e32 v[84:85], v[4:5], v[40:41]
	;; [unrolled: 1-line block ×10, first 2 shown]
	global_load_dwordx2 v[0:1], v[22:23], off offset:-64
	s_waitcnt vmcnt(1)
	v_fmac_f64_e32 v[88:89], v[12:13], v[38:39]
	v_fmac_f64_e32 v[88:89], 0x80000000, v[40:41]
	;; [unrolled: 1-line block ×20, first 2 shown]
	s_waitcnt vmcnt(0)
	v_subrev_co_u32_e32 v26, vcc, s20, v0
	v_subb_co_u32_e32 v27, vcc, v1, v24, vcc
	v_lshlrev_b64 v[26:27], 6, v[26:27]
	v_add_co_u32_e32 v42, vcc, s4, v26
	v_addc_co_u32_e32 v43, vcc, v25, v27, vcc
	global_load_dwordx4 v[0:3], v[18:19], off offset:1072
	global_load_dwordx4 v[4:7], v[18:19], off offset:1056
	;; [unrolled: 1-line block ×7, first 2 shown]
	global_load_dwordx4 v[38:41], v[42:43], off
	s_waitcnt vmcnt(0)
	v_fmac_f64_e32 v[90:91], 0, v[38:39]
	v_fmac_f64_e32 v[92:93], 0, v[38:39]
	;; [unrolled: 1-line block ×30, first 2 shown]
	global_load_dwordx4 v[0:3], v[18:19], off offset:1136
	global_load_dwordx4 v[4:7], v[18:19], off offset:1120
	;; [unrolled: 1-line block ×4, first 2 shown]
	v_fmac_f64_e32 v[84:85], 0, v[38:39]
	v_fmac_f64_e32 v[86:87], 0, v[38:39]
	;; [unrolled: 1-line block ×4, first 2 shown]
	s_waitcnt vmcnt(2)
	v_fmac_f64_e32 v[82:83], v[4:5], v[38:39]
	v_fmac_f64_e32 v[84:85], v[4:5], v[40:41]
	;; [unrolled: 1-line block ×10, first 2 shown]
	global_load_dwordx2 v[0:1], v[22:23], off
	s_waitcnt vmcnt(1)
	v_fmac_f64_e32 v[88:89], v[12:13], v[38:39]
	v_fmac_f64_e32 v[88:89], 0x80000000, v[40:41]
	;; [unrolled: 1-line block ×20, first 2 shown]
	s_waitcnt vmcnt(0)
	v_subrev_co_u32_e32 v26, vcc, s20, v0
	v_subb_co_u32_e32 v27, vcc, v1, v24, vcc
	v_lshlrev_b64 v[26:27], 6, v[26:27]
	v_add_co_u32_e32 v42, vcc, s4, v26
	v_addc_co_u32_e32 v43, vcc, v25, v27, vcc
	global_load_dwordx4 v[0:3], v[18:19], off offset:2096
	global_load_dwordx4 v[4:7], v[18:19], off offset:2080
	;; [unrolled: 1-line block ×7, first 2 shown]
	global_load_dwordx4 v[38:41], v[42:43], off
	s_waitcnt vmcnt(0)
	v_fmac_f64_e32 v[90:91], 0, v[38:39]
	v_fmac_f64_e32 v[92:93], 0, v[38:39]
	;; [unrolled: 1-line block ×30, first 2 shown]
	global_load_dwordx4 v[0:3], v[18:19], off offset:2160
	global_load_dwordx4 v[4:7], v[18:19], off offset:2144
	;; [unrolled: 1-line block ×4, first 2 shown]
	v_fmac_f64_e32 v[84:85], 0, v[38:39]
	v_fmac_f64_e32 v[86:87], 0, v[38:39]
	;; [unrolled: 1-line block ×4, first 2 shown]
	s_waitcnt vmcnt(2)
	v_fmac_f64_e32 v[82:83], v[4:5], v[38:39]
	v_fmac_f64_e32 v[84:85], v[4:5], v[40:41]
	;; [unrolled: 1-line block ×10, first 2 shown]
	global_load_dwordx2 v[0:1], v[22:23], off offset:64
	s_waitcnt vmcnt(1)
	v_fmac_f64_e32 v[88:89], v[12:13], v[38:39]
	v_fmac_f64_e32 v[88:89], 0x80000000, v[40:41]
	;; [unrolled: 1-line block ×20, first 2 shown]
	global_load_dwordx4 v[26:29], v[18:19], off offset:3120
	global_load_dwordx4 v[30:33], v[18:19], off offset:3104
	;; [unrolled: 1-line block ×4, first 2 shown]
	s_waitcnt vmcnt(4)
	v_subrev_co_u32_e32 v0, vcc, s20, v0
	v_subb_co_u32_e32 v1, vcc, v1, v24, vcc
	v_lshlrev_b64 v[0:1], 6, v[0:1]
	v_add_co_u32_e32 v42, vcc, s4, v0
	v_addc_co_u32_e32 v43, vcc, v25, v1, vcc
	global_load_dwordx4 v[0:3], v[42:43], off offset:48
	global_load_dwordx4 v[4:7], v[42:43], off offset:32
	;; [unrolled: 1-line block ×3, first 2 shown]
	global_load_dwordx4 v[12:15], v[42:43], off
	s_waitcnt vmcnt(0)
	v_fmac_f64_e32 v[90:91], 0, v[12:13]
	v_fmac_f64_e32 v[92:93], 0, v[12:13]
	;; [unrolled: 1-line block ×30, first 2 shown]
	global_load_dwordx4 v[26:29], v[18:19], off offset:3184
	global_load_dwordx4 v[30:33], v[18:19], off offset:3168
	;; [unrolled: 1-line block ×4, first 2 shown]
	v_fmac_f64_e32 v[86:87], 0, v[12:13]
	v_fmac_f64_e32 v[84:85], 0, v[12:13]
	v_add_co_u32_e32 v18, vcc, s16, v18
	v_addc_co_u32_e32 v19, vcc, 0, v19, vcc
	v_add_co_u32_e32 v20, vcc, 32, v20
	v_addc_co_u32_e32 v21, vcc, 0, v21, vcc
	;; [unrolled: 2-line block ×3, first 2 shown]
	v_cmp_ge_i64_e32 vcc, v[20:21], v[78:79]
	v_fmac_f64_e32 v[96:97], 0x80000000, v[2:3]
	v_fmac_f64_e32 v[94:95], 0x80000000, v[2:3]
	s_or_b64 s[14:15], vcc, s[14:15]
	s_waitcnt vmcnt(2)
	v_fmac_f64_e32 v[82:83], v[30:31], v[12:13]
	v_fmac_f64_e32 v[82:83], 0x80000000, v[14:15]
	s_waitcnt vmcnt(0)
	v_fmac_f64_e32 v[88:89], v[38:39], v[12:13]
	v_fmac_f64_e32 v[88:89], 0x80000000, v[14:15]
	;; [unrolled: 1-line block ×28, first 2 shown]
	s_andn2_b64 exec, exec, s[14:15]
	s_cbranch_execnz .LBB146_25
; %bb.26:
	s_or_b64 exec, exec, s[14:15]
.LBB146_27:
	s_or_b64 exec, exec, s[2:3]
.LBB146_28:
	s_or_b64 exec, exec, s[10:11]
	s_andn2_b64 vcc, exec, s[8:9]
	s_cbranch_vccz .LBB146_30
	s_branch .LBB146_41
.LBB146_29:
                                        ; implicit-def: $vgpr90_vgpr91
                                        ; implicit-def: $vgpr96_vgpr97
                                        ; implicit-def: $vgpr92_vgpr93
                                        ; implicit-def: $vgpr94_vgpr95
                                        ; implicit-def: $vgpr86_vgpr87
                                        ; implicit-def: $vgpr88_vgpr89
                                        ; implicit-def: $vgpr84_vgpr85
                                        ; implicit-def: $vgpr82_vgpr83
.LBB146_30:
	v_pk_mov_b32 v[90:91], 0, 0
	v_pk_mov_b32 v[96:97], v[90:91], v[90:91] op_sel:[0,1]
	v_pk_mov_b32 v[92:93], v[90:91], v[90:91] op_sel:[0,1]
	;; [unrolled: 1-line block ×7, first 2 shown]
	s_and_saveexec_b64 s[8:9], s[0:1]
	s_cbranch_execz .LBB146_40
; %bb.31:
	v_or_b32_e32 v0, 8, v74
	v_mov_b32_e32 v1, s17
	v_subrev_co_u32_e32 v0, vcc, s20, v0
	v_subb_co_u32_e32 v1, vcc, 0, v1, vcc
	v_add_co_u32_e32 v0, vcc, v0, v16
	v_addc_co_u32_e32 v1, vcc, v1, v17, vcc
	v_cmp_gt_i64_e32 vcc, v[0:1], v[78:79]
	v_cndmask_b32_e32 v1, v79, v1, vcc
	v_cndmask_b32_e32 v0, v78, v0, vcc
	v_mov_b32_e32 v4, s17
	v_sub_co_u32_e32 v5, vcc, s20, v74
	v_not_b32_e32 v3, v16
	v_subbrev_co_u32_e32 v4, vcc, 0, v4, vcc
	v_not_b32_e32 v2, v17
	v_add_co_u32_e32 v3, vcc, v5, v3
	v_addc_co_u32_e32 v2, vcc, v4, v2, vcc
	v_add_co_u32_e32 v16, vcc, v3, v0
	v_lshrrev_b32_e32 v0, 3, v16
	v_add_u32_e32 v0, 1, v0
	v_addc_co_u32_e32 v17, vcc, v2, v1, vcc
	v_and_b32_e32 v0, 3, v0
	v_pk_mov_b32 v[82:83], 0, 0
	v_cmp_ne_u32_e32 vcc, 0, v0
	s_mov_b64 s[10:11], 0
	v_pk_mov_b32 v[84:85], v[82:83], v[82:83] op_sel:[0,1]
	v_pk_mov_b32 v[88:89], v[82:83], v[82:83] op_sel:[0,1]
	;; [unrolled: 1-line block ×7, first 2 shown]
	s_and_saveexec_b64 s[2:3], vcc
	s_cbranch_execz .LBB146_35
; %bb.32:
	v_lshlrev_b64 v[2:3], 3, v[76:77]
	v_mov_b32_e32 v1, s13
	v_add_co_u32_e32 v20, vcc, s12, v2
	v_pk_mov_b32 v[90:91], 0, 0
	v_mov_b32_e32 v19, 0
	v_addc_co_u32_e32 v21, vcc, v1, v3, vcc
	v_lshlrev_b32_e32 v18, 3, v0
	s_movk_i32 s14, 0x400
	v_mov_b32_e32 v22, s17
	v_mov_b32_e32 v23, s5
	v_pk_mov_b32 v[96:97], v[90:91], v[90:91] op_sel:[0,1]
	v_pk_mov_b32 v[92:93], v[90:91], v[90:91] op_sel:[0,1]
	;; [unrolled: 1-line block ×7, first 2 shown]
.LBB146_33:                             ; =>This Inner Loop Header: Depth=1
	global_load_dwordx2 v[40:41], v[20:21], off
	global_load_dwordx4 v[0:3], v[80:81], off offset:48
	global_load_dwordx4 v[4:7], v[80:81], off offset:32
	;; [unrolled: 1-line block ×3, first 2 shown]
	global_load_dwordx4 v[12:15], v[80:81], off
	global_load_dwordx4 v[24:27], v[80:81], off offset:112
	global_load_dwordx4 v[28:31], v[80:81], off offset:96
	;; [unrolled: 1-line block ×4, first 2 shown]
	v_add_co_u32_e64 v76, s[0:1], 8, v76
	v_addc_co_u32_e64 v77, s[0:1], 0, v77, s[0:1]
	v_add_co_u32_e64 v20, s[0:1], 64, v20
	v_addc_co_u32_e64 v21, s[0:1], 0, v21, s[0:1]
	v_add_co_u32_e64 v18, s[0:1], -8, v18
	v_addc_co_u32_e64 v19, s[0:1], -1, v19, s[0:1]
	s_waitcnt vmcnt(8)
	v_subrev_co_u32_e32 v40, vcc, s20, v40
	v_subb_co_u32_e32 v41, vcc, v41, v22, vcc
	v_lshlrev_b64 v[40:41], 6, v[40:41]
	v_add_co_u32_e32 v56, vcc, s4, v40
	v_addc_co_u32_e32 v57, vcc, v23, v41, vcc
	global_load_dwordx4 v[40:43], v[56:57], off
	global_load_dwordx4 v[44:47], v[56:57], off offset:16
	global_load_dwordx4 v[48:51], v[56:57], off offset:32
	;; [unrolled: 1-line block ×3, first 2 shown]
	v_add_co_u32_e32 v80, vcc, s14, v80
	v_addc_co_u32_e32 v81, vcc, 0, v81, vcc
	v_cmp_eq_u64_e32 vcc, 0, v[18:19]
	s_or_b64 s[10:11], vcc, s[10:11]
	s_waitcnt vmcnt(3)
	v_fmac_f64_e32 v[96:97], v[12:13], v[40:41]
	v_fmac_f64_e32 v[90:91], 0, v[40:41]
	v_fmac_f64_e32 v[94:95], v[14:15], v[40:41]
	v_fmac_f64_e32 v[92:93], 0, v[40:41]
	v_fmac_f64_e32 v[88:89], v[8:9], v[40:41]
	v_fmac_f64_e32 v[86:87], 0, v[40:41]
	v_fmac_f64_e32 v[82:83], v[10:11], v[40:41]
	v_fmac_f64_e32 v[84:85], 0, v[40:41]
	v_fmac_f64_e32 v[96:97], 0x80000000, v[42:43]
	v_fmac_f64_e32 v[90:91], v[12:13], v[42:43]
	v_fmac_f64_e32 v[94:95], 0x80000000, v[42:43]
	v_fmac_f64_e32 v[92:93], v[14:15], v[42:43]
	v_fmac_f64_e32 v[88:89], 0x80000000, v[42:43]
	v_fmac_f64_e32 v[86:87], v[8:9], v[42:43]
	v_fmac_f64_e32 v[82:83], 0x80000000, v[42:43]
	v_fmac_f64_e32 v[84:85], v[10:11], v[42:43]
	s_waitcnt vmcnt(2)
	v_fmac_f64_e32 v[96:97], v[4:5], v[44:45]
	v_fmac_f64_e32 v[90:91], 0, v[44:45]
	v_fmac_f64_e32 v[94:95], v[6:7], v[44:45]
	v_fmac_f64_e32 v[92:93], 0, v[44:45]
	v_fmac_f64_e32 v[88:89], v[0:1], v[44:45]
	v_fmac_f64_e32 v[86:87], 0, v[44:45]
	v_fmac_f64_e32 v[82:83], v[2:3], v[44:45]
	v_fmac_f64_e32 v[84:85], 0, v[44:45]
	v_fmac_f64_e32 v[96:97], 0x80000000, v[46:47]
	v_fmac_f64_e32 v[90:91], v[4:5], v[46:47]
	v_fmac_f64_e32 v[94:95], 0x80000000, v[46:47]
	v_fmac_f64_e32 v[92:93], v[6:7], v[46:47]
	v_fmac_f64_e32 v[88:89], 0x80000000, v[46:47]
	v_fmac_f64_e32 v[86:87], v[0:1], v[46:47]
	v_fmac_f64_e32 v[82:83], 0x80000000, v[46:47]
	v_fmac_f64_e32 v[84:85], v[2:3], v[46:47]
	;; [unrolled: 17-line block ×4, first 2 shown]
	s_andn2_b64 exec, exec, s[10:11]
	s_cbranch_execnz .LBB146_33
; %bb.34:
	s_or_b64 exec, exec, s[10:11]
.LBB146_35:
	s_or_b64 exec, exec, s[2:3]
	v_cmp_lt_u64_e32 vcc, 23, v[16:17]
	s_and_saveexec_b64 s[10:11], vcc
	s_cbranch_execz .LBB146_39
; %bb.36:
	v_lshlrev_b64 v[0:1], 3, v[76:77]
	v_mov_b32_e32 v2, s13
	v_add_co_u32_e32 v0, vcc, s12, v0
	v_addc_co_u32_e32 v1, vcc, v1, v2, vcc
	v_add_co_u32_e32 v98, vcc, 0x80, v0
	v_addc_co_u32_e32 v99, vcc, 0, v1, vcc
	s_mov_b64 s[12:13], 0
	v_mov_b32_e32 v75, s17
	v_mov_b32_e32 v104, s5
	s_movk_i32 s5, 0x1000
.LBB146_37:                             ; =>This Inner Loop Header: Depth=1
	global_load_dwordx2 v[48:49], v[98:99], off offset:-128
	global_load_dwordx4 v[4:7], v[80:81], off offset:48
	global_load_dwordx4 v[8:11], v[80:81], off offset:32
	;; [unrolled: 1-line block ×3, first 2 shown]
	global_load_dwordx4 v[52:55], v[80:81], off
	global_load_dwordx4 v[16:19], v[80:81], off offset:112
	global_load_dwordx4 v[24:27], v[80:81], off offset:96
	;; [unrolled: 1-line block ×9, first 2 shown]
	s_waitcnt vmcnt(13)
	v_subrev_co_u32_e32 v48, vcc, s20, v48
	v_subb_co_u32_e32 v49, vcc, v49, v75, vcc
	v_lshlrev_b64 v[48:49], 6, v[48:49]
	v_add_co_u32_e32 v56, vcc, s4, v48
	v_addc_co_u32_e32 v57, vcc, v104, v49, vcc
	global_load_dwordx4 v[48:51], v[56:57], off
	s_waitcnt vmcnt(0)
	v_fmac_f64_e32 v[90:91], 0, v[48:49]
	v_fmac_f64_e32 v[86:87], 0, v[48:49]
	;; [unrolled: 1-line block ×5, first 2 shown]
	global_load_dwordx2 v[52:53], v[98:99], off offset:-64
	global_load_dwordx2 v[102:103], v[98:99], off
	v_fmac_f64_e32 v[88:89], v[12:13], v[48:49]
	v_fmac_f64_e32 v[82:83], v[14:15], v[48:49]
	;; [unrolled: 1-line block ×4, first 2 shown]
	global_load_dwordx4 v[12:15], v[56:57], off offset:16
	v_fmac_f64_e32 v[88:89], 0x80000000, v[50:51]
	v_fmac_f64_e32 v[82:83], 0x80000000, v[50:51]
	v_fmac_f64_e32 v[94:95], v[54:55], v[48:49]
	v_fmac_f64_e32 v[92:93], 0, v[48:49]
	v_fmac_f64_e32 v[92:93], v[54:55], v[50:51]
	v_fmac_f64_e32 v[96:97], 0x80000000, v[50:51]
	v_fmac_f64_e32 v[94:95], 0x80000000, v[50:51]
	global_load_dwordx4 v[106:109], v[80:81], off offset:1104
	global_load_dwordx4 v[60:63], v[80:81], off offset:1120
	;; [unrolled: 1-line block ×3, first 2 shown]
	global_load_dwordx2 v[100:101], v[98:99], off offset:64
	s_waitcnt vmcnt(4)
	v_fmac_f64_e32 v[86:87], 0, v[12:13]
	v_fmac_f64_e32 v[84:85], 0, v[12:13]
	;; [unrolled: 1-line block ×6, first 2 shown]
	global_load_dwordx4 v[4:7], v[56:57], off offset:32
	v_fmac_f64_e32 v[96:97], v[8:9], v[12:13]
	v_fmac_f64_e32 v[90:91], 0, v[12:13]
	;; [unrolled: 1-line block ×10, first 2 shown]
	global_load_dwordx4 v[8:11], v[80:81], off offset:1088
	s_waitcnt vmcnt(1)
	v_fmac_f64_e32 v[96:97], v[40:41], v[4:5]
	v_fmac_f64_e32 v[90:91], 0, v[4:5]
	;; [unrolled: 1-line block ×8, first 2 shown]
	v_subrev_co_u32_e32 v4, vcc, s20, v52
	v_subb_co_u32_e32 v5, vcc, v53, v75, vcc
	v_lshlrev_b64 v[4:5], 6, v[4:5]
	v_add_co_u32_e32 v110, vcc, s4, v4
	v_fmac_f64_e32 v[90:91], v[40:41], v[6:7]
	v_fmac_f64_e32 v[92:93], v[42:43], v[6:7]
	;; [unrolled: 1-line block ×8, first 2 shown]
	v_addc_co_u32_e32 v111, vcc, v104, v5, vcc
	global_load_dwordx4 v[4:7], v[56:57], off offset:48
	global_load_dwordx4 v[12:15], v[110:111], off
	global_load_dwordx4 v[32:35], v[80:81], off offset:2080
	global_load_dwordx4 v[52:55], v[80:81], off offset:2064
	;; [unrolled: 1-line block ×3, first 2 shown]
	s_waitcnt vmcnt(4)
	v_fmac_f64_e32 v[96:97], v[24:25], v[4:5]
	v_fmac_f64_e32 v[90:91], 0, v[4:5]
	;; [unrolled: 1-line block ×16, first 2 shown]
	s_waitcnt vmcnt(3)
	v_fmac_f64_e32 v[96:97], v[44:45], v[12:13]
	v_fmac_f64_e32 v[90:91], 0, v[12:13]
	;; [unrolled: 1-line block ×16, first 2 shown]
	global_load_dwordx4 v[12:15], v[110:111], off offset:16
	global_load_dwordx4 v[56:59], v[80:81], off offset:2048
	;; [unrolled: 1-line block ×5, first 2 shown]
	s_waitcnt vmcnt(4)
	v_fmac_f64_e32 v[96:97], v[28:29], v[12:13]
	v_fmac_f64_e32 v[90:91], 0, v[12:13]
	;; [unrolled: 1-line block ×16, first 2 shown]
	global_load_dwordx4 v[14:17], v[110:111], off offset:32
	global_load_dwordx4 v[20:23], v[110:111], off offset:48
	;; [unrolled: 1-line block ×3, first 2 shown]
	s_waitcnt vmcnt(2)
	v_fmac_f64_e32 v[96:97], v[8:9], v[14:15]
	v_fmac_f64_e32 v[90:91], 0, v[14:15]
	;; [unrolled: 1-line block ×16, first 2 shown]
	s_waitcnt vmcnt(1)
	v_fmac_f64_e32 v[96:97], v[60:61], v[20:21]
	v_fmac_f64_e32 v[90:91], 0, v[20:21]
	;; [unrolled: 1-line block ×8, first 2 shown]
	v_subrev_co_u32_e32 v20, vcc, s20, v102
	v_subb_co_u32_e32 v21, vcc, v103, v75, vcc
	v_lshlrev_b64 v[20:21], 6, v[20:21]
	v_fmac_f64_e32 v[90:91], v[60:61], v[22:23]
	v_add_co_u32_e32 v60, vcc, s4, v20
	v_addc_co_u32_e32 v61, vcc, v104, v21, vcc
	global_load_dwordx4 v[36:39], v[60:61], off
	v_fmac_f64_e32 v[86:87], v[0:1], v[22:23]
	v_fmac_f64_e32 v[84:85], v[2:3], v[22:23]
	v_fmac_f64_e32 v[88:89], 0x80000000, v[22:23]
	v_fmac_f64_e32 v[82:83], 0x80000000, v[22:23]
	v_fmac_f64_e32 v[92:93], v[62:63], v[22:23]
	v_fmac_f64_e32 v[96:97], 0x80000000, v[22:23]
	v_fmac_f64_e32 v[94:95], 0x80000000, v[22:23]
	global_load_dwordx4 v[8:11], v[80:81], off offset:3120
	global_load_dwordx4 v[12:15], v[80:81], off offset:3104
	;; [unrolled: 1-line block ×5, first 2 shown]
	s_waitcnt vmcnt(5)
	v_fmac_f64_e32 v[86:87], 0, v[36:37]
	v_fmac_f64_e32 v[84:85], 0, v[36:37]
	v_fmac_f64_e32 v[88:89], v[52:53], v[36:37]
	v_fmac_f64_e32 v[82:83], v[54:55], v[36:37]
	v_fmac_f64_e32 v[86:87], v[52:53], v[38:39]
	v_fmac_f64_e32 v[84:85], v[54:55], v[38:39]
	global_load_dwordx4 v[52:55], v[60:61], off offset:16
	v_fmac_f64_e32 v[96:97], v[56:57], v[36:37]
	v_fmac_f64_e32 v[90:91], 0, v[36:37]
	v_fmac_f64_e32 v[94:95], v[58:59], v[36:37]
	v_fmac_f64_e32 v[92:93], 0, v[36:37]
	v_fmac_f64_e32 v[90:91], v[56:57], v[38:39]
	v_fmac_f64_e32 v[92:93], v[58:59], v[38:39]
	v_fmac_f64_e32 v[96:97], 0x80000000, v[38:39]
	v_fmac_f64_e32 v[94:95], 0x80000000, v[38:39]
	v_fmac_f64_e32 v[88:89], 0x80000000, v[38:39]
	v_fmac_f64_e32 v[82:83], 0x80000000, v[38:39]
	global_load_dwordx4 v[36:39], v[80:81], off offset:3136
	s_waitcnt vmcnt(1)
	v_fmac_f64_e32 v[96:97], v[32:33], v[52:53]
	v_fmac_f64_e32 v[90:91], 0, v[52:53]
	;; [unrolled: 1-line block ×10, first 2 shown]
	global_load_dwordx4 v[32:35], v[80:81], off offset:3152
	v_fmac_f64_e32 v[86:87], v[48:49], v[54:55]
	v_fmac_f64_e32 v[84:85], v[50:51], v[54:55]
	;; [unrolled: 1-line block ×6, first 2 shown]
	global_load_dwordx4 v[56:59], v[60:61], off offset:32
	global_load_dwordx4 v[52:55], v[60:61], off offset:48
	v_subrev_co_u32_e64 v48, s[2:3], s20, v100
	v_subb_co_u32_e64 v49, s[2:3], v101, v75, s[2:3]
	v_lshlrev_b64 v[48:49], 6, v[48:49]
	v_add_co_u32_e64 v62, s[2:3], s4, v48
	v_addc_co_u32_e64 v63, s[2:3], v104, v49, s[2:3]
	global_load_dwordx4 v[48:51], v[62:63], off
	v_add_co_u32_e32 v80, vcc, s5, v80
	s_mov_b64 s[0:1], vcc
	v_add_co_u32_e32 v76, vcc, 32, v76
	v_addc_co_u32_e32 v77, vcc, 0, v77, vcc
	v_addc_co_u32_e64 v81, s[0:1], 0, v81, s[0:1]
	v_add_co_u32_e32 v98, vcc, 0x100, v98
	v_cmp_ge_i64_e64 s[0:1], v[76:77], v[78:79]
	v_addc_co_u32_e32 v99, vcc, 0, v99, vcc
	s_or_b64 s[12:13], s[0:1], s[12:13]
	s_waitcnt vmcnt(2)
	v_fmac_f64_e32 v[90:91], 0, v[56:57]
	v_fmac_f64_e32 v[92:93], 0, v[56:57]
	;; [unrolled: 1-line block ×6, first 2 shown]
	global_load_dwordx4 v[44:47], v[62:63], off offset:16
	v_fmac_f64_e32 v[86:87], 0, v[56:57]
	v_fmac_f64_e32 v[84:85], 0, v[56:57]
	;; [unrolled: 1-line block ×6, first 2 shown]
	global_load_dwordx4 v[40:43], v[62:63], off offset:32
	v_fmac_f64_e32 v[96:97], 0x80000000, v[58:59]
	v_fmac_f64_e32 v[94:95], 0x80000000, v[58:59]
	s_waitcnt vmcnt(3)
	v_fmac_f64_e32 v[90:91], 0, v[52:53]
	v_fmac_f64_e32 v[92:93], 0, v[52:53]
	;; [unrolled: 1-line block ×6, first 2 shown]
	global_load_dwordx4 v[24:27], v[62:63], off offset:48
	v_fmac_f64_e32 v[88:89], 0x80000000, v[58:59]
	v_fmac_f64_e32 v[82:83], 0x80000000, v[58:59]
	v_fmac_f64_e32 v[88:89], v[4:5], v[52:53]
	v_fmac_f64_e32 v[86:87], 0, v[52:53]
	v_fmac_f64_e32 v[82:83], v[6:7], v[52:53]
	v_fmac_f64_e32 v[84:85], 0, v[52:53]
	v_fmac_f64_e32 v[96:97], 0x80000000, v[54:55]
	v_fmac_f64_e32 v[94:95], 0x80000000, v[54:55]
	v_fmac_f64_e32 v[88:89], 0x80000000, v[54:55]
	v_fmac_f64_e32 v[86:87], v[4:5], v[54:55]
	v_fmac_f64_e32 v[82:83], 0x80000000, v[54:55]
	v_fmac_f64_e32 v[84:85], v[6:7], v[54:55]
	s_waitcnt vmcnt(3)
	v_fmac_f64_e32 v[96:97], v[0:1], v[48:49]
	v_fmac_f64_e32 v[90:91], 0, v[48:49]
	v_fmac_f64_e32 v[94:95], v[2:3], v[48:49]
	v_fmac_f64_e32 v[92:93], 0, v[48:49]
	v_fmac_f64_e32 v[88:89], v[16:17], v[48:49]
	v_fmac_f64_e32 v[86:87], 0, v[48:49]
	v_fmac_f64_e32 v[82:83], v[18:19], v[48:49]
	v_fmac_f64_e32 v[84:85], 0, v[48:49]
	v_fmac_f64_e32 v[96:97], 0x80000000, v[50:51]
	v_fmac_f64_e32 v[90:91], v[0:1], v[50:51]
	v_fmac_f64_e32 v[94:95], 0x80000000, v[50:51]
	v_fmac_f64_e32 v[92:93], v[2:3], v[50:51]
	v_fmac_f64_e32 v[88:89], 0x80000000, v[50:51]
	v_fmac_f64_e32 v[86:87], v[16:17], v[50:51]
	v_fmac_f64_e32 v[82:83], 0x80000000, v[50:51]
	v_fmac_f64_e32 v[84:85], v[18:19], v[50:51]
	s_waitcnt vmcnt(2)
	v_fmac_f64_e32 v[96:97], v[12:13], v[44:45]
	v_fmac_f64_e32 v[90:91], 0, v[44:45]
	v_fmac_f64_e32 v[94:95], v[14:15], v[44:45]
	v_fmac_f64_e32 v[92:93], 0, v[44:45]
	v_fmac_f64_e32 v[88:89], v[8:9], v[44:45]
	v_fmac_f64_e32 v[86:87], 0, v[44:45]
	v_fmac_f64_e32 v[82:83], v[10:11], v[44:45]
	v_fmac_f64_e32 v[84:85], 0, v[44:45]
	v_fmac_f64_e32 v[96:97], 0x80000000, v[46:47]
	v_fmac_f64_e32 v[90:91], v[12:13], v[46:47]
	v_fmac_f64_e32 v[94:95], 0x80000000, v[46:47]
	v_fmac_f64_e32 v[92:93], v[14:15], v[46:47]
	v_fmac_f64_e32 v[88:89], 0x80000000, v[46:47]
	v_fmac_f64_e32 v[86:87], v[8:9], v[46:47]
	v_fmac_f64_e32 v[82:83], 0x80000000, v[46:47]
	v_fmac_f64_e32 v[84:85], v[10:11], v[46:47]
	s_waitcnt vmcnt(1)
	v_fmac_f64_e32 v[96:97], v[36:37], v[40:41]
	v_fmac_f64_e32 v[90:91], 0, v[40:41]
	v_fmac_f64_e32 v[94:95], v[38:39], v[40:41]
	v_fmac_f64_e32 v[92:93], 0, v[40:41]
	v_fmac_f64_e32 v[88:89], v[32:33], v[40:41]
	v_fmac_f64_e32 v[86:87], 0, v[40:41]
	v_fmac_f64_e32 v[82:83], v[34:35], v[40:41]
	v_fmac_f64_e32 v[84:85], 0, v[40:41]
	v_fmac_f64_e32 v[96:97], 0x80000000, v[42:43]
	v_fmac_f64_e32 v[90:91], v[36:37], v[42:43]
	v_fmac_f64_e32 v[94:95], 0x80000000, v[42:43]
	v_fmac_f64_e32 v[92:93], v[38:39], v[42:43]
	v_fmac_f64_e32 v[88:89], 0x80000000, v[42:43]
	v_fmac_f64_e32 v[86:87], v[32:33], v[42:43]
	v_fmac_f64_e32 v[82:83], 0x80000000, v[42:43]
	v_fmac_f64_e32 v[84:85], v[34:35], v[42:43]
	s_waitcnt vmcnt(0)
	v_fmac_f64_e32 v[96:97], v[28:29], v[24:25]
	v_fmac_f64_e32 v[90:91], 0, v[24:25]
	v_fmac_f64_e32 v[94:95], v[30:31], v[24:25]
	v_fmac_f64_e32 v[92:93], 0, v[24:25]
	v_fmac_f64_e32 v[88:89], v[20:21], v[24:25]
	v_fmac_f64_e32 v[86:87], 0, v[24:25]
	;; [unrolled: 1-line block ×12, first 2 shown]
	s_andn2_b64 exec, exec, s[12:13]
	s_cbranch_execnz .LBB146_37
; %bb.38:
	s_or_b64 exec, exec, s[12:13]
.LBB146_39:
	s_or_b64 exec, exec, s[10:11]
.LBB146_40:
	s_or_b64 exec, exec, s[8:9]
.LBB146_41:
	v_mov_b32_dpp v0, v96 row_shr:1 row_mask:0xf bank_mask:0xf
	v_mov_b32_dpp v1, v97 row_shr:1 row_mask:0xf bank_mask:0xf
	;; [unrolled: 1-line block ×16, first 2 shown]
	v_add_f64 v[0:1], v[96:97], v[0:1]
	v_add_f64 v[4:5], v[90:91], v[4:5]
	;; [unrolled: 1-line block ×8, first 2 shown]
	v_mov_b32_dpp v2, v0 row_shr:2 row_mask:0xf bank_mask:0xf
	v_mov_b32_dpp v3, v1 row_shr:2 row_mask:0xf bank_mask:0xf
	;; [unrolled: 1-line block ×16, first 2 shown]
	v_add_f64 v[0:1], v[0:1], v[2:3]
	v_add_f64 v[4:5], v[4:5], v[6:7]
	;; [unrolled: 1-line block ×8, first 2 shown]
	v_mov_b32_dpp v2, v0 row_shr:4 row_mask:0xf bank_mask:0xe
	v_mov_b32_dpp v3, v1 row_shr:4 row_mask:0xf bank_mask:0xe
	;; [unrolled: 1-line block ×16, first 2 shown]
	v_cmp_eq_u32_e32 vcc, 7, v74
	s_and_b64 exec, exec, vcc
	s_cbranch_execz .LBB146_12
; %bb.42:
	s_load_dwordx2 s[2:3], s[6:7], 0x68
	v_add_f64 v[32:33], v[0:1], v[2:3]
	v_add_f64 v[0:1], v[4:5], v[6:7]
	;; [unrolled: 1-line block ×8, first 2 shown]
	v_cmp_eq_f64_e32 vcc, 0, v[64:65]
	v_cmp_eq_f64_e64 s[0:1], 0, v[66:67]
	v_mul_f64 v[12:13], v[0:1], -v[70:71]
	v_mul_f64 v[14:15], v[68:69], v[0:1]
	v_mul_f64 v[8:9], v[2:3], -v[70:71]
	v_mul_f64 v[10:11], v[68:69], v[2:3]
	;; [unrolled: 2-line block ×4, first 2 shown]
	s_and_b64 s[0:1], vcc, s[0:1]
	v_fmac_f64_e32 v[12:13], v[68:69], v[32:33]
	v_fmac_f64_e32 v[14:15], v[70:71], v[32:33]
	v_lshlrev_b64 v[16:17], 6, v[72:73]
	v_fmac_f64_e32 v[8:9], v[68:69], v[34:35]
	v_fmac_f64_e32 v[10:11], v[70:71], v[34:35]
	;; [unrolled: 1-line block ×6, first 2 shown]
	s_and_saveexec_b64 s[4:5], s[0:1]
	s_xor_b64 s[0:1], exec, s[4:5]
	s_cbranch_execz .LBB146_44
; %bb.43:
	s_waitcnt lgkmcnt(0)
	v_mov_b32_e32 v18, s3
	v_add_co_u32_e32 v16, vcc, s2, v16
	v_addc_co_u32_e32 v17, vcc, v18, v17, vcc
	global_store_dwordx4 v[16:17], v[12:15], off
	global_store_dwordx4 v[16:17], v[8:11], off offset:16
	global_store_dwordx4 v[16:17], v[4:7], off offset:32
	;; [unrolled: 1-line block ×3, first 2 shown]
                                        ; implicit-def: $vgpr64_vgpr65
                                        ; implicit-def: $vgpr66_vgpr67
                                        ; implicit-def: $vgpr12_vgpr13
                                        ; implicit-def: $vgpr16_vgpr17
                                        ; implicit-def: $vgpr8_vgpr9
                                        ; implicit-def: $vgpr4_vgpr5
                                        ; implicit-def: $vgpr0_vgpr1
.LBB146_44:
	s_andn2_saveexec_b64 s[0:1], s[0:1]
	s_cbranch_execz .LBB146_12
; %bb.45:
	s_waitcnt lgkmcnt(0)
	v_mov_b32_e32 v18, s3
	v_add_co_u32_e32 v32, vcc, s2, v16
	v_addc_co_u32_e32 v33, vcc, v18, v17, vcc
	global_load_dwordx4 v[16:19], v[32:33], off
	global_load_dwordx4 v[20:23], v[32:33], off offset:16
	global_load_dwordx4 v[24:27], v[32:33], off offset:32
	;; [unrolled: 1-line block ×3, first 2 shown]
	s_waitcnt vmcnt(3)
	v_fmac_f64_e32 v[12:13], v[64:65], v[16:17]
	v_fmac_f64_e32 v[14:15], v[66:67], v[16:17]
	s_waitcnt vmcnt(2)
	v_fmac_f64_e32 v[8:9], v[64:65], v[20:21]
	v_fmac_f64_e32 v[10:11], v[66:67], v[20:21]
	;; [unrolled: 3-line block ×4, first 2 shown]
	v_fma_f64 v[12:13], -v[66:67], v[18:19], v[12:13]
	v_fmac_f64_e32 v[14:15], v[64:65], v[18:19]
	v_fma_f64 v[8:9], -v[66:67], v[22:23], v[8:9]
	v_fmac_f64_e32 v[10:11], v[64:65], v[22:23]
	;; [unrolled: 2-line block ×4, first 2 shown]
	global_store_dwordx4 v[32:33], v[12:15], off
	global_store_dwordx4 v[32:33], v[8:11], off offset:16
	global_store_dwordx4 v[32:33], v[4:7], off offset:32
	;; [unrolled: 1-line block ×3, first 2 shown]
	s_endpgm
	.section	.rodata,"a",@progbits
	.p2align	6, 0x0
	.amdhsa_kernel _ZN9rocsparseL18bsrxmvn_4x4_kernelILj128ELj8E21rocsparse_complex_numIdElldS2_S2_EEvT3_20rocsparse_direction_NS_24const_host_device_scalarIT1_EES3_PKS3_PKT2_SC_S9_PKT4_PKT5_S7_PT6_21rocsparse_index_base_b
		.amdhsa_group_segment_fixed_size 2048
		.amdhsa_private_segment_fixed_size 0
		.amdhsa_kernarg_size 120
		.amdhsa_user_sgpr_count 8
		.amdhsa_user_sgpr_private_segment_buffer 1
		.amdhsa_user_sgpr_dispatch_ptr 1
		.amdhsa_user_sgpr_queue_ptr 0
		.amdhsa_user_sgpr_kernarg_segment_ptr 1
		.amdhsa_user_sgpr_dispatch_id 0
		.amdhsa_user_sgpr_flat_scratch_init 0
		.amdhsa_user_sgpr_kernarg_preload_length 0
		.amdhsa_user_sgpr_kernarg_preload_offset 0
		.amdhsa_user_sgpr_private_segment_size 0
		.amdhsa_uses_dynamic_stack 0
		.amdhsa_system_sgpr_private_segment_wavefront_offset 0
		.amdhsa_system_sgpr_workgroup_id_x 1
		.amdhsa_system_sgpr_workgroup_id_y 0
		.amdhsa_system_sgpr_workgroup_id_z 0
		.amdhsa_system_sgpr_workgroup_info 0
		.amdhsa_system_vgpr_workitem_id 2
		.amdhsa_next_free_vgpr 112
		.amdhsa_next_free_sgpr 22
		.amdhsa_accum_offset 112
		.amdhsa_reserve_vcc 1
		.amdhsa_reserve_flat_scratch 0
		.amdhsa_float_round_mode_32 0
		.amdhsa_float_round_mode_16_64 0
		.amdhsa_float_denorm_mode_32 3
		.amdhsa_float_denorm_mode_16_64 3
		.amdhsa_dx10_clamp 1
		.amdhsa_ieee_mode 1
		.amdhsa_fp16_overflow 0
		.amdhsa_tg_split 0
		.amdhsa_exception_fp_ieee_invalid_op 0
		.amdhsa_exception_fp_denorm_src 0
		.amdhsa_exception_fp_ieee_div_zero 0
		.amdhsa_exception_fp_ieee_overflow 0
		.amdhsa_exception_fp_ieee_underflow 0
		.amdhsa_exception_fp_ieee_inexact 0
		.amdhsa_exception_int_div_zero 0
	.end_amdhsa_kernel
	.section	.text._ZN9rocsparseL18bsrxmvn_4x4_kernelILj128ELj8E21rocsparse_complex_numIdElldS2_S2_EEvT3_20rocsparse_direction_NS_24const_host_device_scalarIT1_EES3_PKS3_PKT2_SC_S9_PKT4_PKT5_S7_PT6_21rocsparse_index_base_b,"axG",@progbits,_ZN9rocsparseL18bsrxmvn_4x4_kernelILj128ELj8E21rocsparse_complex_numIdElldS2_S2_EEvT3_20rocsparse_direction_NS_24const_host_device_scalarIT1_EES3_PKS3_PKT2_SC_S9_PKT4_PKT5_S7_PT6_21rocsparse_index_base_b,comdat
.Lfunc_end146:
	.size	_ZN9rocsparseL18bsrxmvn_4x4_kernelILj128ELj8E21rocsparse_complex_numIdElldS2_S2_EEvT3_20rocsparse_direction_NS_24const_host_device_scalarIT1_EES3_PKS3_PKT2_SC_S9_PKT4_PKT5_S7_PT6_21rocsparse_index_base_b, .Lfunc_end146-_ZN9rocsparseL18bsrxmvn_4x4_kernelILj128ELj8E21rocsparse_complex_numIdElldS2_S2_EEvT3_20rocsparse_direction_NS_24const_host_device_scalarIT1_EES3_PKS3_PKT2_SC_S9_PKT4_PKT5_S7_PT6_21rocsparse_index_base_b
                                        ; -- End function
	.section	.AMDGPU.csdata,"",@progbits
; Kernel info:
; codeLenInByte = 7464
; NumSgprs: 26
; NumVgprs: 112
; NumAgprs: 0
; TotalNumVgprs: 112
; ScratchSize: 0
; MemoryBound: 0
; FloatMode: 240
; IeeeMode: 1
; LDSByteSize: 2048 bytes/workgroup (compile time only)
; SGPRBlocks: 3
; VGPRBlocks: 13
; NumSGPRsForWavesPerEU: 26
; NumVGPRsForWavesPerEU: 112
; AccumOffset: 112
; Occupancy: 4
; WaveLimiterHint : 1
; COMPUTE_PGM_RSRC2:SCRATCH_EN: 0
; COMPUTE_PGM_RSRC2:USER_SGPR: 8
; COMPUTE_PGM_RSRC2:TRAP_HANDLER: 0
; COMPUTE_PGM_RSRC2:TGID_X_EN: 1
; COMPUTE_PGM_RSRC2:TGID_Y_EN: 0
; COMPUTE_PGM_RSRC2:TGID_Z_EN: 0
; COMPUTE_PGM_RSRC2:TIDIG_COMP_CNT: 2
; COMPUTE_PGM_RSRC3_GFX90A:ACCUM_OFFSET: 27
; COMPUTE_PGM_RSRC3_GFX90A:TG_SPLIT: 0
	.section	.text._ZN9rocsparseL18bsrxmvn_4x4_kernelILj128ELj16E21rocsparse_complex_numIdElldS2_S2_EEvT3_20rocsparse_direction_NS_24const_host_device_scalarIT1_EES3_PKS3_PKT2_SC_S9_PKT4_PKT5_S7_PT6_21rocsparse_index_base_b,"axG",@progbits,_ZN9rocsparseL18bsrxmvn_4x4_kernelILj128ELj16E21rocsparse_complex_numIdElldS2_S2_EEvT3_20rocsparse_direction_NS_24const_host_device_scalarIT1_EES3_PKS3_PKT2_SC_S9_PKT4_PKT5_S7_PT6_21rocsparse_index_base_b,comdat
	.globl	_ZN9rocsparseL18bsrxmvn_4x4_kernelILj128ELj16E21rocsparse_complex_numIdElldS2_S2_EEvT3_20rocsparse_direction_NS_24const_host_device_scalarIT1_EES3_PKS3_PKT2_SC_S9_PKT4_PKT5_S7_PT6_21rocsparse_index_base_b ; -- Begin function _ZN9rocsparseL18bsrxmvn_4x4_kernelILj128ELj16E21rocsparse_complex_numIdElldS2_S2_EEvT3_20rocsparse_direction_NS_24const_host_device_scalarIT1_EES3_PKS3_PKT2_SC_S9_PKT4_PKT5_S7_PT6_21rocsparse_index_base_b
	.p2align	8
	.type	_ZN9rocsparseL18bsrxmvn_4x4_kernelILj128ELj16E21rocsparse_complex_numIdElldS2_S2_EEvT3_20rocsparse_direction_NS_24const_host_device_scalarIT1_EES3_PKS3_PKT2_SC_S9_PKT4_PKT5_S7_PT6_21rocsparse_index_base_b,@function
_ZN9rocsparseL18bsrxmvn_4x4_kernelILj128ELj16E21rocsparse_complex_numIdElldS2_S2_EEvT3_20rocsparse_direction_NS_24const_host_device_scalarIT1_EES3_PKS3_PKT2_SC_S9_PKT4_PKT5_S7_PT6_21rocsparse_index_base_b: ; @_ZN9rocsparseL18bsrxmvn_4x4_kernelILj128ELj16E21rocsparse_complex_numIdElldS2_S2_EEvT3_20rocsparse_direction_NS_24const_host_device_scalarIT1_EES3_PKS3_PKT2_SC_S9_PKT4_PKT5_S7_PT6_21rocsparse_index_base_b
; %bb.0:
	s_load_dwordx2 s[20:21], s[6:7], 0x70
	s_load_dwordx4 s[16:19], s[6:7], 0x10
	s_load_dwordx2 s[10:11], s[4:5], 0x4
	s_load_dwordx4 s[12:15], s[6:7], 0x58
	s_mov_b64 s[2:3], src_shared_base
	v_bfe_u32 v3, v0, 10, 10
	s_waitcnt lgkmcnt(0)
	s_bitcmp1_b32 s21, 0
	s_cselect_b64 s[0:1], -1, 0
	s_and_b64 vcc, s[0:1], exec
	s_cselect_b32 s2, s3, s17
	s_lshr_b32 s4, s10, 16
	v_and_b32_e32 v2, 0x3ff, v0
	s_mul_i32 s4, s4, s11
	v_mul_u32_u24_e32 v3, s11, v3
	v_mad_u32_u24 v3, s4, v2, v3
	v_bfe_u32 v0, v0, 20, 10
	v_add_lshl_u32 v0, v3, v0, 3
	v_mov_b32_e32 v1, s16
	v_add_u32_e32 v3, 0x400, v0
	v_pk_mov_b32 v[4:5], s[16:17], s[16:17] op_sel:[0,1]
	v_pk_mov_b32 v[6:7], s[12:13], s[12:13] op_sel:[0,1]
	ds_write2st64_b64 v0, v[6:7], v[4:5] offset1:2
	v_cndmask_b32_e64 v4, v1, v3, s[0:1]
	v_mov_b32_e32 v5, s2
	flat_load_dwordx2 v[60:61], v[4:5]
	s_xor_b64 s[4:5], s[0:1], -1
	v_pk_mov_b32 v[62:63], s[18:19], s[18:19] op_sel:[0,1]
	s_cbranch_vccnz .LBB147_2
; %bb.1:
	v_pk_mov_b32 v[4:5], s[16:17], s[16:17] op_sel:[0,1]
	flat_load_dwordx2 v[62:63], v[4:5] offset:8
.LBB147_2:
	s_and_b64 s[10:11], s[0:1], exec
	s_cselect_b32 s2, s3, s13
	v_mov_b32_e32 v1, s12
	v_cndmask_b32_e64 v0, v1, v0, s[0:1]
	v_mov_b32_e32 v1, s2
	flat_load_dwordx2 v[56:57], v[0:1]
	s_andn2_b64 vcc, exec, s[4:5]
	v_pk_mov_b32 v[58:59], s[14:15], s[14:15] op_sel:[0,1]
	s_cbranch_vccnz .LBB147_4
; %bb.3:
	v_pk_mov_b32 v[0:1], s[12:13], s[12:13] op_sel:[0,1]
	flat_load_dwordx2 v[58:59], v[0:1] offset:8
.LBB147_4:
	s_waitcnt vmcnt(0) lgkmcnt(0)
	v_cmp_eq_f64_e32 vcc, 0, v[60:61]
	v_cmp_eq_f64_e64 s[0:1], 0, v[62:63]
	s_and_b64 s[4:5], vcc, s[0:1]
	s_mov_b64 s[0:1], -1
	s_and_saveexec_b64 s[2:3], s[4:5]
; %bb.5:
	v_cmp_neq_f64_e32 vcc, 1.0, v[56:57]
	v_cmp_neq_f64_e64 s[0:1], 0, v[58:59]
	s_or_b64 s[0:1], vcc, s[0:1]
	s_orn2_b64 s[0:1], s[0:1], exec
; %bb.6:
	s_or_b64 exec, exec, s[2:3]
	s_and_saveexec_b64 s[2:3], s[0:1]
	s_cbranch_execz .LBB147_12
; %bb.7:
	s_load_dwordx2 s[2:3], s[6:7], 0x28
	v_lshrrev_b32_e32 v0, 4, v2
	v_lshl_or_b32 v0, s8, 3, v0
	v_mov_b32_e32 v1, 0
	s_mov_b64 s[0:1], 0
	s_waitcnt lgkmcnt(0)
	s_cmp_lg_u64 s[2:3], 0
	s_cbranch_scc0 .LBB147_13
; %bb.8:
	s_load_dwordx2 s[4:5], s[6:7], 0x20
                                        ; implicit-def: $vgpr64_vgpr65
	s_waitcnt lgkmcnt(0)
	v_cmp_gt_i64_e32 vcc, s[4:5], v[0:1]
	s_and_saveexec_b64 s[4:5], vcc
	s_xor_b64 s[8:9], exec, s[4:5]
                                        ; implicit-def: $sgpr4_sgpr5
	s_cbranch_execz .LBB147_10
; %bb.9:
	v_lshlrev_b64 v[4:5], 3, v[0:1]
	v_mov_b32_e32 v3, s3
	v_add_co_u32_e32 v4, vcc, s2, v4
	v_addc_co_u32_e32 v5, vcc, v3, v5, vcc
	global_load_dwordx2 v[4:5], v[4:5], off
	s_mov_b64 s[0:1], exec
	s_mov_b32 s5, 0
	s_waitcnt vmcnt(0)
	v_subrev_co_u32_e32 v64, vcc, s20, v4
	v_subbrev_co_u32_e32 v65, vcc, 0, v5, vcc
.LBB147_10:
	s_or_b64 exec, exec, s[8:9]
.LBB147_11:
	s_and_b64 exec, exec, s[0:1]
	s_cbranch_execnz .LBB147_17
.LBB147_12:
	s_endpgm
.LBB147_13:
                                        ; implicit-def: $vgpr64_vgpr65
                                        ; implicit-def: $sgpr4_sgpr5
	s_cbranch_execz .LBB147_11
; %bb.14:
	s_load_dwordx2 s[2:3], s[6:7], 0x0
                                        ; implicit-def: $vgpr64_vgpr65
	s_waitcnt lgkmcnt(0)
	v_cmp_gt_i64_e32 vcc, s[2:3], v[0:1]
	s_and_saveexec_b64 s[2:3], vcc
                                        ; implicit-def: $sgpr4_sgpr5
; %bb.15:
	s_mov_b32 s5, 0
	s_or_b64 s[0:1], s[0:1], exec
	v_pk_mov_b32 v[64:65], v[0:1], v[0:1] op_sel:[0,1]
; %bb.16:
	s_or_b64 exec, exec, s[2:3]
	s_and_b64 exec, exec, s[0:1]
	s_cbranch_execz .LBB147_12
.LBB147_17:
	s_load_dwordx8 s[8:15], s[6:7], 0x30
	v_lshlrev_b64 v[0:1], 3, v[64:65]
	v_and_b32_e32 v66, 15, v2
	v_mov_b32_e32 v2, s5
	s_waitcnt lgkmcnt(0)
	v_mov_b32_e32 v3, s9
	v_add_co_u32_e32 v4, vcc, s8, v0
	v_addc_co_u32_e32 v5, vcc, v3, v1, vcc
	v_add_co_u32_e32 v3, vcc, 8, v4
	global_load_dwordx2 v[16:17], v[4:5], off
	v_addc_co_u32_e32 v4, vcc, 0, v5, vcc
	v_mov_b32_e32 v5, s11
	v_add_co_u32_e32 v0, vcc, s10, v0
	s_cmp_eq_u64 s[10:11], 0
	v_addc_co_u32_e32 v1, vcc, v5, v1, vcc
	s_cselect_b64 vcc, -1, 0
	v_cndmask_b32_e32 v1, v1, v4, vcc
	v_cndmask_b32_e32 v0, v0, v3, vcc
	global_load_dwordx2 v[0:1], v[0:1], off
	s_load_dword s0, s[6:7], 0x8
	s_load_dwordx2 s[8:9], s[6:7], 0x50
	v_mov_b32_e32 v3, s15
	s_waitcnt lgkmcnt(0)
	s_cmp_eq_u32 s0, 1
	s_waitcnt vmcnt(1)
	v_subrev_co_u32_e32 v4, vcc, s20, v16
	v_subb_co_u32_e32 v5, vcc, v17, v2, vcc
	v_add_co_u32_e32 v72, vcc, v4, v66
	v_addc_co_u32_e32 v73, vcc, 0, v5, vcc
	s_waitcnt vmcnt(0)
	v_subrev_co_u32_e32 v74, vcc, s20, v0
	v_subb_co_u32_e32 v75, vcc, v1, v2, vcc
	v_lshlrev_b64 v[0:1], 7, v[72:73]
	v_add_co_u32_e32 v76, vcc, s14, v0
	v_addc_co_u32_e32 v77, vcc, v3, v1, vcc
	v_cmp_lt_i64_e64 s[0:1], v[72:73], v[74:75]
	s_cbranch_scc1 .LBB147_29
; %bb.18:
	v_pk_mov_b32 v[84:85], 0, 0
	s_mov_b64 s[10:11], 0
	v_pk_mov_b32 v[88:89], v[84:85], v[84:85] op_sel:[0,1]
	v_pk_mov_b32 v[82:83], v[84:85], v[84:85] op_sel:[0,1]
	;; [unrolled: 1-line block ×7, first 2 shown]
	s_and_saveexec_b64 s[14:15], s[0:1]
	s_cbranch_execz .LBB147_28
; %bb.19:
	v_or_b32_e32 v0, 16, v66
	v_mov_b32_e32 v1, s5
	v_subrev_co_u32_e32 v0, vcc, s20, v0
	v_subb_co_u32_e32 v1, vcc, 0, v1, vcc
	v_add_co_u32_e32 v0, vcc, v0, v16
	v_addc_co_u32_e32 v1, vcc, v1, v17, vcc
	v_cmp_gt_i64_e32 vcc, v[0:1], v[74:75]
	v_cndmask_b32_e32 v1, v75, v1, vcc
	v_cndmask_b32_e32 v0, v74, v0, vcc
	v_mov_b32_e32 v4, s5
	v_sub_co_u32_e32 v5, vcc, s20, v66
	v_not_b32_e32 v3, v16
	v_subbrev_co_u32_e32 v4, vcc, 0, v4, vcc
	v_not_b32_e32 v2, v17
	v_add_co_u32_e32 v3, vcc, v5, v3
	v_addc_co_u32_e32 v2, vcc, v4, v2, vcc
	v_add_co_u32_e32 v22, vcc, v3, v0
	v_lshrrev_b32_e32 v0, 4, v22
	v_add_u32_e32 v0, 1, v0
	v_addc_co_u32_e32 v23, vcc, v2, v1, vcc
	v_and_b32_e32 v0, 3, v0
	v_pk_mov_b32 v[70:71], 0, 0
	v_cmp_ne_u32_e32 vcc, 0, v0
	s_mov_b64 s[18:19], 0
	v_pk_mov_b32 v[68:69], v[70:71], v[70:71] op_sel:[0,1]
	v_pk_mov_b32 v[80:81], v[70:71], v[70:71] op_sel:[0,1]
	;; [unrolled: 1-line block ×9, first 2 shown]
	s_and_saveexec_b64 s[16:17], vcc
	s_cbranch_execz .LBB147_23
; %bb.20:
	v_lshlrev_b64 v[2:3], 3, v[72:73]
	v_mov_b32_e32 v1, s13
	v_add_co_u32_e32 v26, vcc, s12, v2
	v_pk_mov_b32 v[84:85], 0, 0
	v_mov_b32_e32 v25, 0
	v_addc_co_u32_e32 v27, vcc, v1, v3, vcc
	v_lshlrev_b32_e32 v24, 3, v0
	s_movk_i32 s4, 0x800
	v_mov_b32_e32 v30, s5
	v_mov_b32_e32 v31, s9
	v_pk_mov_b32 v[20:21], v[72:73], v[72:73] op_sel:[0,1]
	v_pk_mov_b32 v[18:19], v[76:77], v[76:77] op_sel:[0,1]
	;; [unrolled: 1-line block ×9, first 2 shown]
.LBB147_21:                             ; =>This Inner Loop Header: Depth=1
	global_load_dwordx2 v[28:29], v[26:27], off
	global_load_dwordx4 v[0:3], v[18:19], off offset:48
	global_load_dwordx4 v[8:11], v[18:19], off offset:32
	;; [unrolled: 1-line block ×3, first 2 shown]
	global_load_dwordx4 v[12:15], v[18:19], off
	global_load_dwordx4 v[32:35], v[18:19], off offset:112
	global_load_dwordx4 v[36:39], v[18:19], off offset:96
	;; [unrolled: 1-line block ×4, first 2 shown]
	v_add_co_u32_e32 v18, vcc, s4, v18
	v_addc_co_u32_e32 v19, vcc, 0, v19, vcc
	v_add_co_u32_e32 v26, vcc, 0x80, v26
	v_addc_co_u32_e32 v27, vcc, 0, v27, vcc
	s_waitcnt vmcnt(8)
	v_subrev_co_u32_e64 v28, s[2:3], s20, v28
	v_subb_co_u32_e64 v29, s[2:3], v29, v30, s[2:3]
	v_lshlrev_b64 v[28:29], 6, v[28:29]
	v_add_co_u32_e64 v28, s[2:3], s8, v28
	v_addc_co_u32_e64 v29, s[2:3], v31, v29, s[2:3]
	global_load_dwordx4 v[48:51], v[28:29], off
	global_load_dwordx4 v[52:55], v[28:29], off offset:16
	global_load_dwordx4 v[90:93], v[28:29], off offset:32
	;; [unrolled: 1-line block ×3, first 2 shown]
	v_add_co_u32_e64 v20, s[2:3], 16, v20
	v_addc_co_u32_e64 v21, s[2:3], 0, v21, s[2:3]
	v_add_co_u32_e64 v24, s[2:3], -8, v24
	v_addc_co_u32_e64 v25, s[2:3], -1, v25, s[2:3]
	v_cmp_eq_u64_e64 s[2:3], 0, v[24:25]
	s_or_b64 s[18:19], s[2:3], s[18:19]
	s_waitcnt vmcnt(3)
	v_fmac_f64_e32 v[88:89], v[12:13], v[48:49]
	v_fmac_f64_e32 v[84:85], 0, v[48:49]
	v_fmac_f64_e32 v[86:87], v[8:9], v[48:49]
	v_fmac_f64_e32 v[82:83], 0, v[48:49]
	v_fmac_f64_e32 v[80:81], v[40:41], v[48:49]
	v_fmac_f64_e32 v[78:79], 0, v[48:49]
	v_fmac_f64_e32 v[70:71], v[36:37], v[48:49]
	v_fmac_f64_e32 v[68:69], 0, v[48:49]
	v_fmac_f64_e32 v[88:89], 0x80000000, v[50:51]
	v_fmac_f64_e32 v[84:85], v[12:13], v[50:51]
	v_fmac_f64_e32 v[86:87], 0x80000000, v[50:51]
	v_fmac_f64_e32 v[82:83], v[8:9], v[50:51]
	v_fmac_f64_e32 v[80:81], 0x80000000, v[50:51]
	v_fmac_f64_e32 v[78:79], v[40:41], v[50:51]
	v_fmac_f64_e32 v[70:71], 0x80000000, v[50:51]
	v_fmac_f64_e32 v[68:69], v[36:37], v[50:51]
	s_waitcnt vmcnt(2)
	v_fmac_f64_e32 v[88:89], v[14:15], v[52:53]
	v_fmac_f64_e32 v[84:85], 0, v[52:53]
	v_fmac_f64_e32 v[86:87], v[10:11], v[52:53]
	v_fmac_f64_e32 v[82:83], 0, v[52:53]
	v_fmac_f64_e32 v[80:81], v[42:43], v[52:53]
	v_fmac_f64_e32 v[78:79], 0, v[52:53]
	v_fmac_f64_e32 v[70:71], v[38:39], v[52:53]
	v_fmac_f64_e32 v[68:69], 0, v[52:53]
	v_fmac_f64_e32 v[84:85], v[14:15], v[54:55]
	v_fmac_f64_e32 v[82:83], v[10:11], v[54:55]
	v_fmac_f64_e32 v[78:79], v[42:43], v[54:55]
	v_fmac_f64_e32 v[88:89], 0x80000000, v[54:55]
	v_fmac_f64_e32 v[86:87], 0x80000000, v[54:55]
	v_fmac_f64_e32 v[80:81], 0x80000000, v[54:55]
	v_fmac_f64_e32 v[70:71], 0x80000000, v[54:55]
	v_fmac_f64_e32 v[68:69], v[38:39], v[54:55]
	;; [unrolled: 17-line block ×4, first 2 shown]
	s_andn2_b64 exec, exec, s[18:19]
	s_cbranch_execnz .LBB147_21
; %bb.22:
	s_or_b64 exec, exec, s[18:19]
.LBB147_23:
	s_or_b64 exec, exec, s[16:17]
	v_cmp_lt_u64_e32 vcc, 47, v[22:23]
	s_and_saveexec_b64 s[16:17], vcc
	s_cbranch_execz .LBB147_27
; %bb.24:
	v_lshlrev_b64 v[0:1], 3, v[20:21]
	v_mov_b32_e32 v2, s13
	v_add_co_u32_e32 v0, vcc, s12, v0
	v_addc_co_u32_e32 v1, vcc, v1, v2, vcc
	v_add_co_u32_e32 v0, vcc, 0x100, v0
	v_addc_co_u32_e32 v1, vcc, 0, v1, vcc
	s_mov_b64 s[18:19], 0
	v_mov_b32_e32 v4, s5
	v_mov_b32_e32 v5, s9
	s_movk_i32 s4, 0x1000
.LBB147_25:                             ; =>This Inner Loop Header: Depth=1
	global_load_dwordx2 v[2:3], v[0:1], off offset:-256
	global_load_dwordx4 v[6:9], v[18:19], off offset:48
	global_load_dwordx4 v[10:13], v[18:19], off offset:32
	;; [unrolled: 1-line block ×3, first 2 shown]
	global_load_dwordx4 v[26:29], v[18:19], off
	s_waitcnt vmcnt(4)
	v_subrev_co_u32_e32 v2, vcc, s20, v2
	v_subb_co_u32_e32 v3, vcc, v3, v4, vcc
	v_lshlrev_b64 v[2:3], 6, v[2:3]
	v_add_co_u32_e32 v2, vcc, s8, v2
	v_addc_co_u32_e32 v3, vcc, v5, v3, vcc
	global_load_dwordx4 v[30:33], v[2:3], off offset:48
	global_load_dwordx4 v[34:37], v[2:3], off offset:32
	;; [unrolled: 1-line block ×3, first 2 shown]
	global_load_dwordx4 v[42:45], v[2:3], off
	s_waitcnt vmcnt(0)
	v_fmac_f64_e32 v[84:85], 0, v[42:43]
	v_fmac_f64_e32 v[82:83], 0, v[42:43]
	;; [unrolled: 1-line block ×30, first 2 shown]
	global_load_dwordx4 v[6:9], v[18:19], off offset:112
	global_load_dwordx4 v[10:13], v[18:19], off offset:96
	;; [unrolled: 1-line block ×4, first 2 shown]
	global_load_dwordx2 v[2:3], v[0:1], off offset:-128
	v_fmac_f64_e32 v[78:79], 0, v[42:43]
	v_fmac_f64_e32 v[68:69], 0, v[42:43]
	v_fmac_f64_e32 v[88:89], 0x80000000, v[32:33]
	v_fmac_f64_e32 v[86:87], 0x80000000, v[32:33]
	s_waitcnt vmcnt(3)
	v_fmac_f64_e32 v[70:71], v[10:11], v[42:43]
	v_fmac_f64_e32 v[70:71], 0x80000000, v[44:45]
	s_waitcnt vmcnt(1)
	v_fmac_f64_e32 v[80:81], v[26:27], v[42:43]
	v_fmac_f64_e32 v[80:81], 0x80000000, v[44:45]
	v_fmac_f64_e32 v[78:79], v[26:27], v[44:45]
	v_fmac_f64_e32 v[68:69], v[10:11], v[44:45]
	v_fmac_f64_e32 v[80:81], v[28:29], v[38:39]
	v_fmac_f64_e32 v[78:79], 0, v[38:39]
	v_fmac_f64_e32 v[70:71], v[12:13], v[38:39]
	v_fmac_f64_e32 v[68:69], 0, v[38:39]
	s_waitcnt vmcnt(0)
	v_subrev_co_u32_e32 v2, vcc, s20, v2
	v_fmac_f64_e32 v[80:81], 0x80000000, v[40:41]
	v_fmac_f64_e32 v[78:79], v[28:29], v[40:41]
	;; [unrolled: 1-line block ×4, first 2 shown]
	v_subb_co_u32_e32 v3, vcc, v3, v4, vcc
	v_fmac_f64_e32 v[80:81], v[22:23], v[34:35]
	v_fmac_f64_e32 v[78:79], 0, v[34:35]
	;; [unrolled: 1-line block ×4, first 2 shown]
	v_lshlrev_b64 v[2:3], 6, v[2:3]
	v_fmac_f64_e32 v[80:81], 0x80000000, v[36:37]
	v_fmac_f64_e32 v[78:79], v[22:23], v[36:37]
	;; [unrolled: 1-line block ×4, first 2 shown]
	v_add_co_u32_e32 v2, vcc, s8, v2
	v_fmac_f64_e32 v[80:81], v[24:25], v[30:31]
	v_fmac_f64_e32 v[78:79], 0, v[30:31]
	;; [unrolled: 1-line block ×4, first 2 shown]
	v_addc_co_u32_e32 v3, vcc, v5, v3, vcc
	v_fmac_f64_e32 v[80:81], 0x80000000, v[32:33]
	v_fmac_f64_e32 v[78:79], v[24:25], v[32:33]
	;; [unrolled: 1-line block ×4, first 2 shown]
	global_load_dwordx4 v[6:9], v[18:19], off offset:2096
	global_load_dwordx4 v[10:13], v[18:19], off offset:2080
	;; [unrolled: 1-line block ×7, first 2 shown]
	global_load_dwordx4 v[42:45], v[2:3], off
	v_add_co_u32_e32 v2, vcc, s4, v18
	v_addc_co_u32_e32 v3, vcc, 0, v19, vcc
	s_waitcnt vmcnt(0)
	v_fmac_f64_e32 v[84:85], 0, v[42:43]
	v_fmac_f64_e32 v[82:83], 0, v[42:43]
	;; [unrolled: 1-line block ×30, first 2 shown]
	global_load_dwordx4 v[6:9], v[18:19], off offset:2160
	global_load_dwordx4 v[10:13], v[18:19], off offset:2144
	;; [unrolled: 1-line block ×4, first 2 shown]
	v_fmac_f64_e32 v[68:69], 0, v[42:43]
	v_fmac_f64_e32 v[78:79], 0, v[42:43]
	;; [unrolled: 1-line block ×4, first 2 shown]
	s_waitcnt vmcnt(2)
	v_fmac_f64_e32 v[70:71], v[10:11], v[42:43]
	v_fmac_f64_e32 v[68:69], v[10:11], v[44:45]
	;; [unrolled: 1-line block ×10, first 2 shown]
	global_load_dwordx2 v[6:7], v[0:1], off
	s_waitcnt vmcnt(1)
	v_fmac_f64_e32 v[80:81], v[26:27], v[42:43]
	v_fmac_f64_e32 v[80:81], 0x80000000, v[44:45]
	;; [unrolled: 1-line block ×20, first 2 shown]
	s_waitcnt vmcnt(0)
	v_subrev_co_u32_e32 v14, vcc, s20, v6
	v_subb_co_u32_e32 v15, vcc, v7, v4, vcc
	v_lshlrev_b64 v[14:15], 6, v[14:15]
	v_add_co_u32_e32 v14, vcc, s8, v14
	v_addc_co_u32_e32 v15, vcc, v5, v15, vcc
	global_load_dwordx4 v[6:9], v[2:3], off
	global_load_dwordx4 v[10:13], v[2:3], off offset:48
	global_load_dwordx4 v[22:25], v[2:3], off offset:32
	;; [unrolled: 1-line block ×6, first 2 shown]
	global_load_dwordx4 v[42:45], v[14:15], off
	s_waitcnt vmcnt(0)
	v_fmac_f64_e32 v[84:85], 0, v[42:43]
	v_fmac_f64_e32 v[82:83], 0, v[42:43]
	;; [unrolled: 1-line block ×30, first 2 shown]
	global_load_dwordx4 v[6:9], v[2:3], off offset:112
	global_load_dwordx4 v[10:13], v[2:3], off offset:96
	;; [unrolled: 1-line block ×4, first 2 shown]
	v_fmac_f64_e32 v[68:69], 0, v[42:43]
	v_fmac_f64_e32 v[78:79], 0, v[42:43]
	;; [unrolled: 1-line block ×4, first 2 shown]
	s_waitcnt vmcnt(2)
	v_fmac_f64_e32 v[70:71], v[10:11], v[42:43]
	v_fmac_f64_e32 v[68:69], v[10:11], v[44:45]
	;; [unrolled: 1-line block ×10, first 2 shown]
	global_load_dwordx2 v[6:7], v[0:1], off offset:128
	s_waitcnt vmcnt(1)
	v_fmac_f64_e32 v[80:81], v[26:27], v[42:43]
	v_fmac_f64_e32 v[80:81], 0x80000000, v[44:45]
	;; [unrolled: 1-line block ×20, first 2 shown]
	s_waitcnt vmcnt(0)
	v_subrev_co_u32_e32 v14, vcc, s20, v6
	v_subb_co_u32_e32 v15, vcc, v7, v4, vcc
	v_lshlrev_b64 v[14:15], 6, v[14:15]
	v_add_co_u32_e32 v14, vcc, s8, v14
	v_addc_co_u32_e32 v15, vcc, v5, v15, vcc
	global_load_dwordx4 v[6:9], v[2:3], off offset:2096
	global_load_dwordx4 v[10:13], v[2:3], off offset:2080
	;; [unrolled: 1-line block ×7, first 2 shown]
	global_load_dwordx4 v[42:45], v[14:15], off
	v_add_co_u32_e32 v20, vcc, 64, v20
	v_addc_co_u32_e32 v21, vcc, 0, v21, vcc
	v_add_co_u32_e32 v0, vcc, 0x200, v0
	v_addc_co_u32_e32 v1, vcc, 0, v1, vcc
	v_cmp_ge_i64_e64 s[2:3], v[20:21], v[74:75]
	v_add_co_u32_e32 v18, vcc, 0x2000, v18
	v_addc_co_u32_e32 v19, vcc, 0, v19, vcc
	s_or_b64 s[18:19], s[2:3], s[18:19]
	s_waitcnt vmcnt(0)
	v_fmac_f64_e32 v[84:85], 0, v[42:43]
	v_fmac_f64_e32 v[82:83], 0, v[42:43]
	;; [unrolled: 1-line block ×30, first 2 shown]
	global_load_dwordx4 v[6:9], v[2:3], off offset:2160
	global_load_dwordx4 v[10:13], v[2:3], off offset:2144
	;; [unrolled: 1-line block ×4, first 2 shown]
	v_fmac_f64_e32 v[78:79], 0, v[42:43]
	v_fmac_f64_e32 v[68:69], 0, v[42:43]
	;; [unrolled: 1-line block ×4, first 2 shown]
	s_waitcnt vmcnt(2)
	v_fmac_f64_e32 v[70:71], v[10:11], v[42:43]
	v_fmac_f64_e32 v[70:71], 0x80000000, v[44:45]
	s_waitcnt vmcnt(0)
	v_fmac_f64_e32 v[80:81], v[26:27], v[42:43]
	v_fmac_f64_e32 v[80:81], 0x80000000, v[44:45]
	;; [unrolled: 1-line block ×28, first 2 shown]
	s_andn2_b64 exec, exec, s[18:19]
	s_cbranch_execnz .LBB147_25
; %bb.26:
	s_or_b64 exec, exec, s[18:19]
.LBB147_27:
	s_or_b64 exec, exec, s[16:17]
.LBB147_28:
	s_or_b64 exec, exec, s[14:15]
	s_andn2_b64 vcc, exec, s[10:11]
	s_cbranch_vccz .LBB147_30
	s_branch .LBB147_41
.LBB147_29:
                                        ; implicit-def: $vgpr84_vgpr85
                                        ; implicit-def: $vgpr88_vgpr89
                                        ; implicit-def: $vgpr82_vgpr83
                                        ; implicit-def: $vgpr86_vgpr87
                                        ; implicit-def: $vgpr78_vgpr79
                                        ; implicit-def: $vgpr80_vgpr81
                                        ; implicit-def: $vgpr68_vgpr69
                                        ; implicit-def: $vgpr70_vgpr71
.LBB147_30:
	v_pk_mov_b32 v[84:85], 0, 0
	v_pk_mov_b32 v[88:89], v[84:85], v[84:85] op_sel:[0,1]
	v_pk_mov_b32 v[82:83], v[84:85], v[84:85] op_sel:[0,1]
	;; [unrolled: 1-line block ×7, first 2 shown]
	s_and_saveexec_b64 s[10:11], s[0:1]
	s_cbranch_execz .LBB147_40
; %bb.31:
	v_or_b32_e32 v0, 16, v66
	v_mov_b32_e32 v1, s5
	v_subrev_co_u32_e32 v0, vcc, s20, v0
	v_subb_co_u32_e32 v1, vcc, 0, v1, vcc
	v_add_co_u32_e32 v0, vcc, v0, v16
	v_addc_co_u32_e32 v1, vcc, v1, v17, vcc
	v_cmp_gt_i64_e32 vcc, v[0:1], v[74:75]
	v_cndmask_b32_e32 v1, v75, v1, vcc
	v_cndmask_b32_e32 v0, v74, v0, vcc
	v_mov_b32_e32 v4, s5
	v_sub_co_u32_e32 v5, vcc, s20, v66
	v_not_b32_e32 v3, v16
	v_subbrev_co_u32_e32 v4, vcc, 0, v4, vcc
	v_not_b32_e32 v2, v17
	v_add_co_u32_e32 v3, vcc, v5, v3
	v_addc_co_u32_e32 v2, vcc, v4, v2, vcc
	v_add_co_u32_e32 v16, vcc, v3, v0
	v_lshrrev_b32_e32 v0, 4, v16
	v_add_u32_e32 v0, 1, v0
	v_addc_co_u32_e32 v17, vcc, v2, v1, vcc
	v_and_b32_e32 v0, 3, v0
	v_pk_mov_b32 v[70:71], 0, 0
	v_cmp_ne_u32_e32 vcc, 0, v0
	s_mov_b64 s[14:15], 0
	v_pk_mov_b32 v[68:69], v[70:71], v[70:71] op_sel:[0,1]
	v_pk_mov_b32 v[80:81], v[70:71], v[70:71] op_sel:[0,1]
	;; [unrolled: 1-line block ×7, first 2 shown]
	s_and_saveexec_b64 s[2:3], vcc
	s_cbranch_execz .LBB147_35
; %bb.32:
	v_lshlrev_b64 v[2:3], 3, v[72:73]
	v_mov_b32_e32 v1, s13
	v_add_co_u32_e32 v20, vcc, s12, v2
	v_pk_mov_b32 v[84:85], 0, 0
	v_mov_b32_e32 v19, 0
	v_addc_co_u32_e32 v21, vcc, v1, v3, vcc
	v_lshlrev_b32_e32 v18, 3, v0
	s_movk_i32 s4, 0x800
	v_mov_b32_e32 v22, s5
	v_mov_b32_e32 v23, s9
	v_pk_mov_b32 v[88:89], v[84:85], v[84:85] op_sel:[0,1]
	v_pk_mov_b32 v[82:83], v[84:85], v[84:85] op_sel:[0,1]
	;; [unrolled: 1-line block ×7, first 2 shown]
.LBB147_33:                             ; =>This Inner Loop Header: Depth=1
	global_load_dwordx2 v[40:41], v[20:21], off
	global_load_dwordx4 v[0:3], v[76:77], off offset:48
	global_load_dwordx4 v[4:7], v[76:77], off offset:32
	global_load_dwordx4 v[8:11], v[76:77], off offset:16
	global_load_dwordx4 v[12:15], v[76:77], off
	global_load_dwordx4 v[24:27], v[76:77], off offset:112
	global_load_dwordx4 v[28:31], v[76:77], off offset:96
	;; [unrolled: 1-line block ×4, first 2 shown]
	v_add_co_u32_e64 v72, s[0:1], 16, v72
	v_addc_co_u32_e64 v73, s[0:1], 0, v73, s[0:1]
	v_add_co_u32_e64 v18, s[0:1], -8, v18
	v_addc_co_u32_e64 v19, s[0:1], -1, v19, s[0:1]
	v_cmp_eq_u64_e64 s[0:1], 0, v[18:19]
	s_or_b64 s[14:15], s[0:1], s[14:15]
	s_waitcnt vmcnt(8)
	v_subrev_co_u32_e32 v40, vcc, s20, v40
	v_subb_co_u32_e32 v41, vcc, v41, v22, vcc
	v_lshlrev_b64 v[40:41], 6, v[40:41]
	v_add_co_u32_e32 v90, vcc, s8, v40
	v_addc_co_u32_e32 v91, vcc, v23, v41, vcc
	global_load_dwordx4 v[40:43], v[90:91], off
	global_load_dwordx4 v[44:47], v[90:91], off offset:16
	global_load_dwordx4 v[48:51], v[90:91], off offset:32
	;; [unrolled: 1-line block ×3, first 2 shown]
	v_add_co_u32_e32 v76, vcc, s4, v76
	v_addc_co_u32_e32 v77, vcc, 0, v77, vcc
	v_add_co_u32_e32 v20, vcc, 0x80, v20
	v_addc_co_u32_e32 v21, vcc, 0, v21, vcc
	s_waitcnt vmcnt(3)
	v_fmac_f64_e32 v[88:89], v[12:13], v[40:41]
	v_fmac_f64_e32 v[84:85], 0, v[40:41]
	v_fmac_f64_e32 v[86:87], v[14:15], v[40:41]
	v_fmac_f64_e32 v[82:83], 0, v[40:41]
	v_fmac_f64_e32 v[80:81], v[8:9], v[40:41]
	v_fmac_f64_e32 v[78:79], 0, v[40:41]
	v_fmac_f64_e32 v[70:71], v[10:11], v[40:41]
	v_fmac_f64_e32 v[68:69], 0, v[40:41]
	v_fmac_f64_e32 v[88:89], 0x80000000, v[42:43]
	v_fmac_f64_e32 v[84:85], v[12:13], v[42:43]
	v_fmac_f64_e32 v[86:87], 0x80000000, v[42:43]
	v_fmac_f64_e32 v[82:83], v[14:15], v[42:43]
	v_fmac_f64_e32 v[80:81], 0x80000000, v[42:43]
	v_fmac_f64_e32 v[78:79], v[8:9], v[42:43]
	v_fmac_f64_e32 v[70:71], 0x80000000, v[42:43]
	v_fmac_f64_e32 v[68:69], v[10:11], v[42:43]
	s_waitcnt vmcnt(2)
	v_fmac_f64_e32 v[88:89], v[4:5], v[44:45]
	v_fmac_f64_e32 v[84:85], 0, v[44:45]
	v_fmac_f64_e32 v[86:87], v[6:7], v[44:45]
	v_fmac_f64_e32 v[82:83], 0, v[44:45]
	v_fmac_f64_e32 v[80:81], v[0:1], v[44:45]
	v_fmac_f64_e32 v[78:79], 0, v[44:45]
	v_fmac_f64_e32 v[70:71], v[2:3], v[44:45]
	v_fmac_f64_e32 v[68:69], 0, v[44:45]
	v_fmac_f64_e32 v[88:89], 0x80000000, v[46:47]
	v_fmac_f64_e32 v[84:85], v[4:5], v[46:47]
	v_fmac_f64_e32 v[86:87], 0x80000000, v[46:47]
	v_fmac_f64_e32 v[82:83], v[6:7], v[46:47]
	v_fmac_f64_e32 v[80:81], 0x80000000, v[46:47]
	v_fmac_f64_e32 v[78:79], v[0:1], v[46:47]
	v_fmac_f64_e32 v[70:71], 0x80000000, v[46:47]
	v_fmac_f64_e32 v[68:69], v[2:3], v[46:47]
	;; [unrolled: 17-line block ×4, first 2 shown]
	s_andn2_b64 exec, exec, s[14:15]
	s_cbranch_execnz .LBB147_33
; %bb.34:
	s_or_b64 exec, exec, s[14:15]
.LBB147_35:
	s_or_b64 exec, exec, s[2:3]
	v_cmp_lt_u64_e32 vcc, 47, v[16:17]
	s_and_saveexec_b64 s[14:15], vcc
	s_cbranch_execz .LBB147_39
; %bb.36:
	v_lshlrev_b64 v[0:1], 3, v[72:73]
	v_mov_b32_e32 v2, s13
	v_add_co_u32_e32 v0, vcc, s12, v0
	v_addc_co_u32_e32 v1, vcc, v1, v2, vcc
	v_add_co_u32_e32 v90, vcc, 0x100, v0
	v_addc_co_u32_e32 v91, vcc, 0, v1, vcc
	s_mov_b64 s[12:13], 0
	v_mov_b32_e32 v67, s5
	v_mov_b32_e32 v100, s9
	s_movk_i32 s9, 0x1000
.LBB147_37:                             ; =>This Inner Loop Header: Depth=1
	global_load_dwordx2 v[48:49], v[90:91], off offset:-256
	global_load_dwordx4 v[36:39], v[76:77], off offset:48
	global_load_dwordx4 v[40:43], v[76:77], off offset:32
	;; [unrolled: 1-line block ×3, first 2 shown]
	global_load_dwordx4 v[52:55], v[76:77], off
	global_load_dwordx4 v[4:7], v[76:77], off offset:112
	global_load_dwordx4 v[12:15], v[76:77], off offset:96
	;; [unrolled: 1-line block ×9, first 2 shown]
	v_add_co_u32_e64 v98, s[2:3], s9, v76
	v_add_co_u32_e64 v72, s[4:5], 64, v72
	s_waitcnt vmcnt(13)
	v_subrev_co_u32_e32 v48, vcc, s20, v48
	v_subb_co_u32_e32 v49, vcc, v49, v67, vcc
	v_lshlrev_b64 v[48:49], 6, v[48:49]
	v_add_co_u32_e32 v92, vcc, s8, v48
	v_addc_co_u32_e32 v93, vcc, v100, v49, vcc
	global_load_dwordx4 v[48:51], v[92:93], off
	s_waitcnt vmcnt(0)
	v_fmac_f64_e32 v[84:85], 0, v[48:49]
	v_fmac_f64_e32 v[78:79], 0, v[48:49]
	;; [unrolled: 1-line block ×5, first 2 shown]
	global_load_dwordx2 v[52:53], v[90:91], off offset:-128
	global_load_dwordx2 v[96:97], v[90:91], off
	v_fmac_f64_e32 v[80:81], v[44:45], v[48:49]
	v_fmac_f64_e32 v[70:71], v[46:47], v[48:49]
	;; [unrolled: 1-line block ×4, first 2 shown]
	global_load_dwordx4 v[44:47], v[92:93], off offset:16
	v_fmac_f64_e32 v[86:87], v[54:55], v[48:49]
	v_fmac_f64_e32 v[82:83], 0, v[48:49]
	;; [unrolled: 1-line block ×7, first 2 shown]
	global_load_dwordx4 v[48:51], v[92:93], off offset:48
	global_load_dwordx2 v[94:95], v[90:91], off offset:128
	v_add_co_u32_e32 v90, vcc, 0x200, v90
	s_mov_b64 s[0:1], vcc
	v_addc_co_u32_e64 v99, vcc, 0, v77, s[2:3]
	global_load_dwordx4 v[102:105], v[98:99], off
	v_addc_co_u32_e64 v73, vcc, 0, v73, s[4:5]
	v_addc_co_u32_e64 v91, s[0:1], 0, v91, s[0:1]
	v_cmp_ge_i64_e64 s[0:1], v[72:73], v[74:75]
	s_or_b64 s[12:13], s[0:1], s[12:13]
	global_load_dwordx4 v[106:109], v[98:99], off offset:64
	s_waitcnt vmcnt(4)
	v_fmac_f64_e32 v[88:89], v[40:41], v[44:45]
	v_fmac_f64_e32 v[84:85], 0, v[44:45]
	;; [unrolled: 1-line block ×16, first 2 shown]
	global_load_dwordx4 v[44:47], v[92:93], off offset:32
	global_load_dwordx4 v[36:39], v[76:77], off offset:2128
	;; [unrolled: 1-line block ×3, first 2 shown]
	s_waitcnt vmcnt(2)
	v_fmac_f64_e32 v[78:79], 0, v[44:45]
	v_fmac_f64_e32 v[80:81], v[20:21], v[44:45]
	;; [unrolled: 1-line block ×7, first 2 shown]
	v_subrev_co_u32_e64 v4, s[2:3], s20, v52
	v_subb_co_u32_e64 v5, s[2:3], v53, v67, s[2:3]
	v_fmac_f64_e32 v[84:85], 0, v[44:45]
	v_fmac_f64_e32 v[82:83], 0, v[44:45]
	v_lshlrev_b64 v[4:5], 6, v[4:5]
	v_fmac_f64_e32 v[88:89], v[32:33], v[44:45]
	v_fmac_f64_e32 v[86:87], v[34:35], v[44:45]
	;; [unrolled: 1-line block ×4, first 2 shown]
	global_load_dwordx4 v[32:35], v[76:77], off offset:2112
	v_add_co_u32_e64 v92, s[2:3], s8, v4
	v_fmac_f64_e32 v[88:89], 0x80000000, v[46:47]
	v_fmac_f64_e32 v[86:87], 0x80000000, v[46:47]
	;; [unrolled: 1-line block ×4, first 2 shown]
	v_addc_co_u32_e64 v93, s[2:3], v100, v5, s[2:3]
	v_fmac_f64_e32 v[88:89], v[12:13], v[48:49]
	v_fmac_f64_e32 v[86:87], v[14:15], v[48:49]
	;; [unrolled: 1-line block ×4, first 2 shown]
	global_load_dwordx4 v[12:15], v[92:93], off
	v_fmac_f64_e32 v[70:71], v[22:23], v[44:45]
	v_fmac_f64_e32 v[68:69], 0, v[44:45]
	;; [unrolled: 1-line block ×11, first 2 shown]
	global_load_dwordx4 v[20:23], v[98:99], off offset:48
	global_load_dwordx4 v[44:47], v[98:99], off offset:32
	;; [unrolled: 1-line block ×5, first 2 shown]
	v_add_co_u32_e32 v76, vcc, 0x2000, v76
	v_addc_co_u32_e32 v77, vcc, 0, v77, vcc
	s_waitcnt vmcnt(5)
	v_fmac_f64_e32 v[88:89], v[28:29], v[12:13]
	v_fmac_f64_e32 v[84:85], 0, v[12:13]
	;; [unrolled: 1-line block ×16, first 2 shown]
	global_load_dwordx4 v[12:15], v[92:93], off offset:16
	global_load_dwordx4 v[28:31], v[98:99], off offset:16
	;; [unrolled: 1-line block ×3, first 2 shown]
	s_waitcnt vmcnt(2)
	v_fmac_f64_e32 v[68:69], 0, v[12:13]
	v_fmac_f64_e32 v[88:89], v[16:17], v[12:13]
	;; [unrolled: 1-line block ×9, first 2 shown]
	global_load_dwordx4 v[10:13], v[92:93], off offset:32
	v_fmac_f64_e32 v[84:85], v[16:17], v[14:15]
	v_fmac_f64_e32 v[82:83], v[18:19], v[14:15]
	;; [unrolled: 1-line block ×4, first 2 shown]
	v_subrev_co_u32_e64 v16, s[2:3], s20, v96
	v_subb_co_u32_e64 v17, s[2:3], v97, v67, s[2:3]
	v_fmac_f64_e32 v[78:79], v[8:9], v[14:15]
	v_fmac_f64_e32 v[80:81], 0x80000000, v[14:15]
	;; [unrolled: 1-line block ×3, first 2 shown]
	v_lshlrev_b64 v[16:17], 6, v[16:17]
	v_add_co_u32_e64 v96, s[2:3], s8, v16
	v_addc_co_u32_e64 v97, s[2:3], v100, v17, s[2:3]
	global_load_dwordx4 v[16:19], v[98:99], off offset:2064
	s_waitcnt vmcnt(1)
	v_fmac_f64_e32 v[84:85], 0, v[10:11]
	v_fmac_f64_e32 v[82:83], 0, v[10:11]
	;; [unrolled: 1-line block ×6, first 2 shown]
	global_load_dwordx4 v[32:35], v[92:93], off offset:48
	v_fmac_f64_e32 v[80:81], v[36:37], v[10:11]
	v_fmac_f64_e32 v[78:79], 0, v[10:11]
	v_fmac_f64_e32 v[70:71], v[38:39], v[10:11]
	v_fmac_f64_e32 v[68:69], 0, v[10:11]
	v_fmac_f64_e32 v[78:79], v[36:37], v[12:13]
	v_fmac_f64_e32 v[68:69], v[38:39], v[12:13]
	global_load_dwordx4 v[36:39], v[96:97], off offset:16
	v_fmac_f64_e32 v[88:89], 0x80000000, v[12:13]
	v_fmac_f64_e32 v[86:87], 0x80000000, v[12:13]
	;; [unrolled: 1-line block ×4, first 2 shown]
	global_load_dwordx4 v[8:11], v[98:99], off offset:2096
	global_load_dwordx4 v[12:15], v[98:99], off offset:2080
	s_waitcnt vmcnt(3)
	v_fmac_f64_e32 v[88:89], v[40:41], v[32:33]
	v_fmac_f64_e32 v[84:85], 0, v[32:33]
	;; [unrolled: 1-line block ×16, first 2 shown]
	global_load_dwordx4 v[32:35], v[96:97], off
	global_load_dwordx4 v[0:3], v[98:99], off offset:2160
	s_waitcnt vmcnt(1)
	v_fmac_f64_e32 v[88:89], v[102:103], v[32:33]
	v_fmac_f64_e32 v[84:85], 0, v[32:33]
	;; [unrolled: 1-line block ×12, first 2 shown]
	global_load_dwordx4 v[28:31], v[98:99], off offset:2144
	v_fmac_f64_e32 v[88:89], 0x80000000, v[34:35]
	v_fmac_f64_e32 v[86:87], 0x80000000, v[34:35]
	;; [unrolled: 1-line block ×12, first 2 shown]
	v_subrev_co_u32_e64 v36, s[2:3], s20, v94
	v_subb_co_u32_e64 v37, s[2:3], v95, v67, s[2:3]
	v_lshlrev_b64 v[36:37], 6, v[36:37]
	v_add_co_u32_e64 v92, s[2:3], s8, v36
	v_fmac_f64_e32 v[84:85], v[44:45], v[38:39]
	v_fmac_f64_e32 v[82:83], v[46:47], v[38:39]
	global_load_dwordx4 v[32:35], v[98:99], off offset:2128
	v_fmac_f64_e32 v[78:79], v[20:21], v[38:39]
	v_fmac_f64_e32 v[68:69], v[22:23], v[38:39]
	global_load_dwordx4 v[20:23], v[98:99], off offset:2112
	v_addc_co_u32_e64 v93, s[2:3], v100, v37, s[2:3]
	v_fmac_f64_e32 v[88:89], 0x80000000, v[38:39]
	v_fmac_f64_e32 v[86:87], 0x80000000, v[38:39]
	;; [unrolled: 1-line block ×4, first 2 shown]
	global_load_dwordx4 v[36:39], v[96:97], off offset:32
	global_load_dwordx4 v[40:43], v[96:97], off offset:48
	global_load_dwordx4 v[44:47], v[92:93], off
	s_waitcnt vmcnt(2)
	v_fmac_f64_e32 v[78:79], 0, v[36:37]
	v_fmac_f64_e32 v[68:69], 0, v[36:37]
	;; [unrolled: 1-line block ×6, first 2 shown]
	global_load_dwordx4 v[52:55], v[92:93], off offset:16
	v_fmac_f64_e32 v[88:89], v[106:107], v[36:37]
	v_fmac_f64_e32 v[84:85], 0, v[36:37]
	;; [unrolled: 1-line block ×10, first 2 shown]
	global_load_dwordx4 v[36:39], v[92:93], off offset:32
	s_waitcnt vmcnt(3)
	v_fmac_f64_e32 v[84:85], 0, v[40:41]
	v_fmac_f64_e32 v[82:83], 0, v[40:41]
	;; [unrolled: 1-line block ×6, first 2 shown]
	global_load_dwordx4 v[48:51], v[92:93], off offset:48
	v_fmac_f64_e32 v[80:81], v[4:5], v[40:41]
	v_fmac_f64_e32 v[78:79], 0, v[40:41]
	v_fmac_f64_e32 v[70:71], v[6:7], v[40:41]
	v_fmac_f64_e32 v[68:69], 0, v[40:41]
	v_fmac_f64_e32 v[88:89], 0x80000000, v[42:43]
	v_fmac_f64_e32 v[86:87], 0x80000000, v[42:43]
	v_fmac_f64_e32 v[80:81], 0x80000000, v[42:43]
	v_fmac_f64_e32 v[78:79], v[4:5], v[42:43]
	v_fmac_f64_e32 v[70:71], 0x80000000, v[42:43]
	v_fmac_f64_e32 v[68:69], v[6:7], v[42:43]
	s_waitcnt vmcnt(3)
	v_fmac_f64_e32 v[88:89], v[24:25], v[44:45]
	v_fmac_f64_e32 v[84:85], 0, v[44:45]
	v_fmac_f64_e32 v[86:87], v[26:27], v[44:45]
	v_fmac_f64_e32 v[82:83], 0, v[44:45]
	v_fmac_f64_e32 v[80:81], v[16:17], v[44:45]
	v_fmac_f64_e32 v[78:79], 0, v[44:45]
	v_fmac_f64_e32 v[70:71], v[18:19], v[44:45]
	v_fmac_f64_e32 v[68:69], 0, v[44:45]
	v_fmac_f64_e32 v[88:89], 0x80000000, v[46:47]
	v_fmac_f64_e32 v[84:85], v[24:25], v[46:47]
	v_fmac_f64_e32 v[86:87], 0x80000000, v[46:47]
	v_fmac_f64_e32 v[82:83], v[26:27], v[46:47]
	v_fmac_f64_e32 v[80:81], 0x80000000, v[46:47]
	v_fmac_f64_e32 v[78:79], v[16:17], v[46:47]
	v_fmac_f64_e32 v[70:71], 0x80000000, v[46:47]
	v_fmac_f64_e32 v[68:69], v[18:19], v[46:47]
	s_waitcnt vmcnt(2)
	v_fmac_f64_e32 v[88:89], v[12:13], v[52:53]
	v_fmac_f64_e32 v[84:85], 0, v[52:53]
	v_fmac_f64_e32 v[86:87], v[14:15], v[52:53]
	v_fmac_f64_e32 v[82:83], 0, v[52:53]
	v_fmac_f64_e32 v[80:81], v[8:9], v[52:53]
	v_fmac_f64_e32 v[78:79], 0, v[52:53]
	;; [unrolled: 17-line block ×4, first 2 shown]
	v_fmac_f64_e32 v[70:71], v[2:3], v[48:49]
	v_fmac_f64_e32 v[68:69], 0, v[48:49]
	;; [unrolled: 1-line block ×10, first 2 shown]
	s_andn2_b64 exec, exec, s[12:13]
	s_cbranch_execnz .LBB147_37
; %bb.38:
	s_or_b64 exec, exec, s[12:13]
.LBB147_39:
	s_or_b64 exec, exec, s[14:15]
.LBB147_40:
	s_or_b64 exec, exec, s[10:11]
.LBB147_41:
	v_mov_b32_dpp v0, v88 row_shr:1 row_mask:0xf bank_mask:0xf
	v_mov_b32_dpp v1, v89 row_shr:1 row_mask:0xf bank_mask:0xf
	v_mov_b32_dpp v4, v84 row_shr:1 row_mask:0xf bank_mask:0xf
	v_mov_b32_dpp v5, v85 row_shr:1 row_mask:0xf bank_mask:0xf
	v_mov_b32_dpp v8, v86 row_shr:1 row_mask:0xf bank_mask:0xf
	v_mov_b32_dpp v9, v87 row_shr:1 row_mask:0xf bank_mask:0xf
	v_mov_b32_dpp v12, v82 row_shr:1 row_mask:0xf bank_mask:0xf
	v_mov_b32_dpp v13, v83 row_shr:1 row_mask:0xf bank_mask:0xf
	v_mov_b32_dpp v16, v80 row_shr:1 row_mask:0xf bank_mask:0xf
	v_mov_b32_dpp v17, v81 row_shr:1 row_mask:0xf bank_mask:0xf
	v_mov_b32_dpp v20, v78 row_shr:1 row_mask:0xf bank_mask:0xf
	v_mov_b32_dpp v21, v79 row_shr:1 row_mask:0xf bank_mask:0xf
	v_mov_b32_dpp v24, v70 row_shr:1 row_mask:0xf bank_mask:0xf
	v_mov_b32_dpp v25, v71 row_shr:1 row_mask:0xf bank_mask:0xf
	v_mov_b32_dpp v28, v68 row_shr:1 row_mask:0xf bank_mask:0xf
	v_mov_b32_dpp v29, v69 row_shr:1 row_mask:0xf bank_mask:0xf
	v_add_f64 v[0:1], v[88:89], v[0:1]
	v_add_f64 v[4:5], v[84:85], v[4:5]
	v_add_f64 v[8:9], v[86:87], v[8:9]
	v_add_f64 v[12:13], v[82:83], v[12:13]
	v_add_f64 v[16:17], v[80:81], v[16:17]
	v_add_f64 v[20:21], v[78:79], v[20:21]
	v_add_f64 v[24:25], v[70:71], v[24:25]
	v_add_f64 v[28:29], v[68:69], v[28:29]
	v_mov_b32_dpp v2, v0 row_shr:2 row_mask:0xf bank_mask:0xf
	v_mov_b32_dpp v3, v1 row_shr:2 row_mask:0xf bank_mask:0xf
	v_mov_b32_dpp v6, v4 row_shr:2 row_mask:0xf bank_mask:0xf
	v_mov_b32_dpp v7, v5 row_shr:2 row_mask:0xf bank_mask:0xf
	v_mov_b32_dpp v10, v8 row_shr:2 row_mask:0xf bank_mask:0xf
	v_mov_b32_dpp v11, v9 row_shr:2 row_mask:0xf bank_mask:0xf
	v_mov_b32_dpp v14, v12 row_shr:2 row_mask:0xf bank_mask:0xf
	v_mov_b32_dpp v15, v13 row_shr:2 row_mask:0xf bank_mask:0xf
	v_mov_b32_dpp v18, v16 row_shr:2 row_mask:0xf bank_mask:0xf
	v_mov_b32_dpp v19, v17 row_shr:2 row_mask:0xf bank_mask:0xf
	v_mov_b32_dpp v22, v20 row_shr:2 row_mask:0xf bank_mask:0xf
	v_mov_b32_dpp v23, v21 row_shr:2 row_mask:0xf bank_mask:0xf
	v_mov_b32_dpp v26, v24 row_shr:2 row_mask:0xf bank_mask:0xf
	v_mov_b32_dpp v27, v25 row_shr:2 row_mask:0xf bank_mask:0xf
	v_mov_b32_dpp v30, v28 row_shr:2 row_mask:0xf bank_mask:0xf
	v_mov_b32_dpp v31, v29 row_shr:2 row_mask:0xf bank_mask:0xf
	v_add_f64 v[0:1], v[0:1], v[2:3]
	v_add_f64 v[4:5], v[4:5], v[6:7]
	v_add_f64 v[8:9], v[8:9], v[10:11]
	v_add_f64 v[12:13], v[12:13], v[14:15]
	v_add_f64 v[16:17], v[16:17], v[18:19]
	v_add_f64 v[20:21], v[20:21], v[22:23]
	v_add_f64 v[24:25], v[24:25], v[26:27]
	v_add_f64 v[28:29], v[28:29], v[30:31]
	;; [unrolled: 24-line block ×3, first 2 shown]
	v_mov_b32_dpp v2, v0 row_shr:8 row_mask:0xf bank_mask:0xc
	v_mov_b32_dpp v3, v1 row_shr:8 row_mask:0xf bank_mask:0xc
	;; [unrolled: 1-line block ×16, first 2 shown]
	v_cmp_eq_u32_e32 vcc, 15, v66
	s_and_b64 exec, exec, vcc
	s_cbranch_execz .LBB147_12
; %bb.42:
	s_load_dwordx2 s[2:3], s[6:7], 0x68
	v_add_f64 v[32:33], v[0:1], v[2:3]
	v_add_f64 v[0:1], v[4:5], v[6:7]
	;; [unrolled: 1-line block ×8, first 2 shown]
	v_cmp_eq_f64_e32 vcc, 0, v[56:57]
	v_cmp_eq_f64_e64 s[0:1], 0, v[58:59]
	v_mul_f64 v[12:13], v[0:1], -v[62:63]
	v_mul_f64 v[14:15], v[60:61], v[0:1]
	v_mul_f64 v[8:9], v[2:3], -v[62:63]
	v_mul_f64 v[10:11], v[60:61], v[2:3]
	;; [unrolled: 2-line block ×4, first 2 shown]
	s_and_b64 s[0:1], vcc, s[0:1]
	v_fmac_f64_e32 v[12:13], v[60:61], v[32:33]
	v_fmac_f64_e32 v[14:15], v[62:63], v[32:33]
	v_lshlrev_b64 v[16:17], 6, v[64:65]
	v_fmac_f64_e32 v[8:9], v[60:61], v[34:35]
	v_fmac_f64_e32 v[10:11], v[62:63], v[34:35]
	;; [unrolled: 1-line block ×6, first 2 shown]
	s_and_saveexec_b64 s[4:5], s[0:1]
	s_xor_b64 s[0:1], exec, s[4:5]
	s_cbranch_execz .LBB147_44
; %bb.43:
	s_waitcnt lgkmcnt(0)
	v_mov_b32_e32 v18, s3
	v_add_co_u32_e32 v16, vcc, s2, v16
	v_addc_co_u32_e32 v17, vcc, v18, v17, vcc
	global_store_dwordx4 v[16:17], v[12:15], off
	global_store_dwordx4 v[16:17], v[8:11], off offset:16
	global_store_dwordx4 v[16:17], v[4:7], off offset:32
	;; [unrolled: 1-line block ×3, first 2 shown]
                                        ; implicit-def: $vgpr56_vgpr57
                                        ; implicit-def: $vgpr58_vgpr59
                                        ; implicit-def: $vgpr12_vgpr13
                                        ; implicit-def: $vgpr16_vgpr17
                                        ; implicit-def: $vgpr8_vgpr9
                                        ; implicit-def: $vgpr4_vgpr5
                                        ; implicit-def: $vgpr0_vgpr1
.LBB147_44:
	s_andn2_saveexec_b64 s[0:1], s[0:1]
	s_cbranch_execz .LBB147_12
; %bb.45:
	s_waitcnt lgkmcnt(0)
	v_mov_b32_e32 v18, s3
	v_add_co_u32_e32 v32, vcc, s2, v16
	v_addc_co_u32_e32 v33, vcc, v18, v17, vcc
	global_load_dwordx4 v[16:19], v[32:33], off
	global_load_dwordx4 v[20:23], v[32:33], off offset:16
	global_load_dwordx4 v[24:27], v[32:33], off offset:32
	;; [unrolled: 1-line block ×3, first 2 shown]
	s_waitcnt vmcnt(3)
	v_fmac_f64_e32 v[12:13], v[56:57], v[16:17]
	v_fmac_f64_e32 v[14:15], v[58:59], v[16:17]
	s_waitcnt vmcnt(2)
	v_fmac_f64_e32 v[8:9], v[56:57], v[20:21]
	v_fmac_f64_e32 v[10:11], v[58:59], v[20:21]
	;; [unrolled: 3-line block ×4, first 2 shown]
	v_fma_f64 v[12:13], -v[58:59], v[18:19], v[12:13]
	v_fmac_f64_e32 v[14:15], v[56:57], v[18:19]
	v_fma_f64 v[8:9], -v[58:59], v[22:23], v[8:9]
	v_fmac_f64_e32 v[10:11], v[56:57], v[22:23]
	v_fma_f64 v[4:5], -v[58:59], v[26:27], v[4:5]
	v_fmac_f64_e32 v[6:7], v[56:57], v[26:27]
	v_fma_f64 v[0:1], -v[58:59], v[30:31], v[0:1]
	v_fmac_f64_e32 v[2:3], v[56:57], v[30:31]
	global_store_dwordx4 v[32:33], v[12:15], off
	global_store_dwordx4 v[32:33], v[8:11], off offset:16
	global_store_dwordx4 v[32:33], v[4:7], off offset:32
	;; [unrolled: 1-line block ×3, first 2 shown]
	s_endpgm
	.section	.rodata,"a",@progbits
	.p2align	6, 0x0
	.amdhsa_kernel _ZN9rocsparseL18bsrxmvn_4x4_kernelILj128ELj16E21rocsparse_complex_numIdElldS2_S2_EEvT3_20rocsparse_direction_NS_24const_host_device_scalarIT1_EES3_PKS3_PKT2_SC_S9_PKT4_PKT5_S7_PT6_21rocsparse_index_base_b
		.amdhsa_group_segment_fixed_size 2048
		.amdhsa_private_segment_fixed_size 0
		.amdhsa_kernarg_size 120
		.amdhsa_user_sgpr_count 8
		.amdhsa_user_sgpr_private_segment_buffer 1
		.amdhsa_user_sgpr_dispatch_ptr 1
		.amdhsa_user_sgpr_queue_ptr 0
		.amdhsa_user_sgpr_kernarg_segment_ptr 1
		.amdhsa_user_sgpr_dispatch_id 0
		.amdhsa_user_sgpr_flat_scratch_init 0
		.amdhsa_user_sgpr_kernarg_preload_length 0
		.amdhsa_user_sgpr_kernarg_preload_offset 0
		.amdhsa_user_sgpr_private_segment_size 0
		.amdhsa_uses_dynamic_stack 0
		.amdhsa_system_sgpr_private_segment_wavefront_offset 0
		.amdhsa_system_sgpr_workgroup_id_x 1
		.amdhsa_system_sgpr_workgroup_id_y 0
		.amdhsa_system_sgpr_workgroup_id_z 0
		.amdhsa_system_sgpr_workgroup_info 0
		.amdhsa_system_vgpr_workitem_id 2
		.amdhsa_next_free_vgpr 110
		.amdhsa_next_free_sgpr 22
		.amdhsa_accum_offset 112
		.amdhsa_reserve_vcc 1
		.amdhsa_reserve_flat_scratch 0
		.amdhsa_float_round_mode_32 0
		.amdhsa_float_round_mode_16_64 0
		.amdhsa_float_denorm_mode_32 3
		.amdhsa_float_denorm_mode_16_64 3
		.amdhsa_dx10_clamp 1
		.amdhsa_ieee_mode 1
		.amdhsa_fp16_overflow 0
		.amdhsa_tg_split 0
		.amdhsa_exception_fp_ieee_invalid_op 0
		.amdhsa_exception_fp_denorm_src 0
		.amdhsa_exception_fp_ieee_div_zero 0
		.amdhsa_exception_fp_ieee_overflow 0
		.amdhsa_exception_fp_ieee_underflow 0
		.amdhsa_exception_fp_ieee_inexact 0
		.amdhsa_exception_int_div_zero 0
	.end_amdhsa_kernel
	.section	.text._ZN9rocsparseL18bsrxmvn_4x4_kernelILj128ELj16E21rocsparse_complex_numIdElldS2_S2_EEvT3_20rocsparse_direction_NS_24const_host_device_scalarIT1_EES3_PKS3_PKT2_SC_S9_PKT4_PKT5_S7_PT6_21rocsparse_index_base_b,"axG",@progbits,_ZN9rocsparseL18bsrxmvn_4x4_kernelILj128ELj16E21rocsparse_complex_numIdElldS2_S2_EEvT3_20rocsparse_direction_NS_24const_host_device_scalarIT1_EES3_PKS3_PKT2_SC_S9_PKT4_PKT5_S7_PT6_21rocsparse_index_base_b,comdat
.Lfunc_end147:
	.size	_ZN9rocsparseL18bsrxmvn_4x4_kernelILj128ELj16E21rocsparse_complex_numIdElldS2_S2_EEvT3_20rocsparse_direction_NS_24const_host_device_scalarIT1_EES3_PKS3_PKT2_SC_S9_PKT4_PKT5_S7_PT6_21rocsparse_index_base_b, .Lfunc_end147-_ZN9rocsparseL18bsrxmvn_4x4_kernelILj128ELj16E21rocsparse_complex_numIdElldS2_S2_EEvT3_20rocsparse_direction_NS_24const_host_device_scalarIT1_EES3_PKS3_PKT2_SC_S9_PKT4_PKT5_S7_PT6_21rocsparse_index_base_b
                                        ; -- End function
	.section	.AMDGPU.csdata,"",@progbits
; Kernel info:
; codeLenInByte = 7724
; NumSgprs: 26
; NumVgprs: 110
; NumAgprs: 0
; TotalNumVgprs: 110
; ScratchSize: 0
; MemoryBound: 0
; FloatMode: 240
; IeeeMode: 1
; LDSByteSize: 2048 bytes/workgroup (compile time only)
; SGPRBlocks: 3
; VGPRBlocks: 13
; NumSGPRsForWavesPerEU: 26
; NumVGPRsForWavesPerEU: 110
; AccumOffset: 112
; Occupancy: 4
; WaveLimiterHint : 1
; COMPUTE_PGM_RSRC2:SCRATCH_EN: 0
; COMPUTE_PGM_RSRC2:USER_SGPR: 8
; COMPUTE_PGM_RSRC2:TRAP_HANDLER: 0
; COMPUTE_PGM_RSRC2:TGID_X_EN: 1
; COMPUTE_PGM_RSRC2:TGID_Y_EN: 0
; COMPUTE_PGM_RSRC2:TGID_Z_EN: 0
; COMPUTE_PGM_RSRC2:TIDIG_COMP_CNT: 2
; COMPUTE_PGM_RSRC3_GFX90A:ACCUM_OFFSET: 27
; COMPUTE_PGM_RSRC3_GFX90A:TG_SPLIT: 0
	.section	.text._ZN9rocsparseL18bsrxmvn_4x4_kernelILj128ELj32E21rocsparse_complex_numIdElldS2_S2_EEvT3_20rocsparse_direction_NS_24const_host_device_scalarIT1_EES3_PKS3_PKT2_SC_S9_PKT4_PKT5_S7_PT6_21rocsparse_index_base_b,"axG",@progbits,_ZN9rocsparseL18bsrxmvn_4x4_kernelILj128ELj32E21rocsparse_complex_numIdElldS2_S2_EEvT3_20rocsparse_direction_NS_24const_host_device_scalarIT1_EES3_PKS3_PKT2_SC_S9_PKT4_PKT5_S7_PT6_21rocsparse_index_base_b,comdat
	.globl	_ZN9rocsparseL18bsrxmvn_4x4_kernelILj128ELj32E21rocsparse_complex_numIdElldS2_S2_EEvT3_20rocsparse_direction_NS_24const_host_device_scalarIT1_EES3_PKS3_PKT2_SC_S9_PKT4_PKT5_S7_PT6_21rocsparse_index_base_b ; -- Begin function _ZN9rocsparseL18bsrxmvn_4x4_kernelILj128ELj32E21rocsparse_complex_numIdElldS2_S2_EEvT3_20rocsparse_direction_NS_24const_host_device_scalarIT1_EES3_PKS3_PKT2_SC_S9_PKT4_PKT5_S7_PT6_21rocsparse_index_base_b
	.p2align	8
	.type	_ZN9rocsparseL18bsrxmvn_4x4_kernelILj128ELj32E21rocsparse_complex_numIdElldS2_S2_EEvT3_20rocsparse_direction_NS_24const_host_device_scalarIT1_EES3_PKS3_PKT2_SC_S9_PKT4_PKT5_S7_PT6_21rocsparse_index_base_b,@function
_ZN9rocsparseL18bsrxmvn_4x4_kernelILj128ELj32E21rocsparse_complex_numIdElldS2_S2_EEvT3_20rocsparse_direction_NS_24const_host_device_scalarIT1_EES3_PKS3_PKT2_SC_S9_PKT4_PKT5_S7_PT6_21rocsparse_index_base_b: ; @_ZN9rocsparseL18bsrxmvn_4x4_kernelILj128ELj32E21rocsparse_complex_numIdElldS2_S2_EEvT3_20rocsparse_direction_NS_24const_host_device_scalarIT1_EES3_PKS3_PKT2_SC_S9_PKT4_PKT5_S7_PT6_21rocsparse_index_base_b
; %bb.0:
	s_load_dwordx2 s[20:21], s[6:7], 0x70
	s_load_dwordx4 s[16:19], s[6:7], 0x10
	s_load_dwordx2 s[10:11], s[4:5], 0x4
	s_load_dwordx4 s[12:15], s[6:7], 0x58
	s_mov_b64 s[2:3], src_shared_base
	v_bfe_u32 v3, v0, 10, 10
	s_waitcnt lgkmcnt(0)
	s_bitcmp1_b32 s21, 0
	s_cselect_b64 s[0:1], -1, 0
	s_and_b64 vcc, s[0:1], exec
	s_cselect_b32 s2, s3, s17
	s_lshr_b32 s4, s10, 16
	v_and_b32_e32 v2, 0x3ff, v0
	s_mul_i32 s4, s4, s11
	v_mul_u32_u24_e32 v3, s11, v3
	v_mad_u32_u24 v3, s4, v2, v3
	v_bfe_u32 v0, v0, 20, 10
	v_add_lshl_u32 v0, v3, v0, 3
	v_mov_b32_e32 v1, s16
	v_add_u32_e32 v3, 0x400, v0
	v_pk_mov_b32 v[4:5], s[16:17], s[16:17] op_sel:[0,1]
	v_pk_mov_b32 v[6:7], s[12:13], s[12:13] op_sel:[0,1]
	ds_write2st64_b64 v0, v[6:7], v[4:5] offset1:2
	v_cndmask_b32_e64 v4, v1, v3, s[0:1]
	v_mov_b32_e32 v5, s2
	flat_load_dwordx2 v[48:49], v[4:5]
	s_xor_b64 s[4:5], s[0:1], -1
	v_pk_mov_b32 v[50:51], s[18:19], s[18:19] op_sel:[0,1]
	s_cbranch_vccnz .LBB148_2
; %bb.1:
	v_pk_mov_b32 v[4:5], s[16:17], s[16:17] op_sel:[0,1]
	flat_load_dwordx2 v[50:51], v[4:5] offset:8
.LBB148_2:
	s_and_b64 s[10:11], s[0:1], exec
	s_cselect_b32 s2, s3, s13
	v_mov_b32_e32 v1, s12
	v_cndmask_b32_e64 v0, v1, v0, s[0:1]
	v_mov_b32_e32 v1, s2
	flat_load_dwordx2 v[44:45], v[0:1]
	s_andn2_b64 vcc, exec, s[4:5]
	v_pk_mov_b32 v[46:47], s[14:15], s[14:15] op_sel:[0,1]
	s_cbranch_vccnz .LBB148_4
; %bb.3:
	v_pk_mov_b32 v[0:1], s[12:13], s[12:13] op_sel:[0,1]
	flat_load_dwordx2 v[46:47], v[0:1] offset:8
.LBB148_4:
	s_waitcnt vmcnt(0) lgkmcnt(0)
	v_cmp_eq_f64_e32 vcc, 0, v[48:49]
	v_cmp_eq_f64_e64 s[0:1], 0, v[50:51]
	s_and_b64 s[4:5], vcc, s[0:1]
	s_mov_b64 s[0:1], -1
	s_and_saveexec_b64 s[2:3], s[4:5]
; %bb.5:
	v_cmp_neq_f64_e32 vcc, 1.0, v[44:45]
	v_cmp_neq_f64_e64 s[0:1], 0, v[46:47]
	s_or_b64 s[0:1], vcc, s[0:1]
	s_orn2_b64 s[0:1], s[0:1], exec
; %bb.6:
	s_or_b64 exec, exec, s[2:3]
	s_and_saveexec_b64 s[2:3], s[0:1]
	s_cbranch_execz .LBB148_12
; %bb.7:
	s_load_dwordx2 s[2:3], s[6:7], 0x28
	v_lshrrev_b32_e32 v0, 5, v2
	v_lshl_or_b32 v0, s8, 2, v0
	v_mov_b32_e32 v1, 0
	s_mov_b64 s[0:1], 0
	s_waitcnt lgkmcnt(0)
	s_cmp_lg_u64 s[2:3], 0
	s_cbranch_scc0 .LBB148_13
; %bb.8:
	s_load_dwordx2 s[4:5], s[6:7], 0x20
                                        ; implicit-def: $vgpr52_vgpr53
	s_waitcnt lgkmcnt(0)
	v_cmp_gt_i64_e32 vcc, s[4:5], v[0:1]
	s_and_saveexec_b64 s[4:5], vcc
	s_xor_b64 s[8:9], exec, s[4:5]
                                        ; implicit-def: $sgpr4_sgpr5
	s_cbranch_execz .LBB148_10
; %bb.9:
	v_lshlrev_b64 v[4:5], 3, v[0:1]
	v_mov_b32_e32 v3, s3
	v_add_co_u32_e32 v4, vcc, s2, v4
	v_addc_co_u32_e32 v5, vcc, v3, v5, vcc
	global_load_dwordx2 v[4:5], v[4:5], off
	s_mov_b64 s[0:1], exec
	s_mov_b32 s5, 0
	s_waitcnt vmcnt(0)
	v_subrev_co_u32_e32 v52, vcc, s20, v4
	v_subbrev_co_u32_e32 v53, vcc, 0, v5, vcc
.LBB148_10:
	s_or_b64 exec, exec, s[8:9]
.LBB148_11:
	s_and_b64 exec, exec, s[0:1]
	s_cbranch_execnz .LBB148_17
.LBB148_12:
	s_endpgm
.LBB148_13:
                                        ; implicit-def: $vgpr52_vgpr53
                                        ; implicit-def: $sgpr4_sgpr5
	s_cbranch_execz .LBB148_11
; %bb.14:
	s_load_dwordx2 s[2:3], s[6:7], 0x0
                                        ; implicit-def: $vgpr52_vgpr53
	s_waitcnt lgkmcnt(0)
	v_cmp_gt_i64_e32 vcc, s[2:3], v[0:1]
	s_and_saveexec_b64 s[2:3], vcc
                                        ; implicit-def: $sgpr4_sgpr5
; %bb.15:
	s_mov_b32 s5, 0
	s_or_b64 s[0:1], s[0:1], exec
	v_pk_mov_b32 v[52:53], v[0:1], v[0:1] op_sel:[0,1]
; %bb.16:
	s_or_b64 exec, exec, s[2:3]
	s_and_b64 exec, exec, s[0:1]
	s_cbranch_execz .LBB148_12
.LBB148_17:
	s_load_dwordx8 s[8:15], s[6:7], 0x30
	v_lshlrev_b64 v[0:1], 3, v[52:53]
	v_and_b32_e32 v54, 31, v2
	v_mov_b32_e32 v2, s5
	s_waitcnt lgkmcnt(0)
	v_mov_b32_e32 v3, s9
	v_add_co_u32_e32 v4, vcc, s8, v0
	v_addc_co_u32_e32 v5, vcc, v3, v1, vcc
	v_add_co_u32_e32 v3, vcc, 8, v4
	global_load_dwordx2 v[16:17], v[4:5], off
	v_addc_co_u32_e32 v4, vcc, 0, v5, vcc
	v_mov_b32_e32 v5, s11
	v_add_co_u32_e32 v0, vcc, s10, v0
	s_cmp_eq_u64 s[10:11], 0
	v_addc_co_u32_e32 v1, vcc, v5, v1, vcc
	s_cselect_b64 vcc, -1, 0
	v_cndmask_b32_e32 v1, v1, v4, vcc
	v_cndmask_b32_e32 v0, v0, v3, vcc
	global_load_dwordx2 v[0:1], v[0:1], off
	s_load_dword s0, s[6:7], 0x8
	s_load_dwordx2 s[10:11], s[6:7], 0x50
	v_mov_b32_e32 v3, s15
	s_waitcnt lgkmcnt(0)
	s_cmp_eq_u32 s0, 1
	s_waitcnt vmcnt(1)
	v_subrev_co_u32_e32 v4, vcc, s20, v16
	v_subb_co_u32_e32 v5, vcc, v17, v2, vcc
	v_add_co_u32_e32 v62, vcc, v4, v54
	v_addc_co_u32_e32 v63, vcc, 0, v5, vcc
	s_waitcnt vmcnt(0)
	v_subrev_co_u32_e32 v64, vcc, s20, v0
	v_subb_co_u32_e32 v65, vcc, v1, v2, vcc
	v_lshlrev_b64 v[0:1], 7, v[62:63]
	v_add_co_u32_e32 v66, vcc, s14, v0
	v_addc_co_u32_e32 v67, vcc, v3, v1, vcc
	v_cmp_lt_i64_e64 s[0:1], v[62:63], v[64:65]
	s_cbranch_scc1 .LBB148_29
; %bb.18:
	v_pk_mov_b32 v[72:73], 0, 0
	s_mov_b64 s[8:9], 0
	v_pk_mov_b32 v[76:77], v[72:73], v[72:73] op_sel:[0,1]
	v_pk_mov_b32 v[70:71], v[72:73], v[72:73] op_sel:[0,1]
	;; [unrolled: 1-line block ×7, first 2 shown]
	s_and_saveexec_b64 s[14:15], s[0:1]
	s_cbranch_execz .LBB148_28
; %bb.19:
	v_or_b32_e32 v0, 32, v54
	v_mov_b32_e32 v1, s5
	v_subrev_co_u32_e32 v0, vcc, s20, v0
	v_subb_co_u32_e32 v1, vcc, 0, v1, vcc
	v_add_co_u32_e32 v0, vcc, v0, v16
	v_addc_co_u32_e32 v1, vcc, v1, v17, vcc
	v_cmp_gt_i64_e32 vcc, v[0:1], v[64:65]
	v_cndmask_b32_e32 v1, v65, v1, vcc
	v_cndmask_b32_e32 v0, v64, v0, vcc
	v_mov_b32_e32 v4, s5
	v_sub_co_u32_e32 v5, vcc, s20, v54
	v_not_b32_e32 v3, v16
	v_subbrev_co_u32_e32 v4, vcc, 0, v4, vcc
	v_not_b32_e32 v2, v17
	v_add_co_u32_e32 v3, vcc, v5, v3
	v_addc_co_u32_e32 v2, vcc, v4, v2, vcc
	v_add_co_u32_e32 v22, vcc, v3, v0
	v_lshrrev_b32_e32 v0, 5, v22
	v_add_u32_e32 v0, 1, v0
	v_addc_co_u32_e32 v23, vcc, v2, v1, vcc
	v_and_b32_e32 v0, 3, v0
	v_pk_mov_b32 v[58:59], 0, 0
	v_cmp_ne_u32_e32 vcc, 0, v0
	s_mov_b64 s[18:19], 0
	v_pk_mov_b32 v[56:57], v[58:59], v[58:59] op_sel:[0,1]
	v_pk_mov_b32 v[68:69], v[58:59], v[58:59] op_sel:[0,1]
	;; [unrolled: 1-line block ×9, first 2 shown]
	s_and_saveexec_b64 s[16:17], vcc
	s_cbranch_execz .LBB148_23
; %bb.20:
	v_lshlrev_b64 v[2:3], 3, v[62:63]
	v_mov_b32_e32 v1, s13
	v_add_co_u32_e32 v26, vcc, s12, v2
	v_pk_mov_b32 v[72:73], 0, 0
	v_mov_b32_e32 v25, 0
	v_addc_co_u32_e32 v27, vcc, v1, v3, vcc
	v_lshlrev_b32_e32 v24, 3, v0
	s_movk_i32 s4, 0x1000
	v_mov_b32_e32 v30, s5
	v_mov_b32_e32 v31, s11
	v_pk_mov_b32 v[20:21], v[62:63], v[62:63] op_sel:[0,1]
	v_pk_mov_b32 v[18:19], v[66:67], v[66:67] op_sel:[0,1]
	;; [unrolled: 1-line block ×9, first 2 shown]
.LBB148_21:                             ; =>This Inner Loop Header: Depth=1
	global_load_dwordx2 v[28:29], v[26:27], off
	global_load_dwordx4 v[0:3], v[18:19], off offset:48
	global_load_dwordx4 v[8:11], v[18:19], off offset:32
	;; [unrolled: 1-line block ×3, first 2 shown]
	global_load_dwordx4 v[12:15], v[18:19], off
	global_load_dwordx4 v[32:35], v[18:19], off offset:112
	global_load_dwordx4 v[36:39], v[18:19], off offset:96
	;; [unrolled: 1-line block ×4, first 2 shown]
	v_add_co_u32_e32 v18, vcc, s4, v18
	v_addc_co_u32_e32 v19, vcc, 0, v19, vcc
	v_add_co_u32_e32 v26, vcc, 0x100, v26
	v_addc_co_u32_e32 v27, vcc, 0, v27, vcc
	s_waitcnt vmcnt(8)
	v_subrev_co_u32_e64 v28, s[2:3], s20, v28
	v_subb_co_u32_e64 v29, s[2:3], v29, v30, s[2:3]
	v_lshlrev_b64 v[28:29], 6, v[28:29]
	v_add_co_u32_e64 v28, s[2:3], s10, v28
	v_addc_co_u32_e64 v29, s[2:3], v31, v29, s[2:3]
	global_load_dwordx4 v[82:85], v[28:29], off
	global_load_dwordx4 v[86:89], v[28:29], off offset:16
	global_load_dwordx4 v[90:93], v[28:29], off offset:32
	;; [unrolled: 1-line block ×3, first 2 shown]
	v_add_co_u32_e64 v20, s[2:3], 32, v20
	v_addc_co_u32_e64 v21, s[2:3], 0, v21, s[2:3]
	v_add_co_u32_e64 v24, s[2:3], -8, v24
	v_addc_co_u32_e64 v25, s[2:3], -1, v25, s[2:3]
	v_cmp_eq_u64_e64 s[2:3], 0, v[24:25]
	s_or_b64 s[18:19], s[2:3], s[18:19]
	s_waitcnt vmcnt(3)
	v_fmac_f64_e32 v[76:77], v[12:13], v[82:83]
	v_fmac_f64_e32 v[72:73], 0, v[82:83]
	v_fmac_f64_e32 v[74:75], v[8:9], v[82:83]
	v_fmac_f64_e32 v[70:71], 0, v[82:83]
	v_fmac_f64_e32 v[68:69], v[40:41], v[82:83]
	v_fmac_f64_e32 v[60:61], 0, v[82:83]
	v_fmac_f64_e32 v[58:59], v[36:37], v[82:83]
	v_fmac_f64_e32 v[56:57], 0, v[82:83]
	v_fmac_f64_e32 v[76:77], 0x80000000, v[84:85]
	v_fmac_f64_e32 v[72:73], v[12:13], v[84:85]
	v_fmac_f64_e32 v[74:75], 0x80000000, v[84:85]
	v_fmac_f64_e32 v[70:71], v[8:9], v[84:85]
	v_fmac_f64_e32 v[68:69], 0x80000000, v[84:85]
	v_fmac_f64_e32 v[60:61], v[40:41], v[84:85]
	v_fmac_f64_e32 v[58:59], 0x80000000, v[84:85]
	v_fmac_f64_e32 v[56:57], v[36:37], v[84:85]
	s_waitcnt vmcnt(2)
	v_fmac_f64_e32 v[76:77], v[14:15], v[86:87]
	v_fmac_f64_e32 v[72:73], 0, v[86:87]
	v_fmac_f64_e32 v[74:75], v[10:11], v[86:87]
	v_fmac_f64_e32 v[70:71], 0, v[86:87]
	v_fmac_f64_e32 v[68:69], v[42:43], v[86:87]
	v_fmac_f64_e32 v[60:61], 0, v[86:87]
	v_fmac_f64_e32 v[58:59], v[38:39], v[86:87]
	v_fmac_f64_e32 v[56:57], 0, v[86:87]
	v_fmac_f64_e32 v[72:73], v[14:15], v[88:89]
	v_fmac_f64_e32 v[70:71], v[10:11], v[88:89]
	v_fmac_f64_e32 v[60:61], v[42:43], v[88:89]
	v_fmac_f64_e32 v[76:77], 0x80000000, v[88:89]
	v_fmac_f64_e32 v[74:75], 0x80000000, v[88:89]
	v_fmac_f64_e32 v[68:69], 0x80000000, v[88:89]
	v_fmac_f64_e32 v[58:59], 0x80000000, v[88:89]
	v_fmac_f64_e32 v[56:57], v[38:39], v[88:89]
	;; [unrolled: 17-line block ×4, first 2 shown]
	s_andn2_b64 exec, exec, s[18:19]
	s_cbranch_execnz .LBB148_21
; %bb.22:
	s_or_b64 exec, exec, s[18:19]
.LBB148_23:
	s_or_b64 exec, exec, s[16:17]
	s_mov_b64 s[2:3], 0x5f
	v_cmp_lt_u64_e32 vcc, s[2:3], v[22:23]
	s_and_saveexec_b64 s[16:17], vcc
	s_cbranch_execz .LBB148_27
; %bb.24:
	v_lshlrev_b64 v[0:1], 3, v[20:21]
	v_mov_b32_e32 v2, s13
	v_add_co_u32_e32 v0, vcc, s12, v0
	v_addc_co_u32_e32 v1, vcc, v1, v2, vcc
	v_add_co_u32_e32 v0, vcc, 0x200, v0
	v_addc_co_u32_e32 v1, vcc, 0, v1, vcc
	s_mov_b64 s[18:19], 0
	v_mov_b32_e32 v4, s5
	v_mov_b32_e32 v5, s11
	s_movk_i32 s4, 0x1000
	s_movk_i32 s21, 0x2000
	;; [unrolled: 1-line block ×3, first 2 shown]
.LBB148_25:                             ; =>This Inner Loop Header: Depth=1
	global_load_dwordx2 v[2:3], v[0:1], off offset:-512
	global_load_dwordx4 v[6:9], v[18:19], off offset:48
	global_load_dwordx4 v[10:13], v[18:19], off offset:32
	;; [unrolled: 1-line block ×3, first 2 shown]
	global_load_dwordx4 v[26:29], v[18:19], off
	s_waitcnt vmcnt(4)
	v_subrev_co_u32_e32 v2, vcc, s20, v2
	v_subb_co_u32_e32 v3, vcc, v3, v4, vcc
	v_lshlrev_b64 v[2:3], 6, v[2:3]
	v_add_co_u32_e32 v2, vcc, s10, v2
	v_addc_co_u32_e32 v3, vcc, v5, v3, vcc
	global_load_dwordx4 v[30:33], v[2:3], off offset:48
	global_load_dwordx4 v[34:37], v[2:3], off offset:32
	;; [unrolled: 1-line block ×3, first 2 shown]
	global_load_dwordx4 v[78:81], v[2:3], off
	v_add_co_u32_e32 v14, vcc, s4, v18
	v_addc_co_u32_e32 v15, vcc, 0, v19, vcc
	s_waitcnt vmcnt(0)
	v_fmac_f64_e32 v[72:73], 0, v[78:79]
	v_fmac_f64_e32 v[70:71], 0, v[78:79]
	;; [unrolled: 1-line block ×30, first 2 shown]
	global_load_dwordx4 v[6:9], v[18:19], off offset:112
	global_load_dwordx4 v[10:13], v[18:19], off offset:96
	;; [unrolled: 1-line block ×4, first 2 shown]
	global_load_dwordx2 v[2:3], v[0:1], off offset:-256
	v_fmac_f64_e32 v[60:61], 0, v[78:79]
	v_fmac_f64_e32 v[56:57], 0, v[78:79]
	;; [unrolled: 1-line block ×4, first 2 shown]
	s_waitcnt vmcnt(3)
	v_fmac_f64_e32 v[58:59], v[10:11], v[78:79]
	v_fmac_f64_e32 v[58:59], 0x80000000, v[80:81]
	s_waitcnt vmcnt(1)
	v_fmac_f64_e32 v[68:69], v[26:27], v[78:79]
	v_fmac_f64_e32 v[68:69], 0x80000000, v[80:81]
	;; [unrolled: 1-line block ×24, first 2 shown]
	s_waitcnt vmcnt(0)
	v_subrev_co_u32_e32 v30, vcc, s20, v2
	v_subb_co_u32_e32 v31, vcc, v3, v4, vcc
	v_add_co_u32_e32 v2, vcc, s21, v18
	v_addc_co_u32_e32 v3, vcc, 0, v19, vcc
	v_lshlrev_b64 v[30:31], 6, v[30:31]
	v_add_co_u32_e32 v42, vcc, s10, v30
	v_addc_co_u32_e32 v43, vcc, v5, v31, vcc
	v_fmac_f64_e32 v[68:69], 0x80000000, v[32:33]
	v_fmac_f64_e32 v[60:61], v[24:25], v[32:33]
	;; [unrolled: 1-line block ×4, first 2 shown]
	global_load_dwordx4 v[6:9], v[2:3], off offset:-4096
	global_load_dwordx4 v[10:13], v[14:15], off offset:48
	global_load_dwordx4 v[22:25], v[14:15], off offset:32
	;; [unrolled: 1-line block ×6, first 2 shown]
	global_load_dwordx4 v[78:81], v[42:43], off
	s_waitcnt vmcnt(0)
	v_fmac_f64_e32 v[72:73], 0, v[78:79]
	v_fmac_f64_e32 v[70:71], 0, v[78:79]
	;; [unrolled: 1-line block ×30, first 2 shown]
	global_load_dwordx4 v[6:9], v[14:15], off offset:112
	global_load_dwordx4 v[10:13], v[14:15], off offset:96
	;; [unrolled: 1-line block ×4, first 2 shown]
	v_fmac_f64_e32 v[56:57], 0, v[78:79]
	v_fmac_f64_e32 v[60:61], 0, v[78:79]
	v_fmac_f64_e32 v[76:77], 0x80000000, v[32:33]
	v_fmac_f64_e32 v[74:75], 0x80000000, v[32:33]
	s_waitcnt vmcnt(2)
	v_fmac_f64_e32 v[58:59], v[10:11], v[78:79]
	v_fmac_f64_e32 v[56:57], v[10:11], v[80:81]
	;; [unrolled: 1-line block ×10, first 2 shown]
	global_load_dwordx2 v[6:7], v[0:1], off
	s_waitcnt vmcnt(1)
	v_fmac_f64_e32 v[68:69], v[26:27], v[78:79]
	v_fmac_f64_e32 v[68:69], 0x80000000, v[80:81]
	;; [unrolled: 1-line block ×20, first 2 shown]
	s_waitcnt vmcnt(0)
	v_subrev_co_u32_e32 v14, vcc, s20, v6
	v_subb_co_u32_e32 v15, vcc, v7, v4, vcc
	v_lshlrev_b64 v[14:15], 6, v[14:15]
	v_add_co_u32_e32 v14, vcc, s10, v14
	v_addc_co_u32_e32 v15, vcc, v5, v15, vcc
	global_load_dwordx4 v[6:9], v[2:3], off
	global_load_dwordx4 v[10:13], v[2:3], off offset:48
	global_load_dwordx4 v[22:25], v[2:3], off offset:32
	;; [unrolled: 1-line block ×6, first 2 shown]
	global_load_dwordx4 v[78:81], v[14:15], off
	s_waitcnt vmcnt(0)
	v_fmac_f64_e32 v[72:73], 0, v[78:79]
	v_fmac_f64_e32 v[70:71], 0, v[78:79]
	;; [unrolled: 1-line block ×30, first 2 shown]
	global_load_dwordx4 v[6:9], v[2:3], off offset:112
	global_load_dwordx4 v[10:13], v[2:3], off offset:96
	;; [unrolled: 1-line block ×4, first 2 shown]
	v_fmac_f64_e32 v[60:61], 0, v[78:79]
	global_load_dwordx2 v[2:3], v[0:1], off offset:256
	v_fmac_f64_e32 v[56:57], 0, v[78:79]
	v_fmac_f64_e32 v[76:77], 0x80000000, v[32:33]
	;; [unrolled: 1-line block ×3, first 2 shown]
	s_waitcnt vmcnt(3)
	v_fmac_f64_e32 v[58:59], v[10:11], v[78:79]
	v_fmac_f64_e32 v[58:59], 0x80000000, v[80:81]
	s_waitcnt vmcnt(1)
	v_fmac_f64_e32 v[68:69], v[26:27], v[78:79]
	v_fmac_f64_e32 v[68:69], 0x80000000, v[80:81]
	;; [unrolled: 1-line block ×4, first 2 shown]
	s_waitcnt vmcnt(0)
	v_subrev_co_u32_e32 v2, vcc, s20, v2
	v_fmac_f64_e32 v[68:69], v[28:29], v[38:39]
	v_fmac_f64_e32 v[60:61], 0, v[38:39]
	;; [unrolled: 1-line block ×4, first 2 shown]
	v_subb_co_u32_e32 v3, vcc, v3, v4, vcc
	v_fmac_f64_e32 v[68:69], 0x80000000, v[40:41]
	v_fmac_f64_e32 v[60:61], v[28:29], v[40:41]
	;; [unrolled: 1-line block ×4, first 2 shown]
	v_add_co_u32_e32 v14, vcc, s22, v18
	v_fmac_f64_e32 v[68:69], v[22:23], v[34:35]
	v_fmac_f64_e32 v[60:61], 0, v[34:35]
	;; [unrolled: 1-line block ×4, first 2 shown]
	v_addc_co_u32_e32 v15, vcc, 0, v19, vcc
	v_lshlrev_b64 v[2:3], 6, v[2:3]
	v_fmac_f64_e32 v[68:69], 0x80000000, v[36:37]
	v_fmac_f64_e32 v[60:61], v[22:23], v[36:37]
	;; [unrolled: 1-line block ×4, first 2 shown]
	v_add_co_u32_e32 v2, vcc, s10, v2
	v_fmac_f64_e32 v[68:69], v[24:25], v[30:31]
	v_fmac_f64_e32 v[60:61], 0, v[30:31]
	;; [unrolled: 1-line block ×4, first 2 shown]
	v_addc_co_u32_e32 v3, vcc, v5, v3, vcc
	v_fmac_f64_e32 v[68:69], 0x80000000, v[32:33]
	v_fmac_f64_e32 v[60:61], v[24:25], v[32:33]
	;; [unrolled: 1-line block ×4, first 2 shown]
	global_load_dwordx4 v[6:9], v[14:15], off
	global_load_dwordx4 v[10:13], v[14:15], off offset:48
	global_load_dwordx4 v[22:25], v[14:15], off offset:32
	;; [unrolled: 1-line block ×6, first 2 shown]
	global_load_dwordx4 v[78:81], v[2:3], off
	v_add_co_u32_e32 v20, vcc, 0x80, v20
	v_addc_co_u32_e32 v21, vcc, 0, v21, vcc
	v_add_co_u32_e32 v0, vcc, 0x400, v0
	v_addc_co_u32_e32 v1, vcc, 0, v1, vcc
	v_cmp_ge_i64_e64 s[2:3], v[20:21], v[64:65]
	v_add_co_u32_e32 v18, vcc, 0x4000, v18
	v_addc_co_u32_e32 v19, vcc, 0, v19, vcc
	s_or_b64 s[18:19], s[2:3], s[18:19]
	s_waitcnt vmcnt(0)
	v_fmac_f64_e32 v[72:73], 0, v[78:79]
	v_fmac_f64_e32 v[70:71], 0, v[78:79]
	;; [unrolled: 1-line block ×30, first 2 shown]
	global_load_dwordx4 v[6:9], v[14:15], off offset:112
	global_load_dwordx4 v[10:13], v[14:15], off offset:96
	;; [unrolled: 1-line block ×4, first 2 shown]
	v_fmac_f64_e32 v[60:61], 0, v[78:79]
	v_fmac_f64_e32 v[56:57], 0, v[78:79]
	;; [unrolled: 1-line block ×4, first 2 shown]
	s_waitcnt vmcnt(2)
	v_fmac_f64_e32 v[58:59], v[10:11], v[78:79]
	v_fmac_f64_e32 v[58:59], 0x80000000, v[80:81]
	s_waitcnt vmcnt(0)
	v_fmac_f64_e32 v[68:69], v[26:27], v[78:79]
	v_fmac_f64_e32 v[68:69], 0x80000000, v[80:81]
	;; [unrolled: 1-line block ×28, first 2 shown]
	s_andn2_b64 exec, exec, s[18:19]
	s_cbranch_execnz .LBB148_25
; %bb.26:
	s_or_b64 exec, exec, s[18:19]
.LBB148_27:
	s_or_b64 exec, exec, s[16:17]
.LBB148_28:
	s_or_b64 exec, exec, s[14:15]
	s_andn2_b64 vcc, exec, s[8:9]
	s_cbranch_vccz .LBB148_30
	s_branch .LBB148_41
.LBB148_29:
                                        ; implicit-def: $vgpr72_vgpr73
                                        ; implicit-def: $vgpr76_vgpr77
                                        ; implicit-def: $vgpr70_vgpr71
                                        ; implicit-def: $vgpr74_vgpr75
                                        ; implicit-def: $vgpr60_vgpr61
                                        ; implicit-def: $vgpr68_vgpr69
                                        ; implicit-def: $vgpr56_vgpr57
                                        ; implicit-def: $vgpr58_vgpr59
.LBB148_30:
	v_pk_mov_b32 v[72:73], 0, 0
	v_pk_mov_b32 v[76:77], v[72:73], v[72:73] op_sel:[0,1]
	v_pk_mov_b32 v[70:71], v[72:73], v[72:73] op_sel:[0,1]
	;; [unrolled: 1-line block ×7, first 2 shown]
	s_and_saveexec_b64 s[14:15], s[0:1]
	s_cbranch_execz .LBB148_40
; %bb.31:
	v_or_b32_e32 v0, 32, v54
	v_mov_b32_e32 v1, s5
	v_subrev_co_u32_e32 v0, vcc, s20, v0
	v_subb_co_u32_e32 v1, vcc, 0, v1, vcc
	v_add_co_u32_e32 v0, vcc, v0, v16
	v_addc_co_u32_e32 v1, vcc, v1, v17, vcc
	v_cmp_gt_i64_e32 vcc, v[0:1], v[64:65]
	v_cndmask_b32_e32 v1, v65, v1, vcc
	v_cndmask_b32_e32 v0, v64, v0, vcc
	v_mov_b32_e32 v4, s5
	v_sub_co_u32_e32 v5, vcc, s20, v54
	v_not_b32_e32 v3, v16
	v_subbrev_co_u32_e32 v4, vcc, 0, v4, vcc
	v_not_b32_e32 v2, v17
	v_add_co_u32_e32 v3, vcc, v5, v3
	v_addc_co_u32_e32 v2, vcc, v4, v2, vcc
	v_add_co_u32_e32 v16, vcc, v3, v0
	v_lshrrev_b32_e32 v0, 5, v16
	v_add_u32_e32 v0, 1, v0
	v_addc_co_u32_e32 v17, vcc, v2, v1, vcc
	v_and_b32_e32 v0, 3, v0
	v_pk_mov_b32 v[58:59], 0, 0
	v_cmp_ne_u32_e32 vcc, 0, v0
	s_mov_b64 s[8:9], 0
	v_pk_mov_b32 v[56:57], v[58:59], v[58:59] op_sel:[0,1]
	v_pk_mov_b32 v[68:69], v[58:59], v[58:59] op_sel:[0,1]
	;; [unrolled: 1-line block ×7, first 2 shown]
	s_and_saveexec_b64 s[2:3], vcc
	s_cbranch_execz .LBB148_35
; %bb.32:
	v_lshlrev_b64 v[2:3], 3, v[62:63]
	v_mov_b32_e32 v1, s13
	v_add_co_u32_e32 v20, vcc, s12, v2
	v_pk_mov_b32 v[72:73], 0, 0
	v_mov_b32_e32 v19, 0
	v_addc_co_u32_e32 v21, vcc, v1, v3, vcc
	v_lshlrev_b32_e32 v18, 3, v0
	s_movk_i32 s4, 0x1000
	v_mov_b32_e32 v22, s5
	v_mov_b32_e32 v23, s11
	v_pk_mov_b32 v[76:77], v[72:73], v[72:73] op_sel:[0,1]
	v_pk_mov_b32 v[70:71], v[72:73], v[72:73] op_sel:[0,1]
	;; [unrolled: 1-line block ×7, first 2 shown]
.LBB148_33:                             ; =>This Inner Loop Header: Depth=1
	global_load_dwordx2 v[40:41], v[20:21], off
	global_load_dwordx4 v[0:3], v[66:67], off offset:48
	global_load_dwordx4 v[4:7], v[66:67], off offset:32
	;; [unrolled: 1-line block ×3, first 2 shown]
	global_load_dwordx4 v[12:15], v[66:67], off
	global_load_dwordx4 v[24:27], v[66:67], off offset:112
	global_load_dwordx4 v[28:31], v[66:67], off offset:96
	;; [unrolled: 1-line block ×4, first 2 shown]
	v_add_co_u32_e64 v62, s[0:1], 32, v62
	v_addc_co_u32_e64 v63, s[0:1], 0, v63, s[0:1]
	v_add_co_u32_e64 v18, s[0:1], -8, v18
	v_addc_co_u32_e64 v19, s[0:1], -1, v19, s[0:1]
	v_cmp_eq_u64_e64 s[0:1], 0, v[18:19]
	s_or_b64 s[8:9], s[0:1], s[8:9]
	s_waitcnt vmcnt(8)
	v_subrev_co_u32_e32 v40, vcc, s20, v40
	v_subb_co_u32_e32 v41, vcc, v41, v22, vcc
	v_lshlrev_b64 v[40:41], 6, v[40:41]
	v_add_co_u32_e32 v90, vcc, s10, v40
	v_addc_co_u32_e32 v91, vcc, v23, v41, vcc
	global_load_dwordx4 v[40:43], v[90:91], off
	global_load_dwordx4 v[78:81], v[90:91], off offset:16
	global_load_dwordx4 v[82:85], v[90:91], off offset:32
	;; [unrolled: 1-line block ×3, first 2 shown]
	v_add_co_u32_e32 v66, vcc, s4, v66
	v_addc_co_u32_e32 v67, vcc, 0, v67, vcc
	v_add_co_u32_e32 v20, vcc, 0x100, v20
	v_addc_co_u32_e32 v21, vcc, 0, v21, vcc
	s_waitcnt vmcnt(3)
	v_fmac_f64_e32 v[76:77], v[12:13], v[40:41]
	v_fmac_f64_e32 v[72:73], 0, v[40:41]
	v_fmac_f64_e32 v[74:75], v[14:15], v[40:41]
	v_fmac_f64_e32 v[70:71], 0, v[40:41]
	v_fmac_f64_e32 v[68:69], v[8:9], v[40:41]
	v_fmac_f64_e32 v[60:61], 0, v[40:41]
	v_fmac_f64_e32 v[58:59], v[10:11], v[40:41]
	v_fmac_f64_e32 v[56:57], 0, v[40:41]
	v_fmac_f64_e32 v[76:77], 0x80000000, v[42:43]
	v_fmac_f64_e32 v[72:73], v[12:13], v[42:43]
	v_fmac_f64_e32 v[74:75], 0x80000000, v[42:43]
	v_fmac_f64_e32 v[70:71], v[14:15], v[42:43]
	v_fmac_f64_e32 v[68:69], 0x80000000, v[42:43]
	v_fmac_f64_e32 v[60:61], v[8:9], v[42:43]
	v_fmac_f64_e32 v[58:59], 0x80000000, v[42:43]
	v_fmac_f64_e32 v[56:57], v[10:11], v[42:43]
	s_waitcnt vmcnt(2)
	v_fmac_f64_e32 v[76:77], v[4:5], v[78:79]
	v_fmac_f64_e32 v[72:73], 0, v[78:79]
	v_fmac_f64_e32 v[74:75], v[6:7], v[78:79]
	v_fmac_f64_e32 v[70:71], 0, v[78:79]
	v_fmac_f64_e32 v[68:69], v[0:1], v[78:79]
	v_fmac_f64_e32 v[60:61], 0, v[78:79]
	v_fmac_f64_e32 v[58:59], v[2:3], v[78:79]
	v_fmac_f64_e32 v[56:57], 0, v[78:79]
	v_fmac_f64_e32 v[76:77], 0x80000000, v[80:81]
	v_fmac_f64_e32 v[72:73], v[4:5], v[80:81]
	v_fmac_f64_e32 v[74:75], 0x80000000, v[80:81]
	v_fmac_f64_e32 v[70:71], v[6:7], v[80:81]
	v_fmac_f64_e32 v[68:69], 0x80000000, v[80:81]
	v_fmac_f64_e32 v[60:61], v[0:1], v[80:81]
	v_fmac_f64_e32 v[58:59], 0x80000000, v[80:81]
	v_fmac_f64_e32 v[56:57], v[2:3], v[80:81]
	;; [unrolled: 17-line block ×4, first 2 shown]
	s_andn2_b64 exec, exec, s[8:9]
	s_cbranch_execnz .LBB148_33
; %bb.34:
	s_or_b64 exec, exec, s[8:9]
.LBB148_35:
	s_or_b64 exec, exec, s[2:3]
	s_mov_b64 s[0:1], 0x5f
	v_cmp_lt_u64_e32 vcc, s[0:1], v[16:17]
	s_and_saveexec_b64 s[16:17], vcc
	s_cbranch_execz .LBB148_39
; %bb.36:
	v_lshlrev_b64 v[0:1], 3, v[62:63]
	v_mov_b32_e32 v2, s13
	v_add_co_u32_e32 v0, vcc, s12, v0
	v_addc_co_u32_e32 v1, vcc, v1, v2, vcc
	v_add_co_u32_e32 v78, vcc, 0x200, v0
	v_addc_co_u32_e32 v79, vcc, 0, v1, vcc
	s_mov_b64 s[12:13], 0
	v_mov_b32_e32 v55, s5
	v_mov_b32_e32 v88, s11
	s_movk_i32 s11, 0x1000
	s_movk_i32 s18, 0x2000
	;; [unrolled: 1-line block ×3, first 2 shown]
.LBB148_37:                             ; =>This Inner Loop Header: Depth=1
	global_load_dwordx2 v[32:33], v[78:79], off offset:-512
	global_load_dwordx4 v[0:3], v[66:67], off offset:32
	global_load_dwordx4 v[4:7], v[66:67], off offset:16
	global_load_dwordx4 v[12:15], v[66:67], off
	global_load_dwordx4 v[8:11], v[66:67], off offset:112
	global_load_dwordx4 v[16:19], v[66:67], off offset:96
	;; [unrolled: 1-line block ×5, first 2 shown]
	v_add_co_u32_e64 v36, s[2:3], s11, v66
	v_add_co_u32_e64 v80, s[0:1], s18, v66
	;; [unrolled: 1-line block ×3, first 2 shown]
	v_add_co_u32_e32 v62, vcc, 0x80, v62
	s_mov_b64 s[4:5], vcc
	v_addc_co_u32_e64 v37, vcc, 0, v67, s[2:3]
	v_addc_co_u32_e64 v81, vcc, 0, v67, s[0:1]
	;; [unrolled: 1-line block ×3, first 2 shown]
	global_load_dwordx2 v[38:39], v[78:79], off offset:-256
	global_load_dwordx2 v[82:83], v[78:79], off
	global_load_dwordx2 v[84:85], v[78:79], off offset:256
	v_add_co_u32_e32 v78, vcc, 0x400, v78
	s_mov_b64 s[0:1], vcc
	global_load_dwordx4 v[90:93], v[36:37], off offset:32
	global_load_dwordx4 v[94:97], v[36:37], off offset:16
	v_addc_co_u32_e64 v79, s[0:1], 0, v79, s[0:1]
	s_waitcnt vmcnt(13)
	v_subrev_co_u32_e32 v32, vcc, s20, v32
	v_subb_co_u32_e32 v33, vcc, v33, v55, vcc
	v_lshlrev_b64 v[32:33], 6, v[32:33]
	v_add_co_u32_e32 v98, vcc, s10, v32
	v_addc_co_u32_e32 v99, vcc, v88, v33, vcc
	global_load_dwordx4 v[40:43], v[98:99], off
	global_load_dwordx4 v[32:35], v[36:37], off offset:112
	s_waitcnt vmcnt(1)
	v_fmac_f64_e32 v[76:77], v[12:13], v[40:41]
	v_fmac_f64_e32 v[72:73], 0, v[40:41]
	;; [unrolled: 1-line block ×16, first 2 shown]
	global_load_dwordx4 v[40:43], v[98:99], off offset:16
	global_load_dwordx4 v[12:15], v[36:37], off offset:96
	;; [unrolled: 1-line block ×3, first 2 shown]
	s_waitcnt vmcnt(2)
	v_fmac_f64_e32 v[60:61], 0, v[40:41]
	v_fmac_f64_e32 v[56:57], 0, v[40:41]
	;; [unrolled: 1-line block ×6, first 2 shown]
	global_load_dwordx4 v[28:31], v[98:99], off offset:32
	v_fmac_f64_e32 v[76:77], v[0:1], v[40:41]
	v_fmac_f64_e32 v[72:73], 0, v[40:41]
	v_fmac_f64_e32 v[74:75], v[2:3], v[40:41]
	v_fmac_f64_e32 v[70:71], 0, v[40:41]
	v_fmac_f64_e32 v[72:73], v[0:1], v[42:43]
	v_fmac_f64_e32 v[70:71], v[2:3], v[42:43]
	v_fmac_f64_e32 v[76:77], 0x80000000, v[42:43]
	v_fmac_f64_e32 v[74:75], 0x80000000, v[42:43]
	v_fmac_f64_e32 v[68:69], 0x80000000, v[42:43]
	v_fmac_f64_e32 v[58:59], 0x80000000, v[42:43]
	global_load_dwordx4 v[0:3], v[36:37], off offset:80
	global_load_dwordx4 v[40:43], v[80:81], off offset:32
	s_waitcnt vmcnt(2)
	v_fmac_f64_e32 v[76:77], v[24:25], v[28:29]
	v_fmac_f64_e32 v[72:73], 0, v[28:29]
	;; [unrolled: 1-line block ×10, first 2 shown]
	global_load_dwordx4 v[24:27], v[36:37], off offset:48
	v_fmac_f64_e32 v[60:61], v[20:21], v[30:31]
	v_fmac_f64_e32 v[56:57], v[22:23], v[30:31]
	global_load_dwordx4 v[20:23], v[36:37], off offset:64
	v_fmac_f64_e32 v[76:77], 0x80000000, v[30:31]
	v_fmac_f64_e32 v[74:75], 0x80000000, v[30:31]
	;; [unrolled: 1-line block ×4, first 2 shown]
	global_load_dwordx4 v[28:31], v[80:81], off offset:-4096
	v_subrev_co_u32_e32 v36, vcc, s20, v38
	v_subb_co_u32_e32 v37, vcc, v39, v55, vcc
	v_lshlrev_b64 v[36:37], 6, v[36:37]
	v_add_co_u32_e32 v102, vcc, s10, v36
	v_addc_co_u32_e32 v103, vcc, v88, v37, vcc
	global_load_dwordx4 v[36:39], v[98:99], off offset:48
	s_waitcnt vmcnt(0)
	v_fmac_f64_e32 v[60:61], 0, v[36:37]
	v_fmac_f64_e32 v[56:57], 0, v[36:37]
	;; [unrolled: 1-line block ×6, first 2 shown]
	global_load_dwordx4 v[8:11], v[102:103], off
	v_fmac_f64_e32 v[76:77], v[16:17], v[36:37]
	v_fmac_f64_e32 v[72:73], 0, v[36:37]
	;; [unrolled: 1-line block ×10, first 2 shown]
	global_load_dwordx4 v[16:19], v[80:81], off
	global_load_dwordx4 v[98:101], v[80:81], off offset:16
	global_load_dwordx4 v[36:39], v[80:81], off offset:80
	s_waitcnt vmcnt(3)
	v_fmac_f64_e32 v[76:77], v[28:29], v[8:9]
	v_fmac_f64_e32 v[72:73], 0, v[8:9]
	;; [unrolled: 1-line block ×12, first 2 shown]
	global_load_dwordx4 v[94:97], v[80:81], off offset:64
	v_fmac_f64_e32 v[76:77], 0x80000000, v[10:11]
	v_fmac_f64_e32 v[74:75], 0x80000000, v[10:11]
	;; [unrolled: 1-line block ×4, first 2 shown]
	global_load_dwordx4 v[8:11], v[102:103], off offset:16
	global_load_dwordx4 v[28:31], v[80:81], off offset:96
	s_waitcnt vmcnt(1)
	v_fmac_f64_e32 v[76:77], v[90:91], v[8:9]
	v_fmac_f64_e32 v[72:73], 0, v[8:9]
	;; [unrolled: 1-line block ×16, first 2 shown]
	global_load_dwordx4 v[8:11], v[102:103], off offset:32
	global_load_dwordx4 v[90:93], v[80:81], off offset:48
	s_waitcnt vmcnt(1)
	v_fmac_f64_e32 v[70:71], 0, v[8:9]
	v_fmac_f64_e32 v[74:75], v[22:23], v[8:9]
	;; [unrolled: 1-line block ×3, first 2 shown]
	global_load_dwordx4 v[22:25], v[102:103], off offset:48
	v_fmac_f64_e32 v[72:73], 0, v[8:9]
	v_fmac_f64_e32 v[76:77], v[20:21], v[8:9]
	v_fmac_f64_e32 v[72:73], v[20:21], v[10:11]
	v_subrev_co_u32_e32 v20, vcc, s20, v82
	v_subb_co_u32_e32 v21, vcc, v83, v55, vcc
	v_lshlrev_b64 v[20:21], 6, v[20:21]
	v_fmac_f64_e32 v[60:61], 0, v[8:9]
	v_fmac_f64_e32 v[56:57], 0, v[8:9]
	v_add_co_u32_e32 v104, vcc, s10, v20
	v_fmac_f64_e32 v[68:69], v[0:1], v[8:9]
	v_fmac_f64_e32 v[58:59], v[2:3], v[8:9]
	;; [unrolled: 1-line block ×4, first 2 shown]
	v_addc_co_u32_e32 v105, vcc, v88, v21, vcc
	global_load_dwordx4 v[80:83], v[104:105], off offset:16
	v_fmac_f64_e32 v[68:69], 0x80000000, v[10:11]
	v_fmac_f64_e32 v[58:59], 0x80000000, v[10:11]
	v_fmac_f64_e32 v[76:77], 0x80000000, v[10:11]
	v_fmac_f64_e32 v[74:75], 0x80000000, v[10:11]
	global_load_dwordx4 v[0:3], v[86:87], off offset:48
	global_load_dwordx4 v[8:11], v[86:87], off offset:32
	v_addc_co_u32_e64 v63, vcc, 0, v63, s[4:5]
	v_add_co_u32_e32 v66, vcc, 0x4000, v66
	v_cmp_ge_i64_e64 s[0:1], v[62:63], v[64:65]
	v_addc_co_u32_e32 v67, vcc, 0, v67, vcc
	s_or_b64 s[12:13], s[0:1], s[12:13]
	s_waitcnt vmcnt(3)
	v_fmac_f64_e32 v[60:61], 0, v[22:23]
	v_fmac_f64_e32 v[56:57], 0, v[22:23]
	;; [unrolled: 1-line block ×6, first 2 shown]
	global_load_dwordx4 v[32:35], v[104:105], off
	v_fmac_f64_e32 v[76:77], v[12:13], v[22:23]
	v_fmac_f64_e32 v[72:73], 0, v[22:23]
	;; [unrolled: 1-line block ×10, first 2 shown]
	global_load_dwordx4 v[12:15], v[86:87], off
	global_load_dwordx4 v[20:23], v[86:87], off offset:16
	global_load_dwordx4 v[24:27], v[86:87], off offset:96
	s_waitcnt vmcnt(3)
	v_fmac_f64_e32 v[76:77], v[16:17], v[32:33]
	v_fmac_f64_e32 v[72:73], 0, v[32:33]
	;; [unrolled: 1-line block ×24, first 2 shown]
	v_subrev_co_u32_e64 v80, s[2:3], s20, v84
	v_subb_co_u32_e64 v81, s[2:3], v85, v55, s[2:3]
	v_lshlrev_b64 v[80:81], 6, v[80:81]
	v_add_co_u32_e64 v98, s[2:3], s10, v80
	global_load_dwordx4 v[16:19], v[86:87], off offset:112
	v_fmac_f64_e32 v[72:73], v[40:41], v[82:83]
	v_fmac_f64_e32 v[70:71], v[42:43], v[82:83]
	global_load_dwordx4 v[32:35], v[86:87], off offset:80
	global_load_dwordx4 v[40:43], v[86:87], off offset:64
	v_fmac_f64_e32 v[60:61], v[90:91], v[82:83]
	v_fmac_f64_e32 v[56:57], v[92:93], v[82:83]
	v_addc_co_u32_e64 v99, s[2:3], v88, v81, s[2:3]
	v_fmac_f64_e32 v[76:77], 0x80000000, v[82:83]
	v_fmac_f64_e32 v[74:75], 0x80000000, v[82:83]
	;; [unrolled: 1-line block ×4, first 2 shown]
	global_load_dwordx4 v[80:83], v[104:105], off offset:32
	global_load_dwordx4 v[84:87], v[104:105], off offset:48
	global_load_dwordx4 v[90:93], v[98:99], off
	s_waitcnt vmcnt(2)
	v_fmac_f64_e32 v[60:61], 0, v[80:81]
	v_fmac_f64_e32 v[56:57], 0, v[80:81]
	;; [unrolled: 1-line block ×6, first 2 shown]
	global_load_dwordx4 v[36:39], v[98:99], off offset:16
	v_fmac_f64_e32 v[76:77], v[94:95], v[80:81]
	v_fmac_f64_e32 v[72:73], 0, v[80:81]
	;; [unrolled: 1-line block ×10, first 2 shown]
	global_load_dwordx4 v[80:83], v[98:99], off offset:32
	s_waitcnt vmcnt(3)
	v_fmac_f64_e32 v[72:73], 0, v[84:85]
	v_fmac_f64_e32 v[70:71], 0, v[84:85]
	;; [unrolled: 1-line block ×6, first 2 shown]
	global_load_dwordx4 v[28:31], v[98:99], off offset:48
	v_fmac_f64_e32 v[68:69], v[4:5], v[84:85]
	v_fmac_f64_e32 v[60:61], 0, v[84:85]
	v_fmac_f64_e32 v[58:59], v[6:7], v[84:85]
	v_fmac_f64_e32 v[56:57], 0, v[84:85]
	v_fmac_f64_e32 v[76:77], 0x80000000, v[86:87]
	v_fmac_f64_e32 v[74:75], 0x80000000, v[86:87]
	v_fmac_f64_e32 v[68:69], 0x80000000, v[86:87]
	v_fmac_f64_e32 v[60:61], v[4:5], v[86:87]
	v_fmac_f64_e32 v[58:59], 0x80000000, v[86:87]
	v_fmac_f64_e32 v[56:57], v[6:7], v[86:87]
	s_waitcnt vmcnt(3)
	v_fmac_f64_e32 v[76:77], v[12:13], v[90:91]
	v_fmac_f64_e32 v[72:73], 0, v[90:91]
	v_fmac_f64_e32 v[74:75], v[14:15], v[90:91]
	v_fmac_f64_e32 v[70:71], 0, v[90:91]
	v_fmac_f64_e32 v[68:69], v[20:21], v[90:91]
	v_fmac_f64_e32 v[60:61], 0, v[90:91]
	v_fmac_f64_e32 v[58:59], v[22:23], v[90:91]
	v_fmac_f64_e32 v[56:57], 0, v[90:91]
	v_fmac_f64_e32 v[76:77], 0x80000000, v[92:93]
	v_fmac_f64_e32 v[72:73], v[12:13], v[92:93]
	v_fmac_f64_e32 v[74:75], 0x80000000, v[92:93]
	v_fmac_f64_e32 v[70:71], v[14:15], v[92:93]
	v_fmac_f64_e32 v[68:69], 0x80000000, v[92:93]
	v_fmac_f64_e32 v[60:61], v[20:21], v[92:93]
	v_fmac_f64_e32 v[58:59], 0x80000000, v[92:93]
	v_fmac_f64_e32 v[56:57], v[22:23], v[92:93]
	s_waitcnt vmcnt(2)
	v_fmac_f64_e32 v[76:77], v[8:9], v[36:37]
	v_fmac_f64_e32 v[72:73], 0, v[36:37]
	v_fmac_f64_e32 v[74:75], v[10:11], v[36:37]
	v_fmac_f64_e32 v[70:71], 0, v[36:37]
	v_fmac_f64_e32 v[68:69], v[0:1], v[36:37]
	v_fmac_f64_e32 v[60:61], 0, v[36:37]
	v_fmac_f64_e32 v[58:59], v[2:3], v[36:37]
	v_fmac_f64_e32 v[56:57], 0, v[36:37]
	v_fmac_f64_e32 v[76:77], 0x80000000, v[38:39]
	v_fmac_f64_e32 v[72:73], v[8:9], v[38:39]
	v_fmac_f64_e32 v[74:75], 0x80000000, v[38:39]
	v_fmac_f64_e32 v[70:71], v[10:11], v[38:39]
	v_fmac_f64_e32 v[68:69], 0x80000000, v[38:39]
	v_fmac_f64_e32 v[60:61], v[0:1], v[38:39]
	v_fmac_f64_e32 v[58:59], 0x80000000, v[38:39]
	v_fmac_f64_e32 v[56:57], v[2:3], v[38:39]
	s_waitcnt vmcnt(1)
	v_fmac_f64_e32 v[76:77], v[40:41], v[80:81]
	v_fmac_f64_e32 v[72:73], 0, v[80:81]
	v_fmac_f64_e32 v[74:75], v[42:43], v[80:81]
	v_fmac_f64_e32 v[70:71], 0, v[80:81]
	v_fmac_f64_e32 v[68:69], v[32:33], v[80:81]
	v_fmac_f64_e32 v[60:61], 0, v[80:81]
	v_fmac_f64_e32 v[58:59], v[34:35], v[80:81]
	v_fmac_f64_e32 v[56:57], 0, v[80:81]
	v_fmac_f64_e32 v[76:77], 0x80000000, v[82:83]
	v_fmac_f64_e32 v[72:73], v[40:41], v[82:83]
	v_fmac_f64_e32 v[74:75], 0x80000000, v[82:83]
	v_fmac_f64_e32 v[70:71], v[42:43], v[82:83]
	v_fmac_f64_e32 v[68:69], 0x80000000, v[82:83]
	v_fmac_f64_e32 v[60:61], v[32:33], v[82:83]
	v_fmac_f64_e32 v[58:59], 0x80000000, v[82:83]
	v_fmac_f64_e32 v[56:57], v[34:35], v[82:83]
	s_waitcnt vmcnt(0)
	v_fmac_f64_e32 v[76:77], v[24:25], v[28:29]
	v_fmac_f64_e32 v[72:73], 0, v[28:29]
	v_fmac_f64_e32 v[74:75], v[26:27], v[28:29]
	v_fmac_f64_e32 v[70:71], 0, v[28:29]
	v_fmac_f64_e32 v[68:69], v[16:17], v[28:29]
	v_fmac_f64_e32 v[60:61], 0, v[28:29]
	v_fmac_f64_e32 v[58:59], v[18:19], v[28:29]
	v_fmac_f64_e32 v[56:57], 0, v[28:29]
	;; [unrolled: 1-line block ×10, first 2 shown]
	s_andn2_b64 exec, exec, s[12:13]
	s_cbranch_execnz .LBB148_37
; %bb.38:
	s_or_b64 exec, exec, s[12:13]
.LBB148_39:
	s_or_b64 exec, exec, s[16:17]
.LBB148_40:
	s_or_b64 exec, exec, s[14:15]
.LBB148_41:
	v_mov_b32_dpp v0, v76 row_shr:1 row_mask:0xf bank_mask:0xf
	v_mov_b32_dpp v1, v77 row_shr:1 row_mask:0xf bank_mask:0xf
	v_mov_b32_dpp v4, v72 row_shr:1 row_mask:0xf bank_mask:0xf
	v_mov_b32_dpp v5, v73 row_shr:1 row_mask:0xf bank_mask:0xf
	v_mov_b32_dpp v8, v74 row_shr:1 row_mask:0xf bank_mask:0xf
	v_mov_b32_dpp v9, v75 row_shr:1 row_mask:0xf bank_mask:0xf
	v_mov_b32_dpp v12, v70 row_shr:1 row_mask:0xf bank_mask:0xf
	v_mov_b32_dpp v13, v71 row_shr:1 row_mask:0xf bank_mask:0xf
	v_mov_b32_dpp v16, v68 row_shr:1 row_mask:0xf bank_mask:0xf
	v_mov_b32_dpp v17, v69 row_shr:1 row_mask:0xf bank_mask:0xf
	v_mov_b32_dpp v20, v60 row_shr:1 row_mask:0xf bank_mask:0xf
	v_mov_b32_dpp v21, v61 row_shr:1 row_mask:0xf bank_mask:0xf
	v_mov_b32_dpp v24, v58 row_shr:1 row_mask:0xf bank_mask:0xf
	v_mov_b32_dpp v25, v59 row_shr:1 row_mask:0xf bank_mask:0xf
	v_mov_b32_dpp v28, v56 row_shr:1 row_mask:0xf bank_mask:0xf
	v_mov_b32_dpp v29, v57 row_shr:1 row_mask:0xf bank_mask:0xf
	v_add_f64 v[0:1], v[76:77], v[0:1]
	v_add_f64 v[4:5], v[72:73], v[4:5]
	v_add_f64 v[8:9], v[74:75], v[8:9]
	v_add_f64 v[12:13], v[70:71], v[12:13]
	v_add_f64 v[16:17], v[68:69], v[16:17]
	v_add_f64 v[20:21], v[60:61], v[20:21]
	v_add_f64 v[24:25], v[58:59], v[24:25]
	v_add_f64 v[28:29], v[56:57], v[28:29]
	v_mov_b32_dpp v2, v0 row_shr:2 row_mask:0xf bank_mask:0xf
	v_mov_b32_dpp v3, v1 row_shr:2 row_mask:0xf bank_mask:0xf
	v_mov_b32_dpp v6, v4 row_shr:2 row_mask:0xf bank_mask:0xf
	v_mov_b32_dpp v7, v5 row_shr:2 row_mask:0xf bank_mask:0xf
	v_mov_b32_dpp v10, v8 row_shr:2 row_mask:0xf bank_mask:0xf
	v_mov_b32_dpp v11, v9 row_shr:2 row_mask:0xf bank_mask:0xf
	v_mov_b32_dpp v14, v12 row_shr:2 row_mask:0xf bank_mask:0xf
	v_mov_b32_dpp v15, v13 row_shr:2 row_mask:0xf bank_mask:0xf
	v_mov_b32_dpp v18, v16 row_shr:2 row_mask:0xf bank_mask:0xf
	v_mov_b32_dpp v19, v17 row_shr:2 row_mask:0xf bank_mask:0xf
	v_mov_b32_dpp v22, v20 row_shr:2 row_mask:0xf bank_mask:0xf
	v_mov_b32_dpp v23, v21 row_shr:2 row_mask:0xf bank_mask:0xf
	v_mov_b32_dpp v26, v24 row_shr:2 row_mask:0xf bank_mask:0xf
	v_mov_b32_dpp v27, v25 row_shr:2 row_mask:0xf bank_mask:0xf
	v_mov_b32_dpp v30, v28 row_shr:2 row_mask:0xf bank_mask:0xf
	v_mov_b32_dpp v31, v29 row_shr:2 row_mask:0xf bank_mask:0xf
	v_add_f64 v[0:1], v[0:1], v[2:3]
	v_add_f64 v[4:5], v[4:5], v[6:7]
	v_add_f64 v[8:9], v[8:9], v[10:11]
	v_add_f64 v[12:13], v[12:13], v[14:15]
	v_add_f64 v[16:17], v[16:17], v[18:19]
	v_add_f64 v[20:21], v[20:21], v[22:23]
	v_add_f64 v[24:25], v[24:25], v[26:27]
	v_add_f64 v[28:29], v[28:29], v[30:31]
	;; [unrolled: 24-line block ×4, first 2 shown]
	v_mov_b32_dpp v2, v0 row_bcast:15 row_mask:0xa bank_mask:0xf
	v_mov_b32_dpp v3, v1 row_bcast:15 row_mask:0xa bank_mask:0xf
	;; [unrolled: 1-line block ×16, first 2 shown]
	v_cmp_eq_u32_e32 vcc, 31, v54
	s_and_b64 exec, exec, vcc
	s_cbranch_execz .LBB148_12
; %bb.42:
	s_load_dwordx2 s[2:3], s[6:7], 0x68
	v_add_f64 v[32:33], v[0:1], v[2:3]
	v_add_f64 v[0:1], v[4:5], v[6:7]
	;; [unrolled: 1-line block ×8, first 2 shown]
	v_cmp_eq_f64_e32 vcc, 0, v[44:45]
	v_cmp_eq_f64_e64 s[0:1], 0, v[46:47]
	v_mul_f64 v[12:13], v[0:1], -v[50:51]
	v_mul_f64 v[14:15], v[48:49], v[0:1]
	v_mul_f64 v[8:9], v[2:3], -v[50:51]
	v_mul_f64 v[10:11], v[48:49], v[2:3]
	v_mul_f64 v[4:5], v[6:7], -v[50:51]
	v_mul_f64 v[6:7], v[48:49], v[6:7]
	v_mul_f64 v[0:1], v[16:17], -v[50:51]
	v_mul_f64 v[2:3], v[48:49], v[16:17]
	s_and_b64 s[0:1], vcc, s[0:1]
	v_fmac_f64_e32 v[12:13], v[48:49], v[32:33]
	v_fmac_f64_e32 v[14:15], v[50:51], v[32:33]
	v_lshlrev_b64 v[16:17], 6, v[52:53]
	v_fmac_f64_e32 v[8:9], v[48:49], v[34:35]
	v_fmac_f64_e32 v[10:11], v[50:51], v[34:35]
	;; [unrolled: 1-line block ×6, first 2 shown]
	s_and_saveexec_b64 s[4:5], s[0:1]
	s_xor_b64 s[0:1], exec, s[4:5]
	s_cbranch_execz .LBB148_44
; %bb.43:
	s_waitcnt lgkmcnt(0)
	v_mov_b32_e32 v18, s3
	v_add_co_u32_e32 v16, vcc, s2, v16
	v_addc_co_u32_e32 v17, vcc, v18, v17, vcc
	global_store_dwordx4 v[16:17], v[12:15], off
	global_store_dwordx4 v[16:17], v[8:11], off offset:16
	global_store_dwordx4 v[16:17], v[4:7], off offset:32
	global_store_dwordx4 v[16:17], v[0:3], off offset:48
                                        ; implicit-def: $vgpr44_vgpr45
                                        ; implicit-def: $vgpr46_vgpr47
                                        ; implicit-def: $vgpr12_vgpr13
                                        ; implicit-def: $vgpr16_vgpr17
                                        ; implicit-def: $vgpr8_vgpr9
                                        ; implicit-def: $vgpr4_vgpr5
                                        ; implicit-def: $vgpr0_vgpr1
.LBB148_44:
	s_andn2_saveexec_b64 s[0:1], s[0:1]
	s_cbranch_execz .LBB148_12
; %bb.45:
	s_waitcnt lgkmcnt(0)
	v_mov_b32_e32 v18, s3
	v_add_co_u32_e32 v32, vcc, s2, v16
	v_addc_co_u32_e32 v33, vcc, v18, v17, vcc
	global_load_dwordx4 v[16:19], v[32:33], off
	global_load_dwordx4 v[20:23], v[32:33], off offset:16
	global_load_dwordx4 v[24:27], v[32:33], off offset:32
	global_load_dwordx4 v[28:31], v[32:33], off offset:48
	s_waitcnt vmcnt(3)
	v_fmac_f64_e32 v[12:13], v[44:45], v[16:17]
	v_fmac_f64_e32 v[14:15], v[46:47], v[16:17]
	s_waitcnt vmcnt(2)
	v_fmac_f64_e32 v[8:9], v[44:45], v[20:21]
	v_fmac_f64_e32 v[10:11], v[46:47], v[20:21]
	;; [unrolled: 3-line block ×4, first 2 shown]
	v_fma_f64 v[12:13], -v[46:47], v[18:19], v[12:13]
	v_fmac_f64_e32 v[14:15], v[44:45], v[18:19]
	v_fma_f64 v[8:9], -v[46:47], v[22:23], v[8:9]
	v_fmac_f64_e32 v[10:11], v[44:45], v[22:23]
	;; [unrolled: 2-line block ×4, first 2 shown]
	global_store_dwordx4 v[32:33], v[12:15], off
	global_store_dwordx4 v[32:33], v[8:11], off offset:16
	global_store_dwordx4 v[32:33], v[4:7], off offset:32
	;; [unrolled: 1-line block ×3, first 2 shown]
	s_endpgm
	.section	.rodata,"a",@progbits
	.p2align	6, 0x0
	.amdhsa_kernel _ZN9rocsparseL18bsrxmvn_4x4_kernelILj128ELj32E21rocsparse_complex_numIdElldS2_S2_EEvT3_20rocsparse_direction_NS_24const_host_device_scalarIT1_EES3_PKS3_PKT2_SC_S9_PKT4_PKT5_S7_PT6_21rocsparse_index_base_b
		.amdhsa_group_segment_fixed_size 2048
		.amdhsa_private_segment_fixed_size 0
		.amdhsa_kernarg_size 120
		.amdhsa_user_sgpr_count 8
		.amdhsa_user_sgpr_private_segment_buffer 1
		.amdhsa_user_sgpr_dispatch_ptr 1
		.amdhsa_user_sgpr_queue_ptr 0
		.amdhsa_user_sgpr_kernarg_segment_ptr 1
		.amdhsa_user_sgpr_dispatch_id 0
		.amdhsa_user_sgpr_flat_scratch_init 0
		.amdhsa_user_sgpr_kernarg_preload_length 0
		.amdhsa_user_sgpr_kernarg_preload_offset 0
		.amdhsa_user_sgpr_private_segment_size 0
		.amdhsa_uses_dynamic_stack 0
		.amdhsa_system_sgpr_private_segment_wavefront_offset 0
		.amdhsa_system_sgpr_workgroup_id_x 1
		.amdhsa_system_sgpr_workgroup_id_y 0
		.amdhsa_system_sgpr_workgroup_id_z 0
		.amdhsa_system_sgpr_workgroup_info 0
		.amdhsa_system_vgpr_workitem_id 2
		.amdhsa_next_free_vgpr 106
		.amdhsa_next_free_sgpr 23
		.amdhsa_accum_offset 108
		.amdhsa_reserve_vcc 1
		.amdhsa_reserve_flat_scratch 0
		.amdhsa_float_round_mode_32 0
		.amdhsa_float_round_mode_16_64 0
		.amdhsa_float_denorm_mode_32 3
		.amdhsa_float_denorm_mode_16_64 3
		.amdhsa_dx10_clamp 1
		.amdhsa_ieee_mode 1
		.amdhsa_fp16_overflow 0
		.amdhsa_tg_split 0
		.amdhsa_exception_fp_ieee_invalid_op 0
		.amdhsa_exception_fp_denorm_src 0
		.amdhsa_exception_fp_ieee_div_zero 0
		.amdhsa_exception_fp_ieee_overflow 0
		.amdhsa_exception_fp_ieee_underflow 0
		.amdhsa_exception_fp_ieee_inexact 0
		.amdhsa_exception_int_div_zero 0
	.end_amdhsa_kernel
	.section	.text._ZN9rocsparseL18bsrxmvn_4x4_kernelILj128ELj32E21rocsparse_complex_numIdElldS2_S2_EEvT3_20rocsparse_direction_NS_24const_host_device_scalarIT1_EES3_PKS3_PKT2_SC_S9_PKT4_PKT5_S7_PT6_21rocsparse_index_base_b,"axG",@progbits,_ZN9rocsparseL18bsrxmvn_4x4_kernelILj128ELj32E21rocsparse_complex_numIdElldS2_S2_EEvT3_20rocsparse_direction_NS_24const_host_device_scalarIT1_EES3_PKS3_PKT2_SC_S9_PKT4_PKT5_S7_PT6_21rocsparse_index_base_b,comdat
.Lfunc_end148:
	.size	_ZN9rocsparseL18bsrxmvn_4x4_kernelILj128ELj32E21rocsparse_complex_numIdElldS2_S2_EEvT3_20rocsparse_direction_NS_24const_host_device_scalarIT1_EES3_PKS3_PKT2_SC_S9_PKT4_PKT5_S7_PT6_21rocsparse_index_base_b, .Lfunc_end148-_ZN9rocsparseL18bsrxmvn_4x4_kernelILj128ELj32E21rocsparse_complex_numIdElldS2_S2_EEvT3_20rocsparse_direction_NS_24const_host_device_scalarIT1_EES3_PKS3_PKT2_SC_S9_PKT4_PKT5_S7_PT6_21rocsparse_index_base_b
                                        ; -- End function
	.section	.AMDGPU.csdata,"",@progbits
; Kernel info:
; codeLenInByte = 7976
; NumSgprs: 27
; NumVgprs: 106
; NumAgprs: 0
; TotalNumVgprs: 106
; ScratchSize: 0
; MemoryBound: 0
; FloatMode: 240
; IeeeMode: 1
; LDSByteSize: 2048 bytes/workgroup (compile time only)
; SGPRBlocks: 3
; VGPRBlocks: 13
; NumSGPRsForWavesPerEU: 27
; NumVGPRsForWavesPerEU: 106
; AccumOffset: 108
; Occupancy: 4
; WaveLimiterHint : 1
; COMPUTE_PGM_RSRC2:SCRATCH_EN: 0
; COMPUTE_PGM_RSRC2:USER_SGPR: 8
; COMPUTE_PGM_RSRC2:TRAP_HANDLER: 0
; COMPUTE_PGM_RSRC2:TGID_X_EN: 1
; COMPUTE_PGM_RSRC2:TGID_Y_EN: 0
; COMPUTE_PGM_RSRC2:TGID_Z_EN: 0
; COMPUTE_PGM_RSRC2:TIDIG_COMP_CNT: 2
; COMPUTE_PGM_RSRC3_GFX90A:ACCUM_OFFSET: 26
; COMPUTE_PGM_RSRC3_GFX90A:TG_SPLIT: 0
	.section	.text._ZN9rocsparseL18bsrxmvn_4x4_kernelILj128ELj64E21rocsparse_complex_numIdElldS2_S2_EEvT3_20rocsparse_direction_NS_24const_host_device_scalarIT1_EES3_PKS3_PKT2_SC_S9_PKT4_PKT5_S7_PT6_21rocsparse_index_base_b,"axG",@progbits,_ZN9rocsparseL18bsrxmvn_4x4_kernelILj128ELj64E21rocsparse_complex_numIdElldS2_S2_EEvT3_20rocsparse_direction_NS_24const_host_device_scalarIT1_EES3_PKS3_PKT2_SC_S9_PKT4_PKT5_S7_PT6_21rocsparse_index_base_b,comdat
	.globl	_ZN9rocsparseL18bsrxmvn_4x4_kernelILj128ELj64E21rocsparse_complex_numIdElldS2_S2_EEvT3_20rocsparse_direction_NS_24const_host_device_scalarIT1_EES3_PKS3_PKT2_SC_S9_PKT4_PKT5_S7_PT6_21rocsparse_index_base_b ; -- Begin function _ZN9rocsparseL18bsrxmvn_4x4_kernelILj128ELj64E21rocsparse_complex_numIdElldS2_S2_EEvT3_20rocsparse_direction_NS_24const_host_device_scalarIT1_EES3_PKS3_PKT2_SC_S9_PKT4_PKT5_S7_PT6_21rocsparse_index_base_b
	.p2align	8
	.type	_ZN9rocsparseL18bsrxmvn_4x4_kernelILj128ELj64E21rocsparse_complex_numIdElldS2_S2_EEvT3_20rocsparse_direction_NS_24const_host_device_scalarIT1_EES3_PKS3_PKT2_SC_S9_PKT4_PKT5_S7_PT6_21rocsparse_index_base_b,@function
_ZN9rocsparseL18bsrxmvn_4x4_kernelILj128ELj64E21rocsparse_complex_numIdElldS2_S2_EEvT3_20rocsparse_direction_NS_24const_host_device_scalarIT1_EES3_PKS3_PKT2_SC_S9_PKT4_PKT5_S7_PT6_21rocsparse_index_base_b: ; @_ZN9rocsparseL18bsrxmvn_4x4_kernelILj128ELj64E21rocsparse_complex_numIdElldS2_S2_EEvT3_20rocsparse_direction_NS_24const_host_device_scalarIT1_EES3_PKS3_PKT2_SC_S9_PKT4_PKT5_S7_PT6_21rocsparse_index_base_b
; %bb.0:
	s_load_dwordx2 s[20:21], s[6:7], 0x70
	s_load_dwordx4 s[16:19], s[6:7], 0x10
	s_load_dwordx2 s[10:11], s[4:5], 0x4
	s_load_dwordx4 s[12:15], s[6:7], 0x58
	s_mov_b64 s[2:3], src_shared_base
	v_bfe_u32 v3, v0, 10, 10
	s_waitcnt lgkmcnt(0)
	s_bitcmp1_b32 s21, 0
	s_cselect_b64 s[0:1], -1, 0
	s_and_b64 vcc, s[0:1], exec
	s_cselect_b32 s2, s3, s17
	s_lshr_b32 s4, s10, 16
	v_and_b32_e32 v2, 0x3ff, v0
	s_mul_i32 s4, s4, s11
	v_mul_u32_u24_e32 v3, s11, v3
	v_mad_u32_u24 v3, s4, v2, v3
	v_bfe_u32 v0, v0, 20, 10
	v_add_lshl_u32 v0, v3, v0, 3
	v_mov_b32_e32 v1, s16
	v_add_u32_e32 v3, 0x400, v0
	v_pk_mov_b32 v[4:5], s[16:17], s[16:17] op_sel:[0,1]
	v_pk_mov_b32 v[6:7], s[12:13], s[12:13] op_sel:[0,1]
	ds_write2st64_b64 v0, v[6:7], v[4:5] offset1:2
	v_cndmask_b32_e64 v4, v1, v3, s[0:1]
	v_mov_b32_e32 v5, s2
	flat_load_dwordx2 v[52:53], v[4:5]
	s_xor_b64 s[4:5], s[0:1], -1
	v_pk_mov_b32 v[54:55], s[18:19], s[18:19] op_sel:[0,1]
	s_cbranch_vccnz .LBB149_2
; %bb.1:
	v_pk_mov_b32 v[4:5], s[16:17], s[16:17] op_sel:[0,1]
	flat_load_dwordx2 v[54:55], v[4:5] offset:8
.LBB149_2:
	s_and_b64 s[10:11], s[0:1], exec
	s_cselect_b32 s2, s3, s13
	v_mov_b32_e32 v1, s12
	v_cndmask_b32_e64 v0, v1, v0, s[0:1]
	v_mov_b32_e32 v1, s2
	flat_load_dwordx2 v[48:49], v[0:1]
	s_andn2_b64 vcc, exec, s[4:5]
	v_pk_mov_b32 v[50:51], s[14:15], s[14:15] op_sel:[0,1]
	s_cbranch_vccnz .LBB149_4
; %bb.3:
	v_pk_mov_b32 v[0:1], s[12:13], s[12:13] op_sel:[0,1]
	flat_load_dwordx2 v[50:51], v[0:1] offset:8
.LBB149_4:
	s_waitcnt vmcnt(0) lgkmcnt(0)
	v_cmp_eq_f64_e32 vcc, 0, v[52:53]
	v_cmp_eq_f64_e64 s[0:1], 0, v[54:55]
	s_and_b64 s[4:5], vcc, s[0:1]
	s_mov_b64 s[0:1], -1
	s_and_saveexec_b64 s[2:3], s[4:5]
; %bb.5:
	v_cmp_neq_f64_e32 vcc, 1.0, v[48:49]
	v_cmp_neq_f64_e64 s[0:1], 0, v[50:51]
	s_or_b64 s[0:1], vcc, s[0:1]
	s_orn2_b64 s[0:1], s[0:1], exec
; %bb.6:
	s_or_b64 exec, exec, s[2:3]
	s_and_saveexec_b64 s[2:3], s[0:1]
	s_cbranch_execz .LBB149_12
; %bb.7:
	s_load_dwordx2 s[2:3], s[6:7], 0x28
	v_lshrrev_b32_e32 v0, 6, v2
	v_lshl_or_b32 v0, s8, 1, v0
	v_mov_b32_e32 v1, 0
	s_mov_b64 s[0:1], 0
	s_waitcnt lgkmcnt(0)
	s_cmp_lg_u64 s[2:3], 0
	s_cbranch_scc0 .LBB149_13
; %bb.8:
	s_load_dwordx2 s[4:5], s[6:7], 0x20
                                        ; implicit-def: $vgpr56_vgpr57
	s_waitcnt lgkmcnt(0)
	v_cmp_gt_i64_e32 vcc, s[4:5], v[0:1]
	s_and_saveexec_b64 s[4:5], vcc
	s_xor_b64 s[8:9], exec, s[4:5]
                                        ; implicit-def: $sgpr4_sgpr5
	s_cbranch_execz .LBB149_10
; %bb.9:
	v_lshlrev_b64 v[4:5], 3, v[0:1]
	v_mov_b32_e32 v3, s3
	v_add_co_u32_e32 v4, vcc, s2, v4
	v_addc_co_u32_e32 v5, vcc, v3, v5, vcc
	global_load_dwordx2 v[4:5], v[4:5], off
	s_mov_b64 s[0:1], exec
	s_mov_b32 s5, 0
	s_waitcnt vmcnt(0)
	v_subrev_co_u32_e32 v56, vcc, s20, v4
	v_subbrev_co_u32_e32 v57, vcc, 0, v5, vcc
.LBB149_10:
	s_or_b64 exec, exec, s[8:9]
.LBB149_11:
	s_and_b64 exec, exec, s[0:1]
	s_cbranch_execnz .LBB149_17
.LBB149_12:
	s_endpgm
.LBB149_13:
                                        ; implicit-def: $vgpr56_vgpr57
                                        ; implicit-def: $sgpr4_sgpr5
	s_cbranch_execz .LBB149_11
; %bb.14:
	s_load_dwordx2 s[2:3], s[6:7], 0x0
                                        ; implicit-def: $vgpr56_vgpr57
	s_waitcnt lgkmcnt(0)
	v_cmp_gt_i64_e32 vcc, s[2:3], v[0:1]
	s_and_saveexec_b64 s[2:3], vcc
                                        ; implicit-def: $sgpr4_sgpr5
; %bb.15:
	s_mov_b32 s5, 0
	s_or_b64 s[0:1], s[0:1], exec
	v_pk_mov_b32 v[56:57], v[0:1], v[0:1] op_sel:[0,1]
; %bb.16:
	s_or_b64 exec, exec, s[2:3]
	s_and_b64 exec, exec, s[0:1]
	s_cbranch_execz .LBB149_12
.LBB149_17:
	s_load_dwordx8 s[8:15], s[6:7], 0x30
	v_lshlrev_b64 v[0:1], 3, v[56:57]
	v_and_b32_e32 v58, 63, v2
	v_mov_b32_e32 v2, s5
	s_waitcnt lgkmcnt(0)
	v_mov_b32_e32 v3, s9
	v_add_co_u32_e32 v4, vcc, s8, v0
	v_addc_co_u32_e32 v5, vcc, v3, v1, vcc
	v_add_co_u32_e32 v3, vcc, 8, v4
	global_load_dwordx2 v[16:17], v[4:5], off
	v_addc_co_u32_e32 v4, vcc, 0, v5, vcc
	v_mov_b32_e32 v5, s11
	v_add_co_u32_e32 v0, vcc, s10, v0
	s_cmp_eq_u64 s[10:11], 0
	v_addc_co_u32_e32 v1, vcc, v5, v1, vcc
	s_cselect_b64 vcc, -1, 0
	v_cndmask_b32_e32 v1, v1, v4, vcc
	v_cndmask_b32_e32 v0, v0, v3, vcc
	global_load_dwordx2 v[0:1], v[0:1], off
	s_load_dword s0, s[6:7], 0x8
	s_load_dwordx2 s[10:11], s[6:7], 0x50
	v_mov_b32_e32 v3, s15
	s_waitcnt lgkmcnt(0)
	s_cmp_eq_u32 s0, 1
	s_waitcnt vmcnt(1)
	v_subrev_co_u32_e32 v4, vcc, s20, v16
	v_subb_co_u32_e32 v5, vcc, v17, v2, vcc
	v_add_co_u32_e32 v68, vcc, v4, v58
	v_addc_co_u32_e32 v69, vcc, 0, v5, vcc
	s_waitcnt vmcnt(0)
	v_subrev_co_u32_e32 v70, vcc, s20, v0
	v_subb_co_u32_e32 v71, vcc, v1, v2, vcc
	v_lshlrev_b64 v[0:1], 7, v[68:69]
	v_add_co_u32_e32 v72, vcc, s14, v0
	v_addc_co_u32_e32 v73, vcc, v3, v1, vcc
	v_cmp_lt_i64_e64 s[0:1], v[68:69], v[70:71]
	s_cbranch_scc1 .LBB149_29
; %bb.18:
	v_pk_mov_b32 v[76:77], 0, 0
	s_mov_b64 s[8:9], 0
	v_pk_mov_b32 v[80:81], v[76:77], v[76:77] op_sel:[0,1]
	v_pk_mov_b32 v[74:75], v[76:77], v[76:77] op_sel:[0,1]
	;; [unrolled: 1-line block ×7, first 2 shown]
	s_and_saveexec_b64 s[14:15], s[0:1]
	s_cbranch_execz .LBB149_28
; %bb.19:
	v_or_b32_e32 v0, 64, v58
	v_mov_b32_e32 v1, s5
	v_subrev_co_u32_e32 v0, vcc, s20, v0
	v_subb_co_u32_e32 v1, vcc, 0, v1, vcc
	v_add_co_u32_e32 v0, vcc, v0, v16
	v_addc_co_u32_e32 v1, vcc, v1, v17, vcc
	v_cmp_gt_i64_e32 vcc, v[0:1], v[70:71]
	v_cndmask_b32_e32 v1, v71, v1, vcc
	v_cndmask_b32_e32 v0, v70, v0, vcc
	v_mov_b32_e32 v4, s5
	v_sub_co_u32_e32 v5, vcc, s20, v58
	v_not_b32_e32 v3, v16
	v_subbrev_co_u32_e32 v4, vcc, 0, v4, vcc
	v_not_b32_e32 v2, v17
	v_add_co_u32_e32 v3, vcc, v5, v3
	v_addc_co_u32_e32 v2, vcc, v4, v2, vcc
	v_add_co_u32_e32 v22, vcc, v3, v0
	v_lshrrev_b32_e32 v0, 6, v22
	v_add_u32_e32 v0, 1, v0
	v_addc_co_u32_e32 v23, vcc, v2, v1, vcc
	v_and_b32_e32 v0, 3, v0
	v_pk_mov_b32 v[62:63], 0, 0
	v_cmp_ne_u32_e32 vcc, 0, v0
	s_mov_b64 s[18:19], 0
	v_pk_mov_b32 v[60:61], v[62:63], v[62:63] op_sel:[0,1]
	v_pk_mov_b32 v[66:67], v[62:63], v[62:63] op_sel:[0,1]
	;; [unrolled: 1-line block ×9, first 2 shown]
	s_and_saveexec_b64 s[16:17], vcc
	s_cbranch_execz .LBB149_23
; %bb.20:
	v_lshlrev_b64 v[2:3], 3, v[68:69]
	v_mov_b32_e32 v1, s13
	v_add_co_u32_e32 v26, vcc, s12, v2
	v_pk_mov_b32 v[76:77], 0, 0
	v_mov_b32_e32 v25, 0
	v_addc_co_u32_e32 v27, vcc, v1, v3, vcc
	v_lshlrev_b32_e32 v24, 3, v0
	s_movk_i32 s4, 0x2000
	v_mov_b32_e32 v30, s5
	v_mov_b32_e32 v31, s11
	v_pk_mov_b32 v[20:21], v[68:69], v[68:69] op_sel:[0,1]
	v_pk_mov_b32 v[18:19], v[72:73], v[72:73] op_sel:[0,1]
	;; [unrolled: 1-line block ×9, first 2 shown]
.LBB149_21:                             ; =>This Inner Loop Header: Depth=1
	global_load_dwordx2 v[28:29], v[26:27], off
	global_load_dwordx4 v[0:3], v[18:19], off offset:48
	global_load_dwordx4 v[8:11], v[18:19], off offset:32
	;; [unrolled: 1-line block ×3, first 2 shown]
	global_load_dwordx4 v[12:15], v[18:19], off
	global_load_dwordx4 v[32:35], v[18:19], off offset:112
	global_load_dwordx4 v[36:39], v[18:19], off offset:96
	;; [unrolled: 1-line block ×4, first 2 shown]
	v_add_co_u32_e32 v18, vcc, s4, v18
	v_addc_co_u32_e32 v19, vcc, 0, v19, vcc
	v_add_co_u32_e32 v26, vcc, 0x200, v26
	v_addc_co_u32_e32 v27, vcc, 0, v27, vcc
	s_waitcnt vmcnt(8)
	v_subrev_co_u32_e64 v28, s[2:3], s20, v28
	v_subb_co_u32_e64 v29, s[2:3], v29, v30, s[2:3]
	v_lshlrev_b64 v[28:29], 6, v[28:29]
	v_add_co_u32_e64 v28, s[2:3], s10, v28
	v_addc_co_u32_e64 v29, s[2:3], v31, v29, s[2:3]
	global_load_dwordx4 v[82:85], v[28:29], off
	global_load_dwordx4 v[86:89], v[28:29], off offset:16
	global_load_dwordx4 v[90:93], v[28:29], off offset:32
	global_load_dwordx4 v[94:97], v[28:29], off offset:48
	v_add_co_u32_e64 v20, s[2:3], 64, v20
	v_addc_co_u32_e64 v21, s[2:3], 0, v21, s[2:3]
	v_add_co_u32_e64 v24, s[2:3], -8, v24
	v_addc_co_u32_e64 v25, s[2:3], -1, v25, s[2:3]
	v_cmp_eq_u64_e64 s[2:3], 0, v[24:25]
	s_or_b64 s[18:19], s[2:3], s[18:19]
	s_waitcnt vmcnt(3)
	v_fmac_f64_e32 v[80:81], v[12:13], v[82:83]
	v_fmac_f64_e32 v[76:77], 0, v[82:83]
	v_fmac_f64_e32 v[78:79], v[8:9], v[82:83]
	v_fmac_f64_e32 v[74:75], 0, v[82:83]
	v_fmac_f64_e32 v[66:67], v[40:41], v[82:83]
	v_fmac_f64_e32 v[64:65], 0, v[82:83]
	v_fmac_f64_e32 v[62:63], v[36:37], v[82:83]
	v_fmac_f64_e32 v[60:61], 0, v[82:83]
	v_fmac_f64_e32 v[80:81], 0x80000000, v[84:85]
	v_fmac_f64_e32 v[76:77], v[12:13], v[84:85]
	v_fmac_f64_e32 v[78:79], 0x80000000, v[84:85]
	v_fmac_f64_e32 v[74:75], v[8:9], v[84:85]
	v_fmac_f64_e32 v[66:67], 0x80000000, v[84:85]
	v_fmac_f64_e32 v[64:65], v[40:41], v[84:85]
	v_fmac_f64_e32 v[62:63], 0x80000000, v[84:85]
	v_fmac_f64_e32 v[60:61], v[36:37], v[84:85]
	s_waitcnt vmcnt(2)
	v_fmac_f64_e32 v[80:81], v[14:15], v[86:87]
	v_fmac_f64_e32 v[76:77], 0, v[86:87]
	v_fmac_f64_e32 v[78:79], v[10:11], v[86:87]
	v_fmac_f64_e32 v[74:75], 0, v[86:87]
	v_fmac_f64_e32 v[66:67], v[42:43], v[86:87]
	v_fmac_f64_e32 v[64:65], 0, v[86:87]
	v_fmac_f64_e32 v[62:63], v[38:39], v[86:87]
	v_fmac_f64_e32 v[60:61], 0, v[86:87]
	v_fmac_f64_e32 v[76:77], v[14:15], v[88:89]
	v_fmac_f64_e32 v[74:75], v[10:11], v[88:89]
	v_fmac_f64_e32 v[64:65], v[42:43], v[88:89]
	v_fmac_f64_e32 v[80:81], 0x80000000, v[88:89]
	v_fmac_f64_e32 v[78:79], 0x80000000, v[88:89]
	v_fmac_f64_e32 v[66:67], 0x80000000, v[88:89]
	v_fmac_f64_e32 v[62:63], 0x80000000, v[88:89]
	v_fmac_f64_e32 v[60:61], v[38:39], v[88:89]
	;; [unrolled: 17-line block ×4, first 2 shown]
	s_andn2_b64 exec, exec, s[18:19]
	s_cbranch_execnz .LBB149_21
; %bb.22:
	s_or_b64 exec, exec, s[18:19]
.LBB149_23:
	s_or_b64 exec, exec, s[16:17]
	s_mov_b64 s[2:3], 0xbf
	v_cmp_lt_u64_e32 vcc, s[2:3], v[22:23]
	s_and_saveexec_b64 s[16:17], vcc
	s_cbranch_execz .LBB149_27
; %bb.24:
	v_lshlrev_b64 v[0:1], 3, v[20:21]
	v_mov_b32_e32 v2, s13
	v_add_co_u32_e32 v0, vcc, s12, v0
	v_addc_co_u32_e32 v1, vcc, v1, v2, vcc
	v_add_co_u32_e32 v0, vcc, 0x400, v0
	v_addc_co_u32_e32 v1, vcc, 0, v1, vcc
	s_mov_b64 s[18:19], 0
	v_mov_b32_e32 v4, s5
	v_mov_b32_e32 v5, s11
	s_movk_i32 s4, 0x2000
	s_movk_i32 s21, 0x4000
	;; [unrolled: 1-line block ×3, first 2 shown]
.LBB149_25:                             ; =>This Inner Loop Header: Depth=1
	global_load_dwordx2 v[2:3], v[0:1], off offset:-1024
	global_load_dwordx4 v[6:9], v[18:19], off offset:48
	global_load_dwordx4 v[10:13], v[18:19], off offset:32
	;; [unrolled: 1-line block ×3, first 2 shown]
	global_load_dwordx4 v[26:29], v[18:19], off
	s_waitcnt vmcnt(4)
	v_subrev_co_u32_e32 v2, vcc, s20, v2
	v_subb_co_u32_e32 v3, vcc, v3, v4, vcc
	v_lshlrev_b64 v[2:3], 6, v[2:3]
	v_add_co_u32_e32 v2, vcc, s10, v2
	v_addc_co_u32_e32 v3, vcc, v5, v3, vcc
	global_load_dwordx4 v[30:33], v[2:3], off offset:48
	global_load_dwordx4 v[34:37], v[2:3], off offset:32
	;; [unrolled: 1-line block ×3, first 2 shown]
	global_load_dwordx4 v[42:45], v[2:3], off
	v_add_co_u32_e32 v2, vcc, s4, v18
	v_addc_co_u32_e32 v3, vcc, 0, v19, vcc
	s_waitcnt vmcnt(0)
	v_fmac_f64_e32 v[76:77], 0, v[42:43]
	v_fmac_f64_e32 v[74:75], 0, v[42:43]
	;; [unrolled: 1-line block ×30, first 2 shown]
	global_load_dwordx4 v[6:9], v[18:19], off offset:112
	global_load_dwordx4 v[10:13], v[18:19], off offset:96
	;; [unrolled: 1-line block ×4, first 2 shown]
	v_fmac_f64_e32 v[60:61], 0, v[42:43]
	v_fmac_f64_e32 v[64:65], 0, v[42:43]
	;; [unrolled: 1-line block ×4, first 2 shown]
	s_waitcnt vmcnt(2)
	v_fmac_f64_e32 v[62:63], v[10:11], v[42:43]
	v_fmac_f64_e32 v[60:61], v[10:11], v[44:45]
	;; [unrolled: 1-line block ×10, first 2 shown]
	global_load_dwordx2 v[6:7], v[0:1], off offset:-512
	s_waitcnt vmcnt(1)
	v_fmac_f64_e32 v[66:67], v[26:27], v[42:43]
	v_fmac_f64_e32 v[66:67], 0x80000000, v[44:45]
	;; [unrolled: 1-line block ×20, first 2 shown]
	s_waitcnt vmcnt(0)
	v_subrev_co_u32_e32 v14, vcc, s20, v6
	v_subb_co_u32_e32 v15, vcc, v7, v4, vcc
	v_lshlrev_b64 v[14:15], 6, v[14:15]
	v_add_co_u32_e32 v14, vcc, s10, v14
	v_addc_co_u32_e32 v15, vcc, v5, v15, vcc
	global_load_dwordx4 v[6:9], v[2:3], off
	global_load_dwordx4 v[10:13], v[2:3], off offset:48
	global_load_dwordx4 v[22:25], v[2:3], off offset:32
	;; [unrolled: 1-line block ×6, first 2 shown]
	global_load_dwordx4 v[42:45], v[14:15], off
	s_waitcnt vmcnt(0)
	v_fmac_f64_e32 v[76:77], 0, v[42:43]
	v_fmac_f64_e32 v[74:75], 0, v[42:43]
	;; [unrolled: 1-line block ×30, first 2 shown]
	global_load_dwordx4 v[6:9], v[2:3], off offset:112
	global_load_dwordx4 v[10:13], v[2:3], off offset:96
	;; [unrolled: 1-line block ×4, first 2 shown]
	v_fmac_f64_e32 v[64:65], 0, v[42:43]
	global_load_dwordx2 v[2:3], v[0:1], off
	v_fmac_f64_e32 v[60:61], 0, v[42:43]
	v_fmac_f64_e32 v[80:81], 0x80000000, v[32:33]
	;; [unrolled: 1-line block ×3, first 2 shown]
	s_waitcnt vmcnt(3)
	v_fmac_f64_e32 v[62:63], v[10:11], v[42:43]
	v_fmac_f64_e32 v[62:63], 0x80000000, v[44:45]
	s_waitcnt vmcnt(1)
	v_fmac_f64_e32 v[66:67], v[26:27], v[42:43]
	v_fmac_f64_e32 v[66:67], 0x80000000, v[44:45]
	;; [unrolled: 1-line block ×4, first 2 shown]
	s_waitcnt vmcnt(0)
	v_subrev_co_u32_e32 v2, vcc, s20, v2
	v_fmac_f64_e32 v[66:67], v[28:29], v[38:39]
	v_fmac_f64_e32 v[64:65], 0, v[38:39]
	;; [unrolled: 1-line block ×4, first 2 shown]
	v_subb_co_u32_e32 v3, vcc, v3, v4, vcc
	v_fmac_f64_e32 v[66:67], 0x80000000, v[40:41]
	v_fmac_f64_e32 v[64:65], v[28:29], v[40:41]
	;; [unrolled: 1-line block ×4, first 2 shown]
	v_add_co_u32_e32 v14, vcc, s21, v18
	v_fmac_f64_e32 v[66:67], v[22:23], v[34:35]
	v_fmac_f64_e32 v[64:65], 0, v[34:35]
	;; [unrolled: 1-line block ×4, first 2 shown]
	v_addc_co_u32_e32 v15, vcc, 0, v19, vcc
	v_lshlrev_b64 v[2:3], 6, v[2:3]
	v_fmac_f64_e32 v[66:67], 0x80000000, v[36:37]
	v_fmac_f64_e32 v[64:65], v[22:23], v[36:37]
	;; [unrolled: 1-line block ×4, first 2 shown]
	v_add_co_u32_e32 v2, vcc, s10, v2
	v_fmac_f64_e32 v[66:67], v[24:25], v[30:31]
	v_fmac_f64_e32 v[64:65], 0, v[30:31]
	;; [unrolled: 1-line block ×4, first 2 shown]
	v_addc_co_u32_e32 v3, vcc, v5, v3, vcc
	v_fmac_f64_e32 v[66:67], 0x80000000, v[32:33]
	v_fmac_f64_e32 v[64:65], v[24:25], v[32:33]
	v_fmac_f64_e32 v[62:63], 0x80000000, v[32:33]
	v_fmac_f64_e32 v[60:61], v[8:9], v[32:33]
	global_load_dwordx4 v[6:9], v[14:15], off
	global_load_dwordx4 v[10:13], v[14:15], off offset:48
	global_load_dwordx4 v[22:25], v[14:15], off offset:32
	;; [unrolled: 1-line block ×6, first 2 shown]
	global_load_dwordx4 v[42:45], v[2:3], off
	s_waitcnt vmcnt(0)
	v_fmac_f64_e32 v[76:77], 0, v[42:43]
	v_fmac_f64_e32 v[74:75], 0, v[42:43]
	;; [unrolled: 1-line block ×30, first 2 shown]
	global_load_dwordx4 v[6:9], v[14:15], off offset:112
	global_load_dwordx4 v[10:13], v[14:15], off offset:96
	;; [unrolled: 1-line block ×4, first 2 shown]
	global_load_dwordx2 v[2:3], v[0:1], off offset:512
	v_fmac_f64_e32 v[64:65], 0, v[42:43]
	v_fmac_f64_e32 v[60:61], 0, v[42:43]
	;; [unrolled: 1-line block ×4, first 2 shown]
	s_waitcnt vmcnt(3)
	v_fmac_f64_e32 v[62:63], v[10:11], v[42:43]
	v_fmac_f64_e32 v[62:63], 0x80000000, v[44:45]
	s_waitcnt vmcnt(1)
	v_fmac_f64_e32 v[66:67], v[26:27], v[42:43]
	v_fmac_f64_e32 v[66:67], 0x80000000, v[44:45]
	v_fmac_f64_e32 v[64:65], v[26:27], v[44:45]
	v_fmac_f64_e32 v[60:61], v[10:11], v[44:45]
	s_waitcnt vmcnt(0)
	v_subrev_co_u32_e32 v2, vcc, s20, v2
	v_fmac_f64_e32 v[66:67], v[28:29], v[38:39]
	v_fmac_f64_e32 v[64:65], 0, v[38:39]
	;; [unrolled: 1-line block ×4, first 2 shown]
	v_subb_co_u32_e32 v3, vcc, v3, v4, vcc
	v_fmac_f64_e32 v[66:67], 0x80000000, v[40:41]
	v_fmac_f64_e32 v[64:65], v[28:29], v[40:41]
	;; [unrolled: 1-line block ×4, first 2 shown]
	v_add_co_u32_e32 v14, vcc, s22, v18
	v_fmac_f64_e32 v[66:67], v[22:23], v[34:35]
	v_fmac_f64_e32 v[64:65], 0, v[34:35]
	;; [unrolled: 1-line block ×4, first 2 shown]
	v_addc_co_u32_e32 v15, vcc, 0, v19, vcc
	v_lshlrev_b64 v[2:3], 6, v[2:3]
	v_fmac_f64_e32 v[66:67], 0x80000000, v[36:37]
	v_fmac_f64_e32 v[64:65], v[22:23], v[36:37]
	;; [unrolled: 1-line block ×4, first 2 shown]
	v_add_co_u32_e32 v2, vcc, s10, v2
	v_fmac_f64_e32 v[66:67], v[24:25], v[30:31]
	v_fmac_f64_e32 v[64:65], 0, v[30:31]
	;; [unrolled: 1-line block ×4, first 2 shown]
	v_addc_co_u32_e32 v3, vcc, v5, v3, vcc
	v_fmac_f64_e32 v[66:67], 0x80000000, v[32:33]
	v_fmac_f64_e32 v[64:65], v[24:25], v[32:33]
	;; [unrolled: 1-line block ×4, first 2 shown]
	global_load_dwordx4 v[6:9], v[14:15], off
	global_load_dwordx4 v[10:13], v[14:15], off offset:48
	global_load_dwordx4 v[22:25], v[14:15], off offset:32
	;; [unrolled: 1-line block ×6, first 2 shown]
	global_load_dwordx4 v[42:45], v[2:3], off
	v_add_co_u32_e32 v20, vcc, 0x100, v20
	v_addc_co_u32_e32 v21, vcc, 0, v21, vcc
	v_add_co_u32_e32 v0, vcc, 0x800, v0
	v_addc_co_u32_e32 v1, vcc, 0, v1, vcc
	v_cmp_ge_i64_e64 s[2:3], v[20:21], v[70:71]
	v_add_co_u32_e32 v18, vcc, 0x8000, v18
	v_addc_co_u32_e32 v19, vcc, 0, v19, vcc
	s_or_b64 s[18:19], s[2:3], s[18:19]
	s_waitcnt vmcnt(0)
	v_fmac_f64_e32 v[76:77], 0, v[42:43]
	v_fmac_f64_e32 v[74:75], 0, v[42:43]
	;; [unrolled: 1-line block ×30, first 2 shown]
	global_load_dwordx4 v[6:9], v[14:15], off offset:112
	global_load_dwordx4 v[10:13], v[14:15], off offset:96
	;; [unrolled: 1-line block ×4, first 2 shown]
	v_fmac_f64_e32 v[64:65], 0, v[42:43]
	v_fmac_f64_e32 v[60:61], 0, v[42:43]
	;; [unrolled: 1-line block ×4, first 2 shown]
	s_waitcnt vmcnt(2)
	v_fmac_f64_e32 v[62:63], v[10:11], v[42:43]
	v_fmac_f64_e32 v[62:63], 0x80000000, v[44:45]
	s_waitcnt vmcnt(0)
	v_fmac_f64_e32 v[66:67], v[26:27], v[42:43]
	v_fmac_f64_e32 v[66:67], 0x80000000, v[44:45]
	;; [unrolled: 1-line block ×28, first 2 shown]
	s_andn2_b64 exec, exec, s[18:19]
	s_cbranch_execnz .LBB149_25
; %bb.26:
	s_or_b64 exec, exec, s[18:19]
.LBB149_27:
	s_or_b64 exec, exec, s[16:17]
.LBB149_28:
	s_or_b64 exec, exec, s[14:15]
	s_andn2_b64 vcc, exec, s[8:9]
	s_cbranch_vccz .LBB149_30
	s_branch .LBB149_41
.LBB149_29:
                                        ; implicit-def: $vgpr76_vgpr77
                                        ; implicit-def: $vgpr80_vgpr81
                                        ; implicit-def: $vgpr74_vgpr75
                                        ; implicit-def: $vgpr78_vgpr79
                                        ; implicit-def: $vgpr64_vgpr65
                                        ; implicit-def: $vgpr66_vgpr67
                                        ; implicit-def: $vgpr60_vgpr61
                                        ; implicit-def: $vgpr62_vgpr63
.LBB149_30:
	v_pk_mov_b32 v[76:77], 0, 0
	v_pk_mov_b32 v[80:81], v[76:77], v[76:77] op_sel:[0,1]
	v_pk_mov_b32 v[74:75], v[76:77], v[76:77] op_sel:[0,1]
	;; [unrolled: 1-line block ×7, first 2 shown]
	s_and_saveexec_b64 s[14:15], s[0:1]
	s_cbranch_execz .LBB149_40
; %bb.31:
	v_or_b32_e32 v0, 64, v58
	v_mov_b32_e32 v1, s5
	v_subrev_co_u32_e32 v0, vcc, s20, v0
	v_subb_co_u32_e32 v1, vcc, 0, v1, vcc
	v_add_co_u32_e32 v0, vcc, v0, v16
	v_addc_co_u32_e32 v1, vcc, v1, v17, vcc
	v_cmp_gt_i64_e32 vcc, v[0:1], v[70:71]
	v_cndmask_b32_e32 v1, v71, v1, vcc
	v_cndmask_b32_e32 v0, v70, v0, vcc
	v_mov_b32_e32 v4, s5
	v_sub_co_u32_e32 v5, vcc, s20, v58
	v_not_b32_e32 v3, v16
	v_subbrev_co_u32_e32 v4, vcc, 0, v4, vcc
	v_not_b32_e32 v2, v17
	v_add_co_u32_e32 v3, vcc, v5, v3
	v_addc_co_u32_e32 v2, vcc, v4, v2, vcc
	v_add_co_u32_e32 v16, vcc, v3, v0
	v_lshrrev_b32_e32 v0, 6, v16
	v_add_u32_e32 v0, 1, v0
	v_addc_co_u32_e32 v17, vcc, v2, v1, vcc
	v_and_b32_e32 v0, 3, v0
	v_pk_mov_b32 v[62:63], 0, 0
	v_cmp_ne_u32_e32 vcc, 0, v0
	s_mov_b64 s[8:9], 0
	v_pk_mov_b32 v[60:61], v[62:63], v[62:63] op_sel:[0,1]
	v_pk_mov_b32 v[66:67], v[62:63], v[62:63] op_sel:[0,1]
	;; [unrolled: 1-line block ×7, first 2 shown]
	s_and_saveexec_b64 s[2:3], vcc
	s_cbranch_execz .LBB149_35
; %bb.32:
	v_lshlrev_b64 v[2:3], 3, v[68:69]
	v_mov_b32_e32 v1, s13
	v_add_co_u32_e32 v20, vcc, s12, v2
	v_pk_mov_b32 v[76:77], 0, 0
	v_mov_b32_e32 v19, 0
	v_addc_co_u32_e32 v21, vcc, v1, v3, vcc
	v_lshlrev_b32_e32 v18, 3, v0
	s_movk_i32 s4, 0x2000
	v_mov_b32_e32 v22, s5
	v_mov_b32_e32 v23, s11
	v_pk_mov_b32 v[80:81], v[76:77], v[76:77] op_sel:[0,1]
	v_pk_mov_b32 v[74:75], v[76:77], v[76:77] op_sel:[0,1]
	;; [unrolled: 1-line block ×7, first 2 shown]
.LBB149_33:                             ; =>This Inner Loop Header: Depth=1
	global_load_dwordx2 v[40:41], v[20:21], off
	global_load_dwordx4 v[0:3], v[72:73], off offset:48
	global_load_dwordx4 v[4:7], v[72:73], off offset:32
	;; [unrolled: 1-line block ×3, first 2 shown]
	global_load_dwordx4 v[12:15], v[72:73], off
	global_load_dwordx4 v[24:27], v[72:73], off offset:112
	global_load_dwordx4 v[28:31], v[72:73], off offset:96
	;; [unrolled: 1-line block ×4, first 2 shown]
	v_add_co_u32_e64 v68, s[0:1], 64, v68
	v_addc_co_u32_e64 v69, s[0:1], 0, v69, s[0:1]
	v_add_co_u32_e64 v18, s[0:1], -8, v18
	v_addc_co_u32_e64 v19, s[0:1], -1, v19, s[0:1]
	v_cmp_eq_u64_e64 s[0:1], 0, v[18:19]
	s_or_b64 s[8:9], s[0:1], s[8:9]
	s_waitcnt vmcnt(8)
	v_subrev_co_u32_e32 v40, vcc, s20, v40
	v_subb_co_u32_e32 v41, vcc, v41, v22, vcc
	v_lshlrev_b64 v[40:41], 6, v[40:41]
	v_add_co_u32_e32 v90, vcc, s10, v40
	v_addc_co_u32_e32 v91, vcc, v23, v41, vcc
	global_load_dwordx4 v[40:43], v[90:91], off
	global_load_dwordx4 v[44:47], v[90:91], off offset:16
	global_load_dwordx4 v[82:85], v[90:91], off offset:32
	;; [unrolled: 1-line block ×3, first 2 shown]
	v_add_co_u32_e32 v72, vcc, s4, v72
	v_addc_co_u32_e32 v73, vcc, 0, v73, vcc
	v_add_co_u32_e32 v20, vcc, 0x200, v20
	v_addc_co_u32_e32 v21, vcc, 0, v21, vcc
	s_waitcnt vmcnt(3)
	v_fmac_f64_e32 v[80:81], v[12:13], v[40:41]
	v_fmac_f64_e32 v[76:77], 0, v[40:41]
	v_fmac_f64_e32 v[78:79], v[14:15], v[40:41]
	v_fmac_f64_e32 v[74:75], 0, v[40:41]
	v_fmac_f64_e32 v[66:67], v[8:9], v[40:41]
	v_fmac_f64_e32 v[64:65], 0, v[40:41]
	v_fmac_f64_e32 v[62:63], v[10:11], v[40:41]
	v_fmac_f64_e32 v[60:61], 0, v[40:41]
	v_fmac_f64_e32 v[80:81], 0x80000000, v[42:43]
	v_fmac_f64_e32 v[76:77], v[12:13], v[42:43]
	v_fmac_f64_e32 v[78:79], 0x80000000, v[42:43]
	v_fmac_f64_e32 v[74:75], v[14:15], v[42:43]
	v_fmac_f64_e32 v[66:67], 0x80000000, v[42:43]
	v_fmac_f64_e32 v[64:65], v[8:9], v[42:43]
	v_fmac_f64_e32 v[62:63], 0x80000000, v[42:43]
	v_fmac_f64_e32 v[60:61], v[10:11], v[42:43]
	s_waitcnt vmcnt(2)
	v_fmac_f64_e32 v[80:81], v[4:5], v[44:45]
	v_fmac_f64_e32 v[76:77], 0, v[44:45]
	v_fmac_f64_e32 v[78:79], v[6:7], v[44:45]
	v_fmac_f64_e32 v[74:75], 0, v[44:45]
	v_fmac_f64_e32 v[66:67], v[0:1], v[44:45]
	v_fmac_f64_e32 v[64:65], 0, v[44:45]
	v_fmac_f64_e32 v[62:63], v[2:3], v[44:45]
	v_fmac_f64_e32 v[60:61], 0, v[44:45]
	v_fmac_f64_e32 v[80:81], 0x80000000, v[46:47]
	v_fmac_f64_e32 v[76:77], v[4:5], v[46:47]
	v_fmac_f64_e32 v[78:79], 0x80000000, v[46:47]
	v_fmac_f64_e32 v[74:75], v[6:7], v[46:47]
	v_fmac_f64_e32 v[66:67], 0x80000000, v[46:47]
	v_fmac_f64_e32 v[64:65], v[0:1], v[46:47]
	v_fmac_f64_e32 v[62:63], 0x80000000, v[46:47]
	v_fmac_f64_e32 v[60:61], v[2:3], v[46:47]
	;; [unrolled: 17-line block ×4, first 2 shown]
	s_andn2_b64 exec, exec, s[8:9]
	s_cbranch_execnz .LBB149_33
; %bb.34:
	s_or_b64 exec, exec, s[8:9]
.LBB149_35:
	s_or_b64 exec, exec, s[2:3]
	s_mov_b64 s[0:1], 0xbf
	v_cmp_lt_u64_e32 vcc, s[0:1], v[16:17]
	s_and_saveexec_b64 s[16:17], vcc
	s_cbranch_execz .LBB149_39
; %bb.36:
	v_lshlrev_b64 v[0:1], 3, v[68:69]
	v_mov_b32_e32 v2, s13
	v_add_co_u32_e32 v0, vcc, s12, v0
	v_addc_co_u32_e32 v1, vcc, v1, v2, vcc
	v_add_co_u32_e32 v82, vcc, 0x400, v0
	v_addc_co_u32_e32 v83, vcc, 0, v1, vcc
	s_mov_b64 s[12:13], 0
	v_mov_b32_e32 v59, s5
	v_mov_b32_e32 v92, s11
	s_movk_i32 s11, 0x2000
	s_movk_i32 s18, 0x4000
	;; [unrolled: 1-line block ×3, first 2 shown]
.LBB149_37:                             ; =>This Inner Loop Header: Depth=1
	global_load_dwordx2 v[32:33], v[82:83], off offset:-1024
	global_load_dwordx4 v[0:3], v[72:73], off offset:48
	global_load_dwordx4 v[4:7], v[72:73], off offset:32
	;; [unrolled: 1-line block ×3, first 2 shown]
	global_load_dwordx4 v[16:19], v[72:73], off
	global_load_dwordx4 v[12:15], v[72:73], off offset:112
	global_load_dwordx4 v[20:23], v[72:73], off offset:96
	;; [unrolled: 1-line block ×4, first 2 shown]
	v_add_co_u32_e64 v34, s[2:3], s11, v72
	v_add_co_u32_e64 v84, s[0:1], s18, v72
	;; [unrolled: 1-line block ×3, first 2 shown]
	v_add_co_u32_e32 v68, vcc, 0x100, v68
	s_mov_b64 s[4:5], vcc
	v_addc_co_u32_e64 v35, vcc, 0, v73, s[2:3]
	v_addc_co_u32_e64 v85, vcc, 0, v73, s[0:1]
	;; [unrolled: 1-line block ×3, first 2 shown]
	global_load_dwordx2 v[36:37], v[82:83], off offset:-512
	global_load_dwordx2 v[86:87], v[82:83], off
	global_load_dwordx2 v[88:89], v[82:83], off offset:512
	v_add_co_u32_e32 v82, vcc, 0x800, v82
	s_mov_b64 s[0:1], vcc
	global_load_dwordx4 v[40:43], v[34:35], off offset:48
	global_load_dwordx4 v[94:97], v[34:35], off offset:32
	global_load_dwordx4 v[98:101], v[34:35], off
	v_addc_co_u32_e64 v83, s[0:1], 0, v83, s[0:1]
	s_waitcnt vmcnt(14)
	v_subrev_co_u32_e32 v32, vcc, s20, v32
	v_subb_co_u32_e32 v33, vcc, v33, v59, vcc
	v_lshlrev_b64 v[32:33], 6, v[32:33]
	v_add_co_u32_e32 v32, vcc, s10, v32
	v_addc_co_u32_e32 v33, vcc, v92, v33, vcc
	global_load_dwordx4 v[44:47], v[32:33], off
	global_load_dwordx4 v[102:105], v[32:33], off offset:16
	s_waitcnt vmcnt(1)
	v_fmac_f64_e32 v[64:65], 0, v[44:45]
	v_fmac_f64_e32 v[60:61], 0, v[44:45]
	;; [unrolled: 1-line block ×8, first 2 shown]
	s_waitcnt vmcnt(0)
	v_fmac_f64_e32 v[64:65], 0, v[102:103]
	v_fmac_f64_e32 v[60:61], 0, v[102:103]
	;; [unrolled: 1-line block ×6, first 2 shown]
	global_load_dwordx4 v[0:3], v[32:33], off offset:32
	v_fmac_f64_e32 v[80:81], v[16:17], v[44:45]
	v_fmac_f64_e32 v[76:77], 0, v[44:45]
	;; [unrolled: 1-line block ×18, first 2 shown]
	global_load_dwordx4 v[8:11], v[34:35], off offset:16
	global_load_dwordx4 v[4:7], v[34:35], off offset:80
	global_load_dwordx4 v[102:105], v[34:35], off offset:64
	global_load_dwordx4 v[16:19], v[34:35], off offset:112
	global_load_dwordx4 v[44:47], v[34:35], off offset:96
	s_waitcnt vmcnt(5)
	v_fmac_f64_e32 v[80:81], v[28:29], v[0:1]
	v_fmac_f64_e32 v[76:77], 0, v[0:1]
	;; [unrolled: 1-line block ×8, first 2 shown]
	v_subrev_co_u32_e32 v0, vcc, s20, v36
	v_subb_co_u32_e32 v1, vcc, v37, v59, vcc
	v_lshlrev_b64 v[0:1], 6, v[0:1]
	v_add_co_u32_e32 v106, vcc, s10, v0
	v_fmac_f64_e32 v[76:77], v[28:29], v[2:3]
	v_fmac_f64_e32 v[74:75], v[30:31], v[2:3]
	;; [unrolled: 1-line block ×8, first 2 shown]
	v_addc_co_u32_e32 v107, vcc, v92, v1, vcc
	global_load_dwordx4 v[0:3], v[32:33], off offset:48
	global_load_dwordx4 v[28:31], v[84:85], off
	global_load_dwordx4 v[24:27], v[84:85], off offset:48
	global_load_dwordx4 v[36:39], v[84:85], off offset:32
	s_waitcnt vmcnt(3)
	v_fmac_f64_e32 v[64:65], 0, v[0:1]
	v_fmac_f64_e32 v[60:61], 0, v[0:1]
	;; [unrolled: 1-line block ×6, first 2 shown]
	global_load_dwordx4 v[12:15], v[106:107], off
	v_fmac_f64_e32 v[66:67], 0x80000000, v[2:3]
	v_fmac_f64_e32 v[62:63], 0x80000000, v[2:3]
	;; [unrolled: 1-line block ×10, first 2 shown]
	global_load_dwordx4 v[0:3], v[84:85], off offset:112
	global_load_dwordx4 v[32:35], v[84:85], off offset:96
	;; [unrolled: 1-line block ×3, first 2 shown]
	s_waitcnt vmcnt(3)
	v_fmac_f64_e32 v[64:65], 0, v[12:13]
	v_fmac_f64_e32 v[60:61], 0, v[12:13]
	;; [unrolled: 1-line block ×6, first 2 shown]
	global_load_dwordx4 v[8:11], v[106:107], off offset:16
	v_fmac_f64_e32 v[80:81], v[98:99], v[12:13]
	v_fmac_f64_e32 v[76:77], 0, v[12:13]
	;; [unrolled: 1-line block ×10, first 2 shown]
	v_subrev_co_u32_e32 v12, vcc, s20, v86
	global_load_dwordx4 v[98:101], v[84:85], off offset:16
	v_subb_co_u32_e32 v13, vcc, v87, v59, vcc
	v_lshlrev_b64 v[12:13], 6, v[12:13]
	s_waitcnt vmcnt(1)
	v_fmac_f64_e32 v[80:81], v[94:95], v[8:9]
	v_fmac_f64_e32 v[76:77], 0, v[8:9]
	;; [unrolled: 1-line block ×16, first 2 shown]
	global_load_dwordx4 v[8:11], v[106:107], off offset:32
	global_load_dwordx4 v[40:43], v[84:85], off offset:80
	global_load_dwordx4 v[94:97], v[84:85], off offset:64
	s_nop 0
	global_load_dwordx4 v[84:87], v[106:107], off offset:48
	s_waitcnt vmcnt(3)
	v_fmac_f64_e32 v[76:77], 0, v[8:9]
	v_fmac_f64_e32 v[74:75], 0, v[8:9]
	;; [unrolled: 1-line block ×6, first 2 shown]
	v_add_co_u32_e32 v102, vcc, s10, v12
	v_fmac_f64_e32 v[80:81], 0x80000000, v[10:11]
	v_fmac_f64_e32 v[78:79], 0x80000000, v[10:11]
	v_addc_co_u32_e32 v103, vcc, v92, v13, vcc
	s_waitcnt vmcnt(0)
	v_fmac_f64_e32 v[76:77], 0, v[84:85]
	v_fmac_f64_e32 v[74:75], 0, v[84:85]
	;; [unrolled: 1-line block ×6, first 2 shown]
	global_load_dwordx4 v[44:47], v[102:103], off
	v_fmac_f64_e32 v[66:67], v[4:5], v[8:9]
	v_fmac_f64_e32 v[64:65], 0, v[8:9]
	;; [unrolled: 1-line block ×18, first 2 shown]
	global_load_dwordx4 v[4:7], v[90:91], off offset:48
	global_load_dwordx4 v[8:11], v[90:91], off offset:32
	global_load_dwordx4 v[12:15], v[90:91], off
	global_load_dwordx4 v[16:19], v[90:91], off offset:112
	v_addc_co_u32_e64 v69, vcc, 0, v69, s[4:5]
	v_add_co_u32_e32 v72, vcc, 0x8000, v72
	v_cmp_ge_i64_e64 s[0:1], v[68:69], v[70:71]
	v_addc_co_u32_e32 v73, vcc, 0, v73, vcc
	s_or_b64 s[12:13], s[0:1], s[12:13]
	s_waitcnt vmcnt(4)
	v_fmac_f64_e32 v[80:81], v[28:29], v[44:45]
	v_fmac_f64_e32 v[76:77], 0, v[44:45]
	;; [unrolled: 1-line block ×10, first 2 shown]
	global_load_dwordx4 v[28:31], v[90:91], off offset:96
	v_fmac_f64_e32 v[64:65], v[98:99], v[46:47]
	v_fmac_f64_e32 v[60:61], v[100:101], v[46:47]
	;; [unrolled: 1-line block ×6, first 2 shown]
	global_load_dwordx4 v[44:47], v[102:103], off offset:16
	s_waitcnt vmcnt(0)
	v_fmac_f64_e32 v[80:81], v[36:37], v[44:45]
	v_fmac_f64_e32 v[76:77], 0, v[44:45]
	;; [unrolled: 1-line block ×8, first 2 shown]
	v_subrev_co_u32_e64 v44, s[2:3], s20, v88
	v_subb_co_u32_e64 v45, s[2:3], v89, v59, s[2:3]
	v_lshlrev_b64 v[44:45], 6, v[44:45]
	v_add_co_u32_e64 v98, s[2:3], s10, v44
	v_fmac_f64_e32 v[76:77], v[36:37], v[46:47]
	v_fmac_f64_e32 v[74:75], v[38:39], v[46:47]
	global_load_dwordx4 v[36:39], v[90:91], off offset:80
	v_fmac_f64_e32 v[64:65], v[24:25], v[46:47]
	v_fmac_f64_e32 v[60:61], v[26:27], v[46:47]
	global_load_dwordx4 v[24:27], v[90:91], off offset:64
	v_addc_co_u32_e64 v99, s[2:3], v92, v45, s[2:3]
	v_fmac_f64_e32 v[80:81], 0x80000000, v[46:47]
	v_fmac_f64_e32 v[78:79], 0x80000000, v[46:47]
	;; [unrolled: 1-line block ×4, first 2 shown]
	global_load_dwordx4 v[44:47], v[102:103], off offset:32
	global_load_dwordx4 v[84:87], v[102:103], off offset:48
	global_load_dwordx4 v[88:91], v[98:99], off
	s_waitcnt vmcnt(2)
	v_fmac_f64_e32 v[64:65], 0, v[44:45]
	v_fmac_f64_e32 v[60:61], 0, v[44:45]
	;; [unrolled: 1-line block ×6, first 2 shown]
	global_load_dwordx4 v[40:43], v[98:99], off offset:16
	v_fmac_f64_e32 v[80:81], v[94:95], v[44:45]
	v_fmac_f64_e32 v[76:77], 0, v[44:45]
	v_fmac_f64_e32 v[78:79], v[96:97], v[44:45]
	v_fmac_f64_e32 v[74:75], 0, v[44:45]
	v_fmac_f64_e32 v[76:77], v[94:95], v[46:47]
	v_fmac_f64_e32 v[74:75], v[96:97], v[46:47]
	v_fmac_f64_e32 v[80:81], 0x80000000, v[46:47]
	v_fmac_f64_e32 v[78:79], 0x80000000, v[46:47]
	v_fmac_f64_e32 v[66:67], 0x80000000, v[46:47]
	v_fmac_f64_e32 v[62:63], 0x80000000, v[46:47]
	global_load_dwordx4 v[44:47], v[98:99], off offset:32
	s_waitcnt vmcnt(3)
	v_fmac_f64_e32 v[76:77], 0, v[84:85]
	v_fmac_f64_e32 v[74:75], 0, v[84:85]
	v_fmac_f64_e32 v[80:81], v[32:33], v[84:85]
	v_fmac_f64_e32 v[78:79], v[34:35], v[84:85]
	v_fmac_f64_e32 v[76:77], v[32:33], v[86:87]
	v_fmac_f64_e32 v[74:75], v[34:35], v[86:87]
	global_load_dwordx4 v[32:35], v[98:99], off offset:48
	v_fmac_f64_e32 v[66:67], v[0:1], v[84:85]
	v_fmac_f64_e32 v[64:65], 0, v[84:85]
	v_fmac_f64_e32 v[62:63], v[2:3], v[84:85]
	v_fmac_f64_e32 v[60:61], 0, v[84:85]
	v_fmac_f64_e32 v[80:81], 0x80000000, v[86:87]
	v_fmac_f64_e32 v[78:79], 0x80000000, v[86:87]
	v_fmac_f64_e32 v[66:67], 0x80000000, v[86:87]
	v_fmac_f64_e32 v[64:65], v[0:1], v[86:87]
	v_fmac_f64_e32 v[62:63], 0x80000000, v[86:87]
	v_fmac_f64_e32 v[60:61], v[2:3], v[86:87]
	s_waitcnt vmcnt(3)
	v_fmac_f64_e32 v[80:81], v[12:13], v[88:89]
	v_fmac_f64_e32 v[76:77], 0, v[88:89]
	v_fmac_f64_e32 v[78:79], v[14:15], v[88:89]
	v_fmac_f64_e32 v[74:75], 0, v[88:89]
	v_fmac_f64_e32 v[66:67], v[20:21], v[88:89]
	v_fmac_f64_e32 v[64:65], 0, v[88:89]
	v_fmac_f64_e32 v[62:63], v[22:23], v[88:89]
	v_fmac_f64_e32 v[60:61], 0, v[88:89]
	v_fmac_f64_e32 v[80:81], 0x80000000, v[90:91]
	v_fmac_f64_e32 v[76:77], v[12:13], v[90:91]
	v_fmac_f64_e32 v[78:79], 0x80000000, v[90:91]
	v_fmac_f64_e32 v[74:75], v[14:15], v[90:91]
	v_fmac_f64_e32 v[66:67], 0x80000000, v[90:91]
	v_fmac_f64_e32 v[64:65], v[20:21], v[90:91]
	v_fmac_f64_e32 v[62:63], 0x80000000, v[90:91]
	v_fmac_f64_e32 v[60:61], v[22:23], v[90:91]
	s_waitcnt vmcnt(2)
	v_fmac_f64_e32 v[80:81], v[8:9], v[40:41]
	v_fmac_f64_e32 v[76:77], 0, v[40:41]
	v_fmac_f64_e32 v[78:79], v[10:11], v[40:41]
	v_fmac_f64_e32 v[74:75], 0, v[40:41]
	v_fmac_f64_e32 v[66:67], v[4:5], v[40:41]
	v_fmac_f64_e32 v[64:65], 0, v[40:41]
	;; [unrolled: 17-line block ×4, first 2 shown]
	v_fmac_f64_e32 v[62:63], v[18:19], v[32:33]
	v_fmac_f64_e32 v[60:61], 0, v[32:33]
	;; [unrolled: 1-line block ×10, first 2 shown]
	s_andn2_b64 exec, exec, s[12:13]
	s_cbranch_execnz .LBB149_37
; %bb.38:
	s_or_b64 exec, exec, s[12:13]
.LBB149_39:
	s_or_b64 exec, exec, s[16:17]
.LBB149_40:
	s_or_b64 exec, exec, s[14:15]
.LBB149_41:
	v_mov_b32_dpp v0, v80 row_shr:1 row_mask:0xf bank_mask:0xf
	v_mov_b32_dpp v1, v81 row_shr:1 row_mask:0xf bank_mask:0xf
	v_mov_b32_dpp v4, v76 row_shr:1 row_mask:0xf bank_mask:0xf
	v_mov_b32_dpp v5, v77 row_shr:1 row_mask:0xf bank_mask:0xf
	v_mov_b32_dpp v8, v78 row_shr:1 row_mask:0xf bank_mask:0xf
	v_mov_b32_dpp v9, v79 row_shr:1 row_mask:0xf bank_mask:0xf
	v_mov_b32_dpp v12, v74 row_shr:1 row_mask:0xf bank_mask:0xf
	v_mov_b32_dpp v13, v75 row_shr:1 row_mask:0xf bank_mask:0xf
	v_mov_b32_dpp v16, v66 row_shr:1 row_mask:0xf bank_mask:0xf
	v_mov_b32_dpp v17, v67 row_shr:1 row_mask:0xf bank_mask:0xf
	v_mov_b32_dpp v20, v64 row_shr:1 row_mask:0xf bank_mask:0xf
	v_mov_b32_dpp v21, v65 row_shr:1 row_mask:0xf bank_mask:0xf
	v_mov_b32_dpp v24, v62 row_shr:1 row_mask:0xf bank_mask:0xf
	v_mov_b32_dpp v25, v63 row_shr:1 row_mask:0xf bank_mask:0xf
	v_mov_b32_dpp v28, v60 row_shr:1 row_mask:0xf bank_mask:0xf
	v_mov_b32_dpp v29, v61 row_shr:1 row_mask:0xf bank_mask:0xf
	v_add_f64 v[0:1], v[80:81], v[0:1]
	v_add_f64 v[4:5], v[76:77], v[4:5]
	v_add_f64 v[8:9], v[78:79], v[8:9]
	v_add_f64 v[12:13], v[74:75], v[12:13]
	v_add_f64 v[16:17], v[66:67], v[16:17]
	v_add_f64 v[20:21], v[64:65], v[20:21]
	v_add_f64 v[24:25], v[62:63], v[24:25]
	v_add_f64 v[28:29], v[60:61], v[28:29]
	v_mov_b32_dpp v2, v0 row_shr:2 row_mask:0xf bank_mask:0xf
	v_mov_b32_dpp v3, v1 row_shr:2 row_mask:0xf bank_mask:0xf
	v_mov_b32_dpp v6, v4 row_shr:2 row_mask:0xf bank_mask:0xf
	v_mov_b32_dpp v7, v5 row_shr:2 row_mask:0xf bank_mask:0xf
	v_mov_b32_dpp v10, v8 row_shr:2 row_mask:0xf bank_mask:0xf
	v_mov_b32_dpp v11, v9 row_shr:2 row_mask:0xf bank_mask:0xf
	v_mov_b32_dpp v14, v12 row_shr:2 row_mask:0xf bank_mask:0xf
	v_mov_b32_dpp v15, v13 row_shr:2 row_mask:0xf bank_mask:0xf
	v_mov_b32_dpp v18, v16 row_shr:2 row_mask:0xf bank_mask:0xf
	v_mov_b32_dpp v19, v17 row_shr:2 row_mask:0xf bank_mask:0xf
	v_mov_b32_dpp v22, v20 row_shr:2 row_mask:0xf bank_mask:0xf
	v_mov_b32_dpp v23, v21 row_shr:2 row_mask:0xf bank_mask:0xf
	v_mov_b32_dpp v26, v24 row_shr:2 row_mask:0xf bank_mask:0xf
	v_mov_b32_dpp v27, v25 row_shr:2 row_mask:0xf bank_mask:0xf
	v_mov_b32_dpp v30, v28 row_shr:2 row_mask:0xf bank_mask:0xf
	v_mov_b32_dpp v31, v29 row_shr:2 row_mask:0xf bank_mask:0xf
	v_add_f64 v[0:1], v[0:1], v[2:3]
	v_add_f64 v[4:5], v[4:5], v[6:7]
	v_add_f64 v[8:9], v[8:9], v[10:11]
	v_add_f64 v[12:13], v[12:13], v[14:15]
	v_add_f64 v[16:17], v[16:17], v[18:19]
	v_add_f64 v[20:21], v[20:21], v[22:23]
	v_add_f64 v[24:25], v[24:25], v[26:27]
	v_add_f64 v[28:29], v[28:29], v[30:31]
	v_mov_b32_dpp v2, v0 row_shr:4 row_mask:0xf bank_mask:0xe
	v_mov_b32_dpp v3, v1 row_shr:4 row_mask:0xf bank_mask:0xe
	v_mov_b32_dpp v6, v4 row_shr:4 row_mask:0xf bank_mask:0xe
	v_mov_b32_dpp v7, v5 row_shr:4 row_mask:0xf bank_mask:0xe
	v_mov_b32_dpp v10, v8 row_shr:4 row_mask:0xf bank_mask:0xe
	v_mov_b32_dpp v11, v9 row_shr:4 row_mask:0xf bank_mask:0xe
	v_mov_b32_dpp v14, v12 row_shr:4 row_mask:0xf bank_mask:0xe
	v_mov_b32_dpp v15, v13 row_shr:4 row_mask:0xf bank_mask:0xe
	v_mov_b32_dpp v18, v16 row_shr:4 row_mask:0xf bank_mask:0xe
	v_mov_b32_dpp v19, v17 row_shr:4 row_mask:0xf bank_mask:0xe
	v_mov_b32_dpp v22, v20 row_shr:4 row_mask:0xf bank_mask:0xe
	v_mov_b32_dpp v23, v21 row_shr:4 row_mask:0xf bank_mask:0xe
	v_mov_b32_dpp v26, v24 row_shr:4 row_mask:0xf bank_mask:0xe
	v_mov_b32_dpp v27, v25 row_shr:4 row_mask:0xf bank_mask:0xe
	v_mov_b32_dpp v30, v28 row_shr:4 row_mask:0xf bank_mask:0xe
	v_mov_b32_dpp v31, v29 row_shr:4 row_mask:0xf bank_mask:0xe
	v_add_f64 v[0:1], v[0:1], v[2:3]
	v_add_f64 v[4:5], v[4:5], v[6:7]
	v_add_f64 v[8:9], v[8:9], v[10:11]
	v_add_f64 v[12:13], v[12:13], v[14:15]
	v_add_f64 v[16:17], v[16:17], v[18:19]
	v_add_f64 v[20:21], v[20:21], v[22:23]
	v_add_f64 v[24:25], v[24:25], v[26:27]
	v_add_f64 v[28:29], v[28:29], v[30:31]
	v_mov_b32_dpp v2, v0 row_shr:8 row_mask:0xf bank_mask:0xc
	v_mov_b32_dpp v3, v1 row_shr:8 row_mask:0xf bank_mask:0xc
	v_mov_b32_dpp v6, v4 row_shr:8 row_mask:0xf bank_mask:0xc
	v_mov_b32_dpp v7, v5 row_shr:8 row_mask:0xf bank_mask:0xc
	v_mov_b32_dpp v10, v8 row_shr:8 row_mask:0xf bank_mask:0xc
	v_mov_b32_dpp v11, v9 row_shr:8 row_mask:0xf bank_mask:0xc
	v_mov_b32_dpp v14, v12 row_shr:8 row_mask:0xf bank_mask:0xc
	v_mov_b32_dpp v15, v13 row_shr:8 row_mask:0xf bank_mask:0xc
	v_mov_b32_dpp v18, v16 row_shr:8 row_mask:0xf bank_mask:0xc
	v_mov_b32_dpp v19, v17 row_shr:8 row_mask:0xf bank_mask:0xc
	v_mov_b32_dpp v22, v20 row_shr:8 row_mask:0xf bank_mask:0xc
	v_mov_b32_dpp v23, v21 row_shr:8 row_mask:0xf bank_mask:0xc
	v_mov_b32_dpp v26, v24 row_shr:8 row_mask:0xf bank_mask:0xc
	v_mov_b32_dpp v27, v25 row_shr:8 row_mask:0xf bank_mask:0xc
	v_mov_b32_dpp v30, v28 row_shr:8 row_mask:0xf bank_mask:0xc
	v_mov_b32_dpp v31, v29 row_shr:8 row_mask:0xf bank_mask:0xc
	v_add_f64 v[0:1], v[0:1], v[2:3]
	v_add_f64 v[4:5], v[4:5], v[6:7]
	v_add_f64 v[8:9], v[8:9], v[10:11]
	v_add_f64 v[12:13], v[12:13], v[14:15]
	v_add_f64 v[16:17], v[16:17], v[18:19]
	v_add_f64 v[20:21], v[20:21], v[22:23]
	v_add_f64 v[24:25], v[24:25], v[26:27]
	v_add_f64 v[28:29], v[28:29], v[30:31]
	v_mov_b32_dpp v2, v0 row_bcast:15 row_mask:0xa bank_mask:0xf
	v_mov_b32_dpp v3, v1 row_bcast:15 row_mask:0xa bank_mask:0xf
	;; [unrolled: 1-line block ×16, first 2 shown]
	v_add_f64 v[0:1], v[0:1], v[2:3]
	v_add_f64 v[4:5], v[4:5], v[6:7]
	;; [unrolled: 1-line block ×8, first 2 shown]
	v_mov_b32_dpp v2, v0 row_bcast:31 row_mask:0xc bank_mask:0xf
	v_mov_b32_dpp v3, v1 row_bcast:31 row_mask:0xc bank_mask:0xf
	;; [unrolled: 1-line block ×16, first 2 shown]
	v_cmp_eq_u32_e32 vcc, 63, v58
	s_and_b64 exec, exec, vcc
	s_cbranch_execz .LBB149_12
; %bb.42:
	s_load_dwordx2 s[2:3], s[6:7], 0x68
	v_add_f64 v[32:33], v[0:1], v[2:3]
	v_add_f64 v[0:1], v[4:5], v[6:7]
	v_add_f64 v[2:3], v[12:13], v[14:15]
	v_add_f64 v[18:19], v[16:17], v[18:19]
	v_add_f64 v[6:7], v[20:21], v[22:23]
	v_add_f64 v[16:17], v[28:29], v[30:31]
	v_add_f64 v[34:35], v[8:9], v[10:11]
	v_add_f64 v[20:21], v[24:25], v[26:27]
	v_cmp_eq_f64_e32 vcc, 0, v[48:49]
	v_cmp_eq_f64_e64 s[0:1], 0, v[50:51]
	v_mul_f64 v[12:13], v[0:1], -v[54:55]
	v_mul_f64 v[14:15], v[52:53], v[0:1]
	v_mul_f64 v[8:9], v[2:3], -v[54:55]
	v_mul_f64 v[10:11], v[52:53], v[2:3]
	;; [unrolled: 2-line block ×4, first 2 shown]
	s_and_b64 s[0:1], vcc, s[0:1]
	v_fmac_f64_e32 v[12:13], v[52:53], v[32:33]
	v_fmac_f64_e32 v[14:15], v[54:55], v[32:33]
	v_lshlrev_b64 v[16:17], 6, v[56:57]
	v_fmac_f64_e32 v[8:9], v[52:53], v[34:35]
	v_fmac_f64_e32 v[10:11], v[54:55], v[34:35]
	;; [unrolled: 1-line block ×6, first 2 shown]
	s_and_saveexec_b64 s[4:5], s[0:1]
	s_xor_b64 s[0:1], exec, s[4:5]
	s_cbranch_execz .LBB149_44
; %bb.43:
	s_waitcnt lgkmcnt(0)
	v_mov_b32_e32 v18, s3
	v_add_co_u32_e32 v16, vcc, s2, v16
	v_addc_co_u32_e32 v17, vcc, v18, v17, vcc
	global_store_dwordx4 v[16:17], v[12:15], off
	global_store_dwordx4 v[16:17], v[8:11], off offset:16
	global_store_dwordx4 v[16:17], v[4:7], off offset:32
	;; [unrolled: 1-line block ×3, first 2 shown]
                                        ; implicit-def: $vgpr48_vgpr49
                                        ; implicit-def: $vgpr50_vgpr51
                                        ; implicit-def: $vgpr12_vgpr13
                                        ; implicit-def: $vgpr16_vgpr17
                                        ; implicit-def: $vgpr8_vgpr9
                                        ; implicit-def: $vgpr4_vgpr5
                                        ; implicit-def: $vgpr0_vgpr1
.LBB149_44:
	s_andn2_saveexec_b64 s[0:1], s[0:1]
	s_cbranch_execz .LBB149_12
; %bb.45:
	s_waitcnt lgkmcnt(0)
	v_mov_b32_e32 v18, s3
	v_add_co_u32_e32 v32, vcc, s2, v16
	v_addc_co_u32_e32 v33, vcc, v18, v17, vcc
	global_load_dwordx4 v[16:19], v[32:33], off
	global_load_dwordx4 v[20:23], v[32:33], off offset:16
	global_load_dwordx4 v[24:27], v[32:33], off offset:32
	;; [unrolled: 1-line block ×3, first 2 shown]
	s_waitcnt vmcnt(3)
	v_fmac_f64_e32 v[12:13], v[48:49], v[16:17]
	v_fmac_f64_e32 v[14:15], v[50:51], v[16:17]
	s_waitcnt vmcnt(2)
	v_fmac_f64_e32 v[8:9], v[48:49], v[20:21]
	v_fmac_f64_e32 v[10:11], v[50:51], v[20:21]
	;; [unrolled: 3-line block ×4, first 2 shown]
	v_fma_f64 v[12:13], -v[50:51], v[18:19], v[12:13]
	v_fmac_f64_e32 v[14:15], v[48:49], v[18:19]
	v_fma_f64 v[8:9], -v[50:51], v[22:23], v[8:9]
	v_fmac_f64_e32 v[10:11], v[48:49], v[22:23]
	v_fma_f64 v[4:5], -v[50:51], v[26:27], v[4:5]
	v_fmac_f64_e32 v[6:7], v[48:49], v[26:27]
	v_fma_f64 v[0:1], -v[50:51], v[30:31], v[0:1]
	v_fmac_f64_e32 v[2:3], v[48:49], v[30:31]
	global_store_dwordx4 v[32:33], v[12:15], off
	global_store_dwordx4 v[32:33], v[8:11], off offset:16
	global_store_dwordx4 v[32:33], v[4:7], off offset:32
	;; [unrolled: 1-line block ×3, first 2 shown]
	s_endpgm
	.section	.rodata,"a",@progbits
	.p2align	6, 0x0
	.amdhsa_kernel _ZN9rocsparseL18bsrxmvn_4x4_kernelILj128ELj64E21rocsparse_complex_numIdElldS2_S2_EEvT3_20rocsparse_direction_NS_24const_host_device_scalarIT1_EES3_PKS3_PKT2_SC_S9_PKT4_PKT5_S7_PT6_21rocsparse_index_base_b
		.amdhsa_group_segment_fixed_size 2048
		.amdhsa_private_segment_fixed_size 0
		.amdhsa_kernarg_size 120
		.amdhsa_user_sgpr_count 8
		.amdhsa_user_sgpr_private_segment_buffer 1
		.amdhsa_user_sgpr_dispatch_ptr 1
		.amdhsa_user_sgpr_queue_ptr 0
		.amdhsa_user_sgpr_kernarg_segment_ptr 1
		.amdhsa_user_sgpr_dispatch_id 0
		.amdhsa_user_sgpr_flat_scratch_init 0
		.amdhsa_user_sgpr_kernarg_preload_length 0
		.amdhsa_user_sgpr_kernarg_preload_offset 0
		.amdhsa_user_sgpr_private_segment_size 0
		.amdhsa_uses_dynamic_stack 0
		.amdhsa_system_sgpr_private_segment_wavefront_offset 0
		.amdhsa_system_sgpr_workgroup_id_x 1
		.amdhsa_system_sgpr_workgroup_id_y 0
		.amdhsa_system_sgpr_workgroup_id_z 0
		.amdhsa_system_sgpr_workgroup_info 0
		.amdhsa_system_vgpr_workitem_id 2
		.amdhsa_next_free_vgpr 108
		.amdhsa_next_free_sgpr 23
		.amdhsa_accum_offset 108
		.amdhsa_reserve_vcc 1
		.amdhsa_reserve_flat_scratch 0
		.amdhsa_float_round_mode_32 0
		.amdhsa_float_round_mode_16_64 0
		.amdhsa_float_denorm_mode_32 3
		.amdhsa_float_denorm_mode_16_64 3
		.amdhsa_dx10_clamp 1
		.amdhsa_ieee_mode 1
		.amdhsa_fp16_overflow 0
		.amdhsa_tg_split 0
		.amdhsa_exception_fp_ieee_invalid_op 0
		.amdhsa_exception_fp_denorm_src 0
		.amdhsa_exception_fp_ieee_div_zero 0
		.amdhsa_exception_fp_ieee_overflow 0
		.amdhsa_exception_fp_ieee_underflow 0
		.amdhsa_exception_fp_ieee_inexact 0
		.amdhsa_exception_int_div_zero 0
	.end_amdhsa_kernel
	.section	.text._ZN9rocsparseL18bsrxmvn_4x4_kernelILj128ELj64E21rocsparse_complex_numIdElldS2_S2_EEvT3_20rocsparse_direction_NS_24const_host_device_scalarIT1_EES3_PKS3_PKT2_SC_S9_PKT4_PKT5_S7_PT6_21rocsparse_index_base_b,"axG",@progbits,_ZN9rocsparseL18bsrxmvn_4x4_kernelILj128ELj64E21rocsparse_complex_numIdElldS2_S2_EEvT3_20rocsparse_direction_NS_24const_host_device_scalarIT1_EES3_PKS3_PKT2_SC_S9_PKT4_PKT5_S7_PT6_21rocsparse_index_base_b,comdat
.Lfunc_end149:
	.size	_ZN9rocsparseL18bsrxmvn_4x4_kernelILj128ELj64E21rocsparse_complex_numIdElldS2_S2_EEvT3_20rocsparse_direction_NS_24const_host_device_scalarIT1_EES3_PKS3_PKT2_SC_S9_PKT4_PKT5_S7_PT6_21rocsparse_index_base_b, .Lfunc_end149-_ZN9rocsparseL18bsrxmvn_4x4_kernelILj128ELj64E21rocsparse_complex_numIdElldS2_S2_EEvT3_20rocsparse_direction_NS_24const_host_device_scalarIT1_EES3_PKS3_PKT2_SC_S9_PKT4_PKT5_S7_PT6_21rocsparse_index_base_b
                                        ; -- End function
	.section	.AMDGPU.csdata,"",@progbits
; Kernel info:
; codeLenInByte = 8176
; NumSgprs: 27
; NumVgprs: 108
; NumAgprs: 0
; TotalNumVgprs: 108
; ScratchSize: 0
; MemoryBound: 0
; FloatMode: 240
; IeeeMode: 1
; LDSByteSize: 2048 bytes/workgroup (compile time only)
; SGPRBlocks: 3
; VGPRBlocks: 13
; NumSGPRsForWavesPerEU: 27
; NumVGPRsForWavesPerEU: 108
; AccumOffset: 108
; Occupancy: 4
; WaveLimiterHint : 1
; COMPUTE_PGM_RSRC2:SCRATCH_EN: 0
; COMPUTE_PGM_RSRC2:USER_SGPR: 8
; COMPUTE_PGM_RSRC2:TRAP_HANDLER: 0
; COMPUTE_PGM_RSRC2:TGID_X_EN: 1
; COMPUTE_PGM_RSRC2:TGID_Y_EN: 0
; COMPUTE_PGM_RSRC2:TGID_Z_EN: 0
; COMPUTE_PGM_RSRC2:TIDIG_COMP_CNT: 2
; COMPUTE_PGM_RSRC3_GFX90A:ACCUM_OFFSET: 26
; COMPUTE_PGM_RSRC3_GFX90A:TG_SPLIT: 0
	.section	.text._ZN9rocsparseL18bsrxmvn_4x4_kernelILj128ELj4EdiifddEEvT3_20rocsparse_direction_NS_24const_host_device_scalarIT1_EES1_PKS1_PKT2_SA_S7_PKT4_PKT5_S5_PT6_21rocsparse_index_base_b,"axG",@progbits,_ZN9rocsparseL18bsrxmvn_4x4_kernelILj128ELj4EdiifddEEvT3_20rocsparse_direction_NS_24const_host_device_scalarIT1_EES1_PKS1_PKT2_SA_S7_PKT4_PKT5_S5_PT6_21rocsparse_index_base_b,comdat
	.globl	_ZN9rocsparseL18bsrxmvn_4x4_kernelILj128ELj4EdiifddEEvT3_20rocsparse_direction_NS_24const_host_device_scalarIT1_EES1_PKS1_PKT2_SA_S7_PKT4_PKT5_S5_PT6_21rocsparse_index_base_b ; -- Begin function _ZN9rocsparseL18bsrxmvn_4x4_kernelILj128ELj4EdiifddEEvT3_20rocsparse_direction_NS_24const_host_device_scalarIT1_EES1_PKS1_PKT2_SA_S7_PKT4_PKT5_S5_PT6_21rocsparse_index_base_b
	.p2align	8
	.type	_ZN9rocsparseL18bsrxmvn_4x4_kernelILj128ELj4EdiifddEEvT3_20rocsparse_direction_NS_24const_host_device_scalarIT1_EES1_PKS1_PKT2_SA_S7_PKT4_PKT5_S5_PT6_21rocsparse_index_base_b,@function
_ZN9rocsparseL18bsrxmvn_4x4_kernelILj128ELj4EdiifddEEvT3_20rocsparse_direction_NS_24const_host_device_scalarIT1_EES1_PKS1_PKT2_SA_S7_PKT4_PKT5_S5_PT6_21rocsparse_index_base_b: ; @_ZN9rocsparseL18bsrxmvn_4x4_kernelILj128ELj4EdiifddEEvT3_20rocsparse_direction_NS_24const_host_device_scalarIT1_EES1_PKS1_PKT2_SA_S7_PKT4_PKT5_S5_PT6_21rocsparse_index_base_b
; %bb.0:
	s_load_dwordx2 s[2:3], s[4:5], 0x58
	s_load_dwordx2 s[10:11], s[4:5], 0x8
	;; [unrolled: 1-line block ×3, first 2 shown]
	s_waitcnt lgkmcnt(0)
	s_bitcmp1_b32 s3, 0
	s_cselect_b64 s[12:13], -1, 0
	s_xor_b64 s[8:9], s[12:13], -1
	s_and_b64 vcc, exec, s[12:13]
	v_pk_mov_b32 v[2:3], s[10:11], s[10:11] op_sel:[0,1]
	s_cbranch_vccnz .LBB150_2
; %bb.1:
	v_pk_mov_b32 v[2:3], s[10:11], s[10:11] op_sel:[0,1]
	flat_load_dwordx2 v[2:3], v[2:3]
.LBB150_2:
	s_andn2_b64 vcc, exec, s[8:9]
	v_pk_mov_b32 v[8:9], s[0:1], s[0:1] op_sel:[0,1]
	s_cbranch_vccnz .LBB150_4
; %bb.3:
	v_pk_mov_b32 v[4:5], s[0:1], s[0:1] op_sel:[0,1]
	flat_load_dwordx2 v[8:9], v[4:5]
.LBB150_4:
	s_waitcnt vmcnt(0) lgkmcnt(0)
	v_cmp_neq_f64_e32 vcc, 0, v[2:3]
	v_cmp_neq_f64_e64 s[0:1], 1.0, v[8:9]
	s_mov_b64 s[8:9], 0
	s_or_b64 s[0:1], vcc, s[0:1]
	s_and_saveexec_b64 s[10:11], s[0:1]
	s_cbranch_execz .LBB150_10
; %bb.5:
	s_load_dwordx2 s[10:11], s[4:5], 0x18
	s_load_dwordx2 s[0:1], s[4:5], 0x0
	v_lshrrev_b32_e32 v1, 2, v0
	v_lshl_or_b32 v10, s6, 5, v1
	s_mov_b64 s[6:7], 0
	s_waitcnt lgkmcnt(0)
	s_cmp_lg_u64 s[10:11], 0
	s_cbranch_scc0 .LBB150_11
; %bb.6:
	s_load_dword s3, s[4:5], 0x10
                                        ; implicit-def: $vgpr1
	s_waitcnt lgkmcnt(0)
	v_cmp_gt_i32_e32 vcc, s3, v10
	s_and_saveexec_b64 s[8:9], vcc
	s_xor_b64 s[8:9], exec, s[8:9]
	s_cbranch_execz .LBB150_8
; %bb.7:
	v_ashrrev_i32_e32 v11, 31, v10
	v_lshlrev_b64 v[4:5], 2, v[10:11]
	v_mov_b32_e32 v1, s11
	v_add_co_u32_e32 v4, vcc, s10, v4
	v_addc_co_u32_e32 v5, vcc, v1, v5, vcc
	global_load_dword v1, v[4:5], off
	s_mov_b64 s[6:7], exec
	s_waitcnt vmcnt(0)
	v_subrev_u32_e32 v1, s2, v1
.LBB150_8:
	s_or_b64 exec, exec, s[8:9]
	s_mov_b64 s[8:9], s[6:7]
	s_branch .LBB150_12
.LBB150_9:
	v_cmp_gt_i32_e32 vcc, s0, v10
	s_andn2_b64 s[6:7], s[8:9], exec
	s_and_b64 s[8:9], vcc, exec
	s_or_b64 s[8:9], s[6:7], s[8:9]
	s_and_b64 exec, exec, s[8:9]
	s_cbranch_execnz .LBB150_13
.LBB150_10:
	s_endpgm
.LBB150_11:
                                        ; implicit-def: $vgpr1
	s_cbranch_execnz .LBB150_9
.LBB150_12:
	v_mov_b32_e32 v10, v1
	s_and_b64 exec, exec, s[8:9]
	s_cbranch_execz .LBB150_10
.LBB150_13:
	s_load_dwordx8 s[8:15], s[4:5], 0x20
	v_ashrrev_i32_e32 v11, 31, v10
	v_lshlrev_b64 v[4:5], 2, v[10:11]
	v_and_b32_e32 v11, 3, v0
	s_load_dwordx2 s[6:7], s[4:5], 0x40
	s_waitcnt lgkmcnt(0)
	v_mov_b32_e32 v1, s9
	v_add_co_u32_e32 v6, vcc, s8, v4
	v_addc_co_u32_e32 v7, vcc, v1, v5, vcc
	v_add_co_u32_e32 v1, vcc, 4, v6
	global_load_dword v97, v[6:7], off
	v_addc_co_u32_e32 v6, vcc, 0, v7, vcc
	v_mov_b32_e32 v7, s11
	v_add_co_u32_e32 v4, vcc, s10, v4
	s_cmp_eq_u64 s[10:11], 0
	v_addc_co_u32_e32 v5, vcc, v7, v5, vcc
	s_cselect_b64 vcc, -1, 0
	v_cndmask_b32_e32 v5, v5, v6, vcc
	v_cndmask_b32_e32 v4, v4, v1, vcc
	global_load_dword v1, v[4:5], off
	v_mov_b32_e32 v7, s15
	s_cmp_eq_u32 s1, 1
	s_waitcnt vmcnt(1)
	v_subrev_u32_e32 v0, s2, v97
	v_add_u32_e32 v0, v0, v11
	s_waitcnt vmcnt(0)
	v_subrev_u32_e32 v96, s2, v1
	v_ashrrev_i32_e32 v1, 31, v0
	v_lshlrev_b64 v[4:5], 6, v[0:1]
	v_add_co_u32_e32 v6, vcc, s14, v4
	v_addc_co_u32_e32 v7, vcc, v7, v5, vcc
	v_cmp_lt_i32_e64 s[0:1], v0, v96
	s_cbranch_scc1 .LBB150_25
; %bb.14:
	v_pk_mov_b32 v[4:5], 0, 0
	s_mov_b64 s[8:9], 0
	v_pk_mov_b32 v[12:13], v[4:5], v[4:5] op_sel:[0,1]
	v_pk_mov_b32 v[14:15], v[4:5], v[4:5] op_sel:[0,1]
	;; [unrolled: 1-line block ×3, first 2 shown]
	s_and_saveexec_b64 s[10:11], s[0:1]
	s_cbranch_execz .LBB150_24
; %bb.15:
	v_add_u32_e32 v1, v97, v11
	v_subrev_u32_e32 v1, s2, v1
	v_add_u32_e32 v1, 4, v1
	v_max_i32_e32 v1, v1, v96
	v_not_b32_e32 v4, v97
	v_add3_u32 v1, v1, s2, v4
	v_sub_u32_e32 v1, v1, v11
	v_lshrrev_b32_e32 v4, 2, v1
	v_add_u32_e32 v4, 1, v4
	v_and_b32_e32 v19, 3, v4
	v_pk_mov_b32 v[16:17], 0, 0
	v_cmp_ne_u32_e32 vcc, 0, v19
	v_pk_mov_b32 v[14:15], v[16:17], v[16:17] op_sel:[0,1]
	v_pk_mov_b32 v[12:13], v[16:17], v[16:17] op_sel:[0,1]
	v_pk_mov_b32 v[4:5], v[16:17], v[16:17] op_sel:[0,1]
	v_mov_b32_e32 v18, v0
	v_pk_mov_b32 v[20:21], v[6:7], v[6:7] op_sel:[0,1]
	s_and_saveexec_b64 s[14:15], vcc
	s_cbranch_execz .LBB150_19
; %bb.16:
	v_pk_mov_b32 v[4:5], 0, 0
	v_lshlrev_b32_e32 v22, 6, v19
	s_mov_b64 s[16:17], 0
	v_mov_b32_e32 v23, s13
	v_mov_b32_e32 v24, s7
	v_pk_mov_b32 v[20:21], v[6:7], v[6:7] op_sel:[0,1]
	v_mov_b32_e32 v18, v0
	v_pk_mov_b32 v[12:13], v[4:5], v[4:5] op_sel:[0,1]
	v_pk_mov_b32 v[14:15], v[4:5], v[4:5] op_sel:[0,1]
	;; [unrolled: 1-line block ×3, first 2 shown]
.LBB150_17:                             ; =>This Inner Loop Header: Depth=1
	v_ashrrev_i32_e32 v19, 31, v18
	v_lshlrev_b64 v[26:27], 2, v[18:19]
	v_add_co_u32_e32 v42, vcc, s12, v26
	v_addc_co_u32_e32 v43, vcc, v23, v27, vcc
	global_load_dword v19, v[42:43], off
	global_load_dwordx4 v[26:29], v[20:21], off
	global_load_dwordx4 v[30:33], v[20:21], off offset:16
	global_load_dwordx4 v[34:37], v[20:21], off offset:48
	;; [unrolled: 1-line block ×3, first 2 shown]
	v_subrev_u32_e32 v22, 64, v22
	v_add_u32_e32 v18, 4, v18
	s_waitcnt vmcnt(4)
	v_subrev_u32_e32 v19, s2, v19
	v_lshlrev_b32_e32 v42, 2, v19
	v_ashrrev_i32_e32 v43, 31, v42
	v_lshlrev_b64 v[42:43], 3, v[42:43]
	v_add_co_u32_e32 v50, vcc, s6, v42
	v_addc_co_u32_e32 v51, vcc, v24, v43, vcc
	global_load_dwordx4 v[42:45], v[50:51], off
	global_load_dwordx4 v[46:49], v[50:51], off offset:16
	s_waitcnt vmcnt(5)
	v_cvt_f64_f32_e32 v[50:51], v26
	s_waitcnt vmcnt(4)
	v_cvt_f64_f32_e32 v[54:55], v30
	;; [unrolled: 2-line block ×3, first 2 shown]
	v_cvt_f64_f32_e32 v[62:63], v34
	v_add_co_u32_e32 v20, vcc, 0x100, v20
	v_cvt_f64_f32_e32 v[26:27], v27
	v_cvt_f64_f32_e32 v[30:31], v31
	;; [unrolled: 1-line block ×4, first 2 shown]
	v_addc_co_u32_e32 v21, vcc, 0, v21, vcc
	v_cvt_f64_f32_e32 v[52:53], v28
	v_cvt_f64_f32_e32 v[56:57], v32
	;; [unrolled: 1-line block ×4, first 2 shown]
	v_cmp_eq_u32_e32 vcc, 0, v22
	v_cvt_f64_f32_e32 v[28:29], v29
	v_cvt_f64_f32_e32 v[32:33], v33
	;; [unrolled: 1-line block ×4, first 2 shown]
	s_or_b64 s[16:17], vcc, s[16:17]
	s_waitcnt vmcnt(1)
	v_fmac_f64_e32 v[16:17], v[50:51], v[42:43]
	v_fmac_f64_e32 v[14:15], v[54:55], v[42:43]
	;; [unrolled: 1-line block ×8, first 2 shown]
	s_waitcnt vmcnt(0)
	v_fmac_f64_e32 v[16:17], v[52:53], v[46:47]
	v_fmac_f64_e32 v[14:15], v[56:57], v[46:47]
	;; [unrolled: 1-line block ×8, first 2 shown]
	s_andn2_b64 exec, exec, s[16:17]
	s_cbranch_execnz .LBB150_17
; %bb.18:
	s_or_b64 exec, exec, s[16:17]
.LBB150_19:
	s_or_b64 exec, exec, s[14:15]
	v_cmp_lt_u32_e32 vcc, 11, v1
	s_and_saveexec_b64 s[14:15], vcc
	s_cbranch_execz .LBB150_23
; %bb.20:
	s_mov_b64 s[16:17], 0
	v_mov_b32_e32 v1, s13
	v_mov_b32_e32 v98, s7
.LBB150_21:                             ; =>This Inner Loop Header: Depth=1
	global_load_dwordx4 v[26:29], v[20:21], off
	global_load_dwordx4 v[30:33], v[20:21], off offset:16
	global_load_dwordx4 v[34:37], v[20:21], off offset:32
	;; [unrolled: 1-line block ×7, first 2 shown]
	v_ashrrev_i32_e32 v19, 31, v18
	v_lshlrev_b64 v[22:23], 2, v[18:19]
	v_add_co_u32_e32 v24, vcc, s12, v22
	v_addc_co_u32_e32 v25, vcc, v1, v23, vcc
	global_load_dword v19, v[24:25], off
	v_add_u32_e32 v18, 16, v18
	s_waitcnt vmcnt(8)
	v_cvt_f64_f32_e32 v[68:69], v28
	v_cvt_f64_f32_e32 v[66:67], v29
	s_waitcnt vmcnt(6)
	v_cvt_f64_f32_e32 v[74:75], v36
	s_waitcnt vmcnt(5)
	v_cvt_f64_f32_e32 v[94:95], v40
	v_cvt_f64_f32_e32 v[64:65], v41
	s_waitcnt vmcnt(4)
	v_cvt_f64_f32_e32 v[82:83], v42
	v_cvt_f64_f32_e32 v[80:81], v43
	global_load_dwordx4 v[40:43], v[20:21], off offset:512
	v_cvt_f64_f32_e32 v[110:111], v38
	v_cvt_f64_f32_e32 v[112:113], v39
	;; [unrolled: 1-line block ×6, first 2 shown]
	s_waitcnt vmcnt(1)
	v_subrev_u32_e32 v19, s2, v19
	v_cvt_f64_f32_e32 v[100:101], v27
	v_cvt_f64_f32_e32 v[106:107], v34
	v_cvt_f64_f32_e32 v[108:109], v35
	v_cvt_f64_f32_e32 v[72:73], v32
	v_cvt_f64_f32_e32 v[70:71], v33
	v_cvt_f64_f32_e32 v[46:47], v44
	v_cvt_f64_f32_e32 v[32:33], v45
	v_cvt_f64_f32_e32 v[92:93], v76
	v_cvt_f64_f32_e32 v[60:61], v77
	v_cvt_f64_f32_e32 v[86:87], v50
	v_cvt_f64_f32_e32 v[84:85], v51
	v_cvt_f64_f32_e32 v[50:51], v52
	v_cvt_f64_f32_e32 v[34:35], v53
	v_cvt_f64_f32_e32 v[90:91], v54
	v_cvt_f64_f32_e32 v[88:89], v55
	v_cvt_f64_f32_e32 v[54:55], v56
	v_cvt_f64_f32_e32 v[26:27], v57
	v_cvt_f64_f32_e32 v[58:59], v78
	v_cvt_f64_f32_e32 v[22:23], v79
	s_waitcnt vmcnt(0)
	v_cvt_f64_f32_e32 v[38:39], v40
	v_lshlrev_b32_e32 v40, 2, v19
	v_cvt_f64_f32_e32 v[36:37], v41
	v_ashrrev_i32_e32 v41, 31, v40
	v_lshlrev_b64 v[40:41], 3, v[40:41]
	v_add_co_u32_e32 v114, vcc, s6, v40
	v_addc_co_u32_e32 v115, vcc, v98, v41, vcc
	v_cvt_f64_f32_e32 v[30:31], v42
	v_cvt_f64_f32_e32 v[28:29], v43
	global_load_dwordx4 v[40:43], v[114:115], off
	global_load_dword v19, v[24:25], off offset:16
	s_waitcnt vmcnt(1)
	v_fmac_f64_e32 v[16:17], v[48:49], v[40:41]
	v_fmac_f64_e32 v[14:15], v[102:103], v[40:41]
	;; [unrolled: 1-line block ×3, first 2 shown]
	global_load_dwordx4 v[100:103], v[20:21], off offset:528
	v_fmac_f64_e32 v[12:13], v[106:107], v[40:41]
	v_fmac_f64_e32 v[4:5], v[110:111], v[40:41]
	;; [unrolled: 1-line block ×5, first 2 shown]
	s_waitcnt vmcnt(1)
	v_subrev_u32_e32 v19, s2, v19
	s_waitcnt vmcnt(0)
	v_cvt_f64_f32_e32 v[76:77], v100
	v_cvt_f64_f32_e32 v[44:45], v101
	;; [unrolled: 1-line block ×4, first 2 shown]
	global_load_dwordx4 v[100:103], v[20:21], off offset:544
	s_waitcnt vmcnt(0)
	v_cvt_f64_f32_e32 v[78:79], v100
	v_cvt_f64_f32_e32 v[56:57], v101
	;; [unrolled: 1-line block ×4, first 2 shown]
	global_load_dwordx4 v[100:103], v[114:115], off offset:16
	s_waitcnt vmcnt(0)
	v_fmac_f64_e32 v[16:17], v[68:69], v[100:101]
	v_fmac_f64_e32 v[14:15], v[72:73], v[100:101]
	;; [unrolled: 1-line block ×6, first 2 shown]
	global_load_dwordx4 v[68:71], v[20:21], off offset:560
	v_fmac_f64_e32 v[12:13], v[62:63], v[102:103]
	v_fmac_f64_e32 v[4:5], v[64:65], v[102:103]
	global_load_dwordx4 v[100:103], v[20:21], off offset:768
	s_waitcnt vmcnt(1)
	v_cvt_f64_f32_e32 v[64:65], v70
	v_cvt_f64_f32_e32 v[62:63], v71
	;; [unrolled: 1-line block ×3, first 2 shown]
	s_waitcnt vmcnt(0)
	v_cvt_f64_f32_e32 v[74:75], v100
	v_lshlrev_b32_e32 v100, 2, v19
	v_cvt_f64_f32_e32 v[72:73], v101
	v_ashrrev_i32_e32 v101, 31, v100
	v_lshlrev_b64 v[100:101], 3, v[100:101]
	v_add_co_u32_e32 v104, vcc, s6, v100
	v_addc_co_u32_e32 v105, vcc, v98, v101, vcc
	v_cvt_f64_f32_e32 v[70:71], v102
	v_cvt_f64_f32_e32 v[66:67], v103
	global_load_dwordx4 v[100:103], v[104:105], off
	v_cvt_f64_f32_e32 v[68:69], v69
	s_waitcnt vmcnt(0)
	v_fmac_f64_e32 v[16:17], v[82:83], v[100:101]
	v_fmac_f64_e32 v[14:15], v[86:87], v[100:101]
	;; [unrolled: 1-line block ×7, first 2 shown]
	global_load_dwordx4 v[80:83], v[20:21], off offset:784
	v_fmac_f64_e32 v[4:5], v[60:61], v[102:103]
	global_load_dwordx4 v[100:103], v[20:21], off offset:800
	s_waitcnt vmcnt(1)
	v_cvt_f64_f32_e32 v[88:89], v80
	v_cvt_f64_f32_e32 v[84:85], v81
	;; [unrolled: 1-line block ×4, first 2 shown]
	s_waitcnt vmcnt(0)
	v_cvt_f64_f32_e32 v[92:93], v100
	v_cvt_f64_f32_e32 v[90:91], v101
	;; [unrolled: 1-line block ×4, first 2 shown]
	global_load_dwordx4 v[100:103], v[104:105], off offset:16
	s_waitcnt vmcnt(0)
	v_fmac_f64_e32 v[4:5], v[58:59], v[100:101]
	global_load_dword v19, v[24:25], off offset:32
	global_load_dword v58, v[24:25], off offset:48
	v_fmac_f64_e32 v[16:17], v[46:47], v[100:101]
	v_fmac_f64_e32 v[14:15], v[50:51], v[100:101]
	;; [unrolled: 1-line block ×4, first 2 shown]
	global_load_dwordx4 v[32:35], v[20:21], off offset:816
	v_fmac_f64_e32 v[4:5], v[22:23], v[102:103]
	v_fmac_f64_e32 v[12:13], v[54:55], v[100:101]
	;; [unrolled: 1-line block ×3, first 2 shown]
	s_waitcnt vmcnt(2)
	v_subrev_u32_e32 v19, s2, v19
	s_waitcnt vmcnt(1)
	v_subrev_u32_e32 v23, s2, v58
	v_lshlrev_b32_e32 v22, 2, v19
	v_lshlrev_b32_e32 v24, 2, v23
	v_ashrrev_i32_e32 v23, 31, v22
	v_lshlrev_b64 v[22:23], 3, v[22:23]
	s_waitcnt vmcnt(0)
	v_cvt_f64_f32_e32 v[26:27], v32
	v_ashrrev_i32_e32 v25, 31, v24
	v_add_co_u32_e32 v32, vcc, s6, v22
	v_cvt_f64_f32_e32 v[46:47], v33
	v_lshlrev_b64 v[24:25], 3, v[24:25]
	v_addc_co_u32_e32 v33, vcc, v98, v23, vcc
	v_add_co_u32_e32 v58, vcc, s6, v24
	v_addc_co_u32_e32 v59, vcc, v98, v25, vcc
	global_load_dwordx4 v[22:25], v[32:33], off
	v_cvt_f64_f32_e32 v[50:51], v34
	v_cvt_f64_f32_e32 v[54:55], v35
	global_load_dwordx4 v[32:35], v[32:33], off offset:16
	v_add_co_u32_e32 v20, vcc, 0x400, v20
	v_addc_co_u32_e32 v21, vcc, 0, v21, vcc
	v_cmp_ge_i32_e32 vcc, v18, v96
	s_or_b64 s[16:17], vcc, s[16:17]
	s_waitcnt vmcnt(1)
	v_fmac_f64_e32 v[14:15], v[76:77], v[22:23]
	v_fmac_f64_e32 v[12:13], v[78:79], v[22:23]
	global_load_dwordx4 v[76:79], v[58:59], off
	v_fmac_f64_e32 v[16:17], v[38:39], v[22:23]
	v_fmac_f64_e32 v[16:17], v[36:37], v[24:25]
	global_load_dwordx4 v[36:39], v[58:59], off offset:16
	v_fmac_f64_e32 v[4:5], v[94:95], v[22:23]
	v_fmac_f64_e32 v[14:15], v[44:45], v[24:25]
	v_fmac_f64_e32 v[12:13], v[56:57], v[24:25]
	v_fmac_f64_e32 v[4:5], v[68:69], v[24:25]
	s_waitcnt vmcnt(2)
	v_fmac_f64_e32 v[16:17], v[30:31], v[32:33]
	v_fmac_f64_e32 v[14:15], v[42:43], v[32:33]
	v_fmac_f64_e32 v[12:13], v[52:53], v[32:33]
	v_fmac_f64_e32 v[4:5], v[64:65], v[32:33]
	v_fmac_f64_e32 v[16:17], v[28:29], v[34:35]
	v_fmac_f64_e32 v[14:15], v[40:41], v[34:35]
	v_fmac_f64_e32 v[12:13], v[48:49], v[34:35]
	v_fmac_f64_e32 v[4:5], v[62:63], v[34:35]
	s_waitcnt vmcnt(1)
	v_fmac_f64_e32 v[16:17], v[74:75], v[76:77]
	v_fmac_f64_e32 v[14:15], v[88:89], v[76:77]
	v_fmac_f64_e32 v[12:13], v[92:93], v[76:77]
	v_fmac_f64_e32 v[4:5], v[26:27], v[76:77]
	;; [unrolled: 9-line block ×3, first 2 shown]
	v_fmac_f64_e32 v[16:17], v[66:67], v[38:39]
	v_fmac_f64_e32 v[14:15], v[60:61], v[38:39]
	;; [unrolled: 1-line block ×4, first 2 shown]
	s_andn2_b64 exec, exec, s[16:17]
	s_cbranch_execnz .LBB150_21
; %bb.22:
	s_or_b64 exec, exec, s[16:17]
.LBB150_23:
	s_or_b64 exec, exec, s[14:15]
.LBB150_24:
	s_or_b64 exec, exec, s[10:11]
	s_andn2_b64 vcc, exec, s[8:9]
	s_cbranch_vccz .LBB150_26
	s_branch .LBB150_37
.LBB150_25:
                                        ; implicit-def: $vgpr4_vgpr5
                                        ; implicit-def: $vgpr12_vgpr13
                                        ; implicit-def: $vgpr14_vgpr15
                                        ; implicit-def: $vgpr16_vgpr17
.LBB150_26:
	v_pk_mov_b32 v[4:5], 0, 0
	v_pk_mov_b32 v[12:13], v[4:5], v[4:5] op_sel:[0,1]
	v_pk_mov_b32 v[14:15], v[4:5], v[4:5] op_sel:[0,1]
	;; [unrolled: 1-line block ×3, first 2 shown]
	s_and_saveexec_b64 s[8:9], s[0:1]
	s_cbranch_execz .LBB150_36
; %bb.27:
	v_add_u32_e32 v1, v97, v11
	v_subrev_u32_e32 v1, s2, v1
	v_add_u32_e32 v1, 4, v1
	v_max_i32_e32 v1, v1, v96
	v_not_b32_e32 v4, v97
	v_add3_u32 v1, v1, s2, v4
	v_sub_u32_e32 v18, v1, v11
	v_lshrrev_b32_e32 v1, 2, v18
	v_add_u32_e32 v1, 1, v1
	v_and_b32_e32 v1, 3, v1
	v_pk_mov_b32 v[16:17], 0, 0
	v_cmp_ne_u32_e32 vcc, 0, v1
	v_pk_mov_b32 v[14:15], v[16:17], v[16:17] op_sel:[0,1]
	v_pk_mov_b32 v[12:13], v[16:17], v[16:17] op_sel:[0,1]
	;; [unrolled: 1-line block ×3, first 2 shown]
	s_and_saveexec_b64 s[0:1], vcc
	s_cbranch_execz .LBB150_31
; %bb.28:
	v_pk_mov_b32 v[4:5], 0, 0
	v_lshlrev_b32_e32 v19, 6, v1
	s_mov_b64 s[10:11], 0
	v_mov_b32_e32 v20, s13
	v_mov_b32_e32 v21, s7
	v_pk_mov_b32 v[12:13], v[4:5], v[4:5] op_sel:[0,1]
	v_pk_mov_b32 v[14:15], v[4:5], v[4:5] op_sel:[0,1]
	;; [unrolled: 1-line block ×3, first 2 shown]
.LBB150_29:                             ; =>This Inner Loop Header: Depth=1
	v_ashrrev_i32_e32 v1, 31, v0
	v_lshlrev_b64 v[22:23], 2, v[0:1]
	v_add_co_u32_e32 v34, vcc, s12, v22
	v_addc_co_u32_e32 v35, vcc, v20, v23, vcc
	global_load_dword v1, v[34:35], off
	global_load_dwordx4 v[22:25], v[6:7], off offset:16
	global_load_dwordx4 v[26:29], v[6:7], off
	global_load_dwordx4 v[30:33], v[6:7], off offset:32
	v_subrev_u32_e32 v19, 64, v19
	v_add_u32_e32 v0, 4, v0
	s_waitcnt vmcnt(3)
	v_subrev_u32_e32 v1, s2, v1
	v_lshlrev_b32_e32 v34, 2, v1
	v_ashrrev_i32_e32 v35, 31, v34
	v_lshlrev_b64 v[34:35], 3, v[34:35]
	v_add_co_u32_e32 v46, vcc, s6, v34
	v_addc_co_u32_e32 v47, vcc, v21, v35, vcc
	global_load_dwordx4 v[34:37], v[46:47], off offset:16
	global_load_dwordx4 v[38:41], v[46:47], off
	global_load_dwordx4 v[42:45], v[6:7], off offset:48
	s_waitcnt vmcnt(4)
	v_cvt_f64_f32_e32 v[46:47], v26
	v_cvt_f64_f32_e32 v[26:27], v27
	v_cvt_f64_f32_e32 v[48:49], v28
	v_cvt_f64_f32_e32 v[28:29], v29
	v_add_co_u32_e32 v6, vcc, 0x100, v6
	v_cvt_f64_f32_e32 v[50:51], v22
	v_cvt_f64_f32_e32 v[22:23], v23
	;; [unrolled: 1-line block ×4, first 2 shown]
	v_addc_co_u32_e32 v7, vcc, 0, v7, vcc
	s_waitcnt vmcnt(3)
	v_cvt_f64_f32_e32 v[54:55], v30
	v_cvt_f64_f32_e32 v[30:31], v31
	;; [unrolled: 1-line block ×4, first 2 shown]
	v_cmp_eq_u32_e32 vcc, 0, v19
	s_or_b64 s[10:11], vcc, s[10:11]
	s_waitcnt vmcnt(1)
	v_fmac_f64_e32 v[16:17], v[46:47], v[38:39]
	v_fmac_f64_e32 v[14:15], v[26:27], v[38:39]
	;; [unrolled: 1-line block ×8, first 2 shown]
	s_waitcnt vmcnt(0)
	v_cvt_f64_f32_e32 v[58:59], v42
	v_cvt_f64_f32_e32 v[42:43], v43
	;; [unrolled: 1-line block ×4, first 2 shown]
	v_fmac_f64_e32 v[16:17], v[54:55], v[34:35]
	v_fmac_f64_e32 v[14:15], v[30:31], v[34:35]
	;; [unrolled: 1-line block ×8, first 2 shown]
	s_andn2_b64 exec, exec, s[10:11]
	s_cbranch_execnz .LBB150_29
; %bb.30:
	s_or_b64 exec, exec, s[10:11]
.LBB150_31:
	s_or_b64 exec, exec, s[0:1]
	v_cmp_lt_u32_e32 vcc, 11, v18
	s_and_saveexec_b64 s[0:1], vcc
	s_cbranch_execz .LBB150_35
; %bb.32:
	s_mov_b64 s[10:11], 0
	v_mov_b32_e32 v44, s13
	v_mov_b32_e32 v45, s7
.LBB150_33:                             ; =>This Inner Loop Header: Depth=1
	v_ashrrev_i32_e32 v1, 31, v0
	v_lshlrev_b64 v[34:35], 2, v[0:1]
	v_add_co_u32_e32 v46, vcc, s12, v34
	v_addc_co_u32_e32 v47, vcc, v44, v35, vcc
	global_load_dwordx4 v[18:21], v[6:7], off
	global_load_dwordx4 v[22:25], v[6:7], off offset:16
	global_load_dwordx4 v[26:29], v[6:7], off offset:32
	;; [unrolled: 1-line block ×5, first 2 shown]
	global_load_dword v78, v[46:47], off
	global_load_dword v90, v[46:47], off offset:16
	global_load_dword v91, v[46:47], off offset:32
	;; [unrolled: 1-line block ×3, first 2 shown]
	v_add_u32_e32 v0, 16, v0
	s_waitcnt vmcnt(9)
	v_cvt_f64_f32_e32 v[48:49], v18
	v_cvt_f64_f32_e32 v[50:51], v19
	s_waitcnt vmcnt(7)
	v_cvt_f64_f32_e32 v[64:65], v26
	v_cvt_f64_f32_e32 v[66:67], v27
	;; [unrolled: 3-line block ×3, first 2 shown]
	s_waitcnt vmcnt(3)
	v_subrev_u32_e32 v36, s2, v78
	v_lshlrev_b32_e32 v36, 2, v36
	v_cvt_f64_f32_e32 v[70:71], v29
	v_cvt_f64_f32_e32 v[28:29], v37
	v_ashrrev_i32_e32 v37, 31, v36
	v_lshlrev_b64 v[36:37], 3, v[36:37]
	v_add_co_u32_e32 v78, vcc, s6, v36
	v_addc_co_u32_e32 v79, vcc, v45, v37, vcc
	v_cvt_f64_f32_e32 v[72:73], v30
	v_cvt_f64_f32_e32 v[74:75], v31
	;; [unrolled: 1-line block ×6, first 2 shown]
	global_load_dwordx4 v[36:39], v[78:79], off
	v_cvt_f64_f32_e32 v[52:53], v20
	v_cvt_f64_f32_e32 v[54:55], v21
	;; [unrolled: 1-line block ×10, first 2 shown]
	global_load_dwordx4 v[40:43], v[6:7], off offset:288
	s_waitcnt vmcnt(2)
	v_subrev_u32_e32 v1, s2, v1
	s_waitcnt vmcnt(1)
	v_fmac_f64_e32 v[16:17], v[48:49], v[36:37]
	global_load_dwordx4 v[46:49], v[6:7], off offset:304
	v_fmac_f64_e32 v[14:15], v[50:51], v[36:37]
	v_fmac_f64_e32 v[12:13], v[52:53], v[36:37]
	;; [unrolled: 1-line block ×7, first 2 shown]
	global_load_dwordx4 v[36:39], v[6:7], off offset:512
	s_waitcnt vmcnt(2)
	v_cvt_f64_f32_e32 v[50:51], v40
	v_cvt_f64_f32_e32 v[52:53], v41
	;; [unrolled: 1-line block ×4, first 2 shown]
	global_load_dwordx4 v[40:43], v[6:7], off offset:528
	s_waitcnt vmcnt(2)
	v_cvt_f64_f32_e32 v[58:59], v46
	v_cvt_f64_f32_e32 v[60:61], v47
	v_cvt_f64_f32_e32 v[62:63], v48
	v_cvt_f64_f32_e32 v[80:81], v49
	s_waitcnt vmcnt(1)
	v_cvt_f64_f32_e32 v[82:83], v36
	v_cvt_f64_f32_e32 v[84:85], v37
	;; [unrolled: 1-line block ×4, first 2 shown]
	global_load_dwordx4 v[36:39], v[78:79], off offset:16
	s_waitcnt vmcnt(0)
	v_fmac_f64_e32 v[4:5], v[70:71], v[36:37]
	v_fmac_f64_e32 v[4:5], v[34:35], v[38:39]
	v_subrev_u32_e32 v34, s2, v90
	v_lshlrev_b32_e32 v34, 2, v34
	v_ashrrev_i32_e32 v35, 31, v34
	v_lshlrev_b64 v[34:35], 3, v[34:35]
	v_add_co_u32_e32 v46, vcc, s6, v34
	v_fmac_f64_e32 v[16:17], v[64:65], v[36:37]
	v_fmac_f64_e32 v[14:15], v[66:67], v[36:37]
	;; [unrolled: 1-line block ×3, first 2 shown]
	v_addc_co_u32_e32 v47, vcc, v45, v35, vcc
	v_fmac_f64_e32 v[16:17], v[72:73], v[38:39]
	v_fmac_f64_e32 v[14:15], v[74:75], v[38:39]
	;; [unrolled: 1-line block ×3, first 2 shown]
	global_load_dwordx4 v[36:39], v[46:47], off
	v_cvt_f64_f32_e32 v[64:65], v40
	global_load_dwordx4 v[46:49], v[46:47], off offset:16
	v_cvt_f64_f32_e32 v[66:67], v41
	v_cvt_f64_f32_e32 v[68:69], v42
	;; [unrolled: 1-line block ×3, first 2 shown]
	s_waitcnt vmcnt(1)
	v_fmac_f64_e32 v[16:17], v[26:27], v[36:37]
	v_fmac_f64_e32 v[14:15], v[28:29], v[36:37]
	;; [unrolled: 1-line block ×8, first 2 shown]
	s_waitcnt vmcnt(0)
	v_fmac_f64_e32 v[16:17], v[50:51], v[46:47]
	v_fmac_f64_e32 v[14:15], v[52:53], v[46:47]
	;; [unrolled: 1-line block ×4, first 2 shown]
	global_load_dwordx4 v[30:33], v[6:7], off offset:768
	global_load_dwordx4 v[50:53], v[6:7], off offset:784
	v_fmac_f64_e32 v[16:17], v[58:59], v[48:49]
	v_fmac_f64_e32 v[14:15], v[60:61], v[48:49]
	;; [unrolled: 1-line block ×4, first 2 shown]
	global_load_dwordx4 v[46:49], v[6:7], off offset:800
	global_load_dwordx4 v[26:29], v[6:7], off offset:544
	;; [unrolled: 1-line block ×3, first 2 shown]
	s_waitcnt vmcnt(3)
	v_cvt_f64_f32_e32 v[54:55], v50
	v_cvt_f64_f32_e32 v[56:57], v51
	;; [unrolled: 1-line block ×4, first 2 shown]
	global_load_dwordx4 v[50:53], v[6:7], off offset:816
	s_waitcnt vmcnt(3)
	v_cvt_f64_f32_e32 v[62:63], v46
	v_subrev_u32_e32 v46, s2, v91
	v_lshlrev_b32_e32 v46, 2, v46
	v_cvt_f64_f32_e32 v[70:71], v47
	v_ashrrev_i32_e32 v47, 31, v46
	v_lshlrev_b64 v[46:47], 3, v[46:47]
	v_add_co_u32_e32 v76, vcc, s6, v46
	v_addc_co_u32_e32 v77, vcc, v45, v47, vcc
	v_cvt_f64_f32_e32 v[72:73], v48
	v_cvt_f64_f32_e32 v[74:75], v49
	global_load_dwordx4 v[46:49], v[76:77], off
	s_waitcnt vmcnt(3)
	v_cvt_f64_f32_e32 v[36:37], v26
	v_cvt_f64_f32_e32 v[38:39], v27
	;; [unrolled: 1-line block ×4, first 2 shown]
	s_waitcnt vmcnt(2)
	v_cvt_f64_f32_e32 v[18:19], v22
	v_cvt_f64_f32_e32 v[20:21], v23
	;; [unrolled: 1-line block ×8, first 2 shown]
	s_waitcnt vmcnt(0)
	v_fmac_f64_e32 v[16:17], v[82:83], v[46:47]
	v_fmac_f64_e32 v[14:15], v[84:85], v[46:47]
	;; [unrolled: 1-line block ×8, first 2 shown]
	global_load_dwordx4 v[46:49], v[76:77], off offset:16
	v_lshlrev_b32_e32 v42, 2, v1
	v_ashrrev_i32_e32 v43, 31, v42
	v_lshlrev_b64 v[42:43], 3, v[42:43]
	v_add_co_u32_e32 v42, vcc, s6, v42
	v_addc_co_u32_e32 v43, vcc, v45, v43, vcc
	v_add_co_u32_e32 v6, vcc, 0x400, v6
	v_addc_co_u32_e32 v7, vcc, 0, v7, vcc
	v_cvt_f64_f32_e32 v[64:65], v50
	v_cvt_f64_f32_e32 v[50:51], v51
	;; [unrolled: 1-line block ×4, first 2 shown]
	v_cmp_ge_i32_e32 vcc, v0, v96
	s_or_b64 s[10:11], vcc, s[10:11]
	s_waitcnt vmcnt(0)
	v_fmac_f64_e32 v[16:17], v[36:37], v[46:47]
	v_fmac_f64_e32 v[14:15], v[38:39], v[46:47]
	global_load_dwordx4 v[36:39], v[42:43], off
	v_fmac_f64_e32 v[12:13], v[40:41], v[46:47]
	global_load_dwordx4 v[40:43], v[42:43], off offset:16
	v_fmac_f64_e32 v[4:5], v[34:35], v[46:47]
	v_fmac_f64_e32 v[16:17], v[18:19], v[48:49]
	;; [unrolled: 1-line block ×5, first 2 shown]
	s_waitcnt vmcnt(1)
	v_fmac_f64_e32 v[16:17], v[26:27], v[36:37]
	v_fmac_f64_e32 v[14:15], v[28:29], v[36:37]
	;; [unrolled: 1-line block ×8, first 2 shown]
	s_waitcnt vmcnt(0)
	v_fmac_f64_e32 v[16:17], v[62:63], v[40:41]
	v_fmac_f64_e32 v[14:15], v[70:71], v[40:41]
	;; [unrolled: 1-line block ×8, first 2 shown]
	s_andn2_b64 exec, exec, s[10:11]
	s_cbranch_execnz .LBB150_33
; %bb.34:
	s_or_b64 exec, exec, s[10:11]
.LBB150_35:
	s_or_b64 exec, exec, s[0:1]
.LBB150_36:
	s_or_b64 exec, exec, s[8:9]
.LBB150_37:
	v_mov_b32_dpp v0, v16 row_shr:1 row_mask:0xf bank_mask:0xf
	v_mov_b32_dpp v1, v17 row_shr:1 row_mask:0xf bank_mask:0xf
	v_add_f64 v[0:1], v[16:17], v[0:1]
	v_mov_b32_dpp v16, v14 row_shr:1 row_mask:0xf bank_mask:0xf
	v_mov_b32_dpp v17, v15 row_shr:1 row_mask:0xf bank_mask:0xf
	v_mov_b32_dpp v18, v12 row_shr:1 row_mask:0xf bank_mask:0xf
	v_mov_b32_dpp v19, v13 row_shr:1 row_mask:0xf bank_mask:0xf
	v_mov_b32_dpp v20, v4 row_shr:1 row_mask:0xf bank_mask:0xf
	v_mov_b32_dpp v21, v5 row_shr:1 row_mask:0xf bank_mask:0xf
	v_add_f64 v[14:15], v[14:15], v[16:17]
	v_add_f64 v[12:13], v[12:13], v[18:19]
	;; [unrolled: 1-line block ×3, first 2 shown]
	v_mov_b32_dpp v6, v0 row_shr:2 row_mask:0xf bank_mask:0xf
	v_mov_b32_dpp v7, v1 row_shr:2 row_mask:0xf bank_mask:0xf
	;; [unrolled: 1-line block ×8, first 2 shown]
	v_cmp_eq_u32_e32 vcc, 3, v11
	s_and_b64 exec, exec, vcc
	s_cbranch_execz .LBB150_10
; %bb.38:
	s_load_dwordx2 s[0:1], s[4:5], 0x50
	v_add_f64 v[0:1], v[0:1], v[6:7]
	v_add_f64 v[6:7], v[14:15], v[16:17]
	;; [unrolled: 1-line block ×4, first 2 shown]
	v_cmp_eq_f64_e32 vcc, 0, v[8:9]
	v_mul_f64 v[4:5], v[2:3], v[0:1]
	v_mul_f64 v[6:7], v[2:3], v[6:7]
	;; [unrolled: 1-line block ×4, first 2 shown]
	v_lshlrev_b32_e32 v10, 2, v10
	s_and_saveexec_b64 s[2:3], vcc
	s_xor_b64 s[2:3], exec, s[2:3]
	s_cbranch_execz .LBB150_40
; %bb.39:
	v_ashrrev_i32_e32 v11, 31, v10
	v_lshlrev_b64 v[8:9], 3, v[10:11]
	s_waitcnt lgkmcnt(0)
	v_mov_b32_e32 v10, s1
	v_add_co_u32_e32 v8, vcc, s0, v8
	v_addc_co_u32_e32 v9, vcc, v10, v9, vcc
	global_store_dwordx4 v[8:9], v[4:7], off
	global_store_dwordx4 v[8:9], v[0:3], off offset:16
                                        ; implicit-def: $vgpr10
                                        ; implicit-def: $vgpr8_vgpr9
                                        ; implicit-def: $vgpr4_vgpr5
                                        ; implicit-def: $vgpr0_vgpr1
.LBB150_40:
	s_andn2_saveexec_b64 s[2:3], s[2:3]
	s_cbranch_execz .LBB150_10
; %bb.41:
	v_ashrrev_i32_e32 v11, 31, v10
	v_lshlrev_b64 v[10:11], 3, v[10:11]
	s_waitcnt lgkmcnt(0)
	v_mov_b32_e32 v12, s1
	v_add_co_u32_e32 v18, vcc, s0, v10
	v_addc_co_u32_e32 v19, vcc, v12, v11, vcc
	global_load_dwordx4 v[10:13], v[18:19], off
	global_load_dwordx4 v[14:17], v[18:19], off offset:16
	s_waitcnt vmcnt(1)
	v_fmac_f64_e32 v[4:5], v[8:9], v[10:11]
	v_fmac_f64_e32 v[6:7], v[8:9], v[12:13]
	s_waitcnt vmcnt(0)
	v_fmac_f64_e32 v[0:1], v[8:9], v[14:15]
	v_fmac_f64_e32 v[2:3], v[8:9], v[16:17]
	global_store_dwordx4 v[18:19], v[4:7], off
	global_store_dwordx4 v[18:19], v[0:3], off offset:16
	s_endpgm
	.section	.rodata,"a",@progbits
	.p2align	6, 0x0
	.amdhsa_kernel _ZN9rocsparseL18bsrxmvn_4x4_kernelILj128ELj4EdiifddEEvT3_20rocsparse_direction_NS_24const_host_device_scalarIT1_EES1_PKS1_PKT2_SA_S7_PKT4_PKT5_S5_PT6_21rocsparse_index_base_b
		.amdhsa_group_segment_fixed_size 0
		.amdhsa_private_segment_fixed_size 0
		.amdhsa_kernarg_size 96
		.amdhsa_user_sgpr_count 6
		.amdhsa_user_sgpr_private_segment_buffer 1
		.amdhsa_user_sgpr_dispatch_ptr 0
		.amdhsa_user_sgpr_queue_ptr 0
		.amdhsa_user_sgpr_kernarg_segment_ptr 1
		.amdhsa_user_sgpr_dispatch_id 0
		.amdhsa_user_sgpr_flat_scratch_init 0
		.amdhsa_user_sgpr_kernarg_preload_length 0
		.amdhsa_user_sgpr_kernarg_preload_offset 0
		.amdhsa_user_sgpr_private_segment_size 0
		.amdhsa_uses_dynamic_stack 0
		.amdhsa_system_sgpr_private_segment_wavefront_offset 0
		.amdhsa_system_sgpr_workgroup_id_x 1
		.amdhsa_system_sgpr_workgroup_id_y 0
		.amdhsa_system_sgpr_workgroup_id_z 0
		.amdhsa_system_sgpr_workgroup_info 0
		.amdhsa_system_vgpr_workitem_id 0
		.amdhsa_next_free_vgpr 116
		.amdhsa_next_free_sgpr 18
		.amdhsa_accum_offset 116
		.amdhsa_reserve_vcc 1
		.amdhsa_reserve_flat_scratch 0
		.amdhsa_float_round_mode_32 0
		.amdhsa_float_round_mode_16_64 0
		.amdhsa_float_denorm_mode_32 3
		.amdhsa_float_denorm_mode_16_64 3
		.amdhsa_dx10_clamp 1
		.amdhsa_ieee_mode 1
		.amdhsa_fp16_overflow 0
		.amdhsa_tg_split 0
		.amdhsa_exception_fp_ieee_invalid_op 0
		.amdhsa_exception_fp_denorm_src 0
		.amdhsa_exception_fp_ieee_div_zero 0
		.amdhsa_exception_fp_ieee_overflow 0
		.amdhsa_exception_fp_ieee_underflow 0
		.amdhsa_exception_fp_ieee_inexact 0
		.amdhsa_exception_int_div_zero 0
	.end_amdhsa_kernel
	.section	.text._ZN9rocsparseL18bsrxmvn_4x4_kernelILj128ELj4EdiifddEEvT3_20rocsparse_direction_NS_24const_host_device_scalarIT1_EES1_PKS1_PKT2_SA_S7_PKT4_PKT5_S5_PT6_21rocsparse_index_base_b,"axG",@progbits,_ZN9rocsparseL18bsrxmvn_4x4_kernelILj128ELj4EdiifddEEvT3_20rocsparse_direction_NS_24const_host_device_scalarIT1_EES1_PKS1_PKT2_SA_S7_PKT4_PKT5_S5_PT6_21rocsparse_index_base_b,comdat
.Lfunc_end150:
	.size	_ZN9rocsparseL18bsrxmvn_4x4_kernelILj128ELj4EdiifddEEvT3_20rocsparse_direction_NS_24const_host_device_scalarIT1_EES1_PKS1_PKT2_SA_S7_PKT4_PKT5_S5_PT6_21rocsparse_index_base_b, .Lfunc_end150-_ZN9rocsparseL18bsrxmvn_4x4_kernelILj128ELj4EdiifddEEvT3_20rocsparse_direction_NS_24const_host_device_scalarIT1_EES1_PKS1_PKT2_SA_S7_PKT4_PKT5_S5_PT6_21rocsparse_index_base_b
                                        ; -- End function
	.section	.AMDGPU.csdata,"",@progbits
; Kernel info:
; codeLenInByte = 3908
; NumSgprs: 22
; NumVgprs: 116
; NumAgprs: 0
; TotalNumVgprs: 116
; ScratchSize: 0
; MemoryBound: 0
; FloatMode: 240
; IeeeMode: 1
; LDSByteSize: 0 bytes/workgroup (compile time only)
; SGPRBlocks: 2
; VGPRBlocks: 14
; NumSGPRsForWavesPerEU: 22
; NumVGPRsForWavesPerEU: 116
; AccumOffset: 116
; Occupancy: 4
; WaveLimiterHint : 1
; COMPUTE_PGM_RSRC2:SCRATCH_EN: 0
; COMPUTE_PGM_RSRC2:USER_SGPR: 6
; COMPUTE_PGM_RSRC2:TRAP_HANDLER: 0
; COMPUTE_PGM_RSRC2:TGID_X_EN: 1
; COMPUTE_PGM_RSRC2:TGID_Y_EN: 0
; COMPUTE_PGM_RSRC2:TGID_Z_EN: 0
; COMPUTE_PGM_RSRC2:TIDIG_COMP_CNT: 0
; COMPUTE_PGM_RSRC3_GFX90A:ACCUM_OFFSET: 28
; COMPUTE_PGM_RSRC3_GFX90A:TG_SPLIT: 0
	.section	.text._ZN9rocsparseL18bsrxmvn_4x4_kernelILj128ELj8EdiifddEEvT3_20rocsparse_direction_NS_24const_host_device_scalarIT1_EES1_PKS1_PKT2_SA_S7_PKT4_PKT5_S5_PT6_21rocsparse_index_base_b,"axG",@progbits,_ZN9rocsparseL18bsrxmvn_4x4_kernelILj128ELj8EdiifddEEvT3_20rocsparse_direction_NS_24const_host_device_scalarIT1_EES1_PKS1_PKT2_SA_S7_PKT4_PKT5_S5_PT6_21rocsparse_index_base_b,comdat
	.globl	_ZN9rocsparseL18bsrxmvn_4x4_kernelILj128ELj8EdiifddEEvT3_20rocsparse_direction_NS_24const_host_device_scalarIT1_EES1_PKS1_PKT2_SA_S7_PKT4_PKT5_S5_PT6_21rocsparse_index_base_b ; -- Begin function _ZN9rocsparseL18bsrxmvn_4x4_kernelILj128ELj8EdiifddEEvT3_20rocsparse_direction_NS_24const_host_device_scalarIT1_EES1_PKS1_PKT2_SA_S7_PKT4_PKT5_S5_PT6_21rocsparse_index_base_b
	.p2align	8
	.type	_ZN9rocsparseL18bsrxmvn_4x4_kernelILj128ELj8EdiifddEEvT3_20rocsparse_direction_NS_24const_host_device_scalarIT1_EES1_PKS1_PKT2_SA_S7_PKT4_PKT5_S5_PT6_21rocsparse_index_base_b,@function
_ZN9rocsparseL18bsrxmvn_4x4_kernelILj128ELj8EdiifddEEvT3_20rocsparse_direction_NS_24const_host_device_scalarIT1_EES1_PKS1_PKT2_SA_S7_PKT4_PKT5_S5_PT6_21rocsparse_index_base_b: ; @_ZN9rocsparseL18bsrxmvn_4x4_kernelILj128ELj8EdiifddEEvT3_20rocsparse_direction_NS_24const_host_device_scalarIT1_EES1_PKS1_PKT2_SA_S7_PKT4_PKT5_S5_PT6_21rocsparse_index_base_b
; %bb.0:
	s_load_dwordx2 s[2:3], s[4:5], 0x58
	s_load_dwordx2 s[10:11], s[4:5], 0x8
	;; [unrolled: 1-line block ×3, first 2 shown]
	s_waitcnt lgkmcnt(0)
	s_bitcmp1_b32 s3, 0
	s_cselect_b64 s[12:13], -1, 0
	s_xor_b64 s[8:9], s[12:13], -1
	s_and_b64 vcc, exec, s[12:13]
	v_pk_mov_b32 v[2:3], s[10:11], s[10:11] op_sel:[0,1]
	s_cbranch_vccnz .LBB151_2
; %bb.1:
	v_pk_mov_b32 v[2:3], s[10:11], s[10:11] op_sel:[0,1]
	flat_load_dwordx2 v[2:3], v[2:3]
.LBB151_2:
	s_andn2_b64 vcc, exec, s[8:9]
	v_pk_mov_b32 v[8:9], s[0:1], s[0:1] op_sel:[0,1]
	s_cbranch_vccnz .LBB151_4
; %bb.3:
	v_pk_mov_b32 v[4:5], s[0:1], s[0:1] op_sel:[0,1]
	flat_load_dwordx2 v[8:9], v[4:5]
.LBB151_4:
	s_waitcnt vmcnt(0) lgkmcnt(0)
	v_cmp_neq_f64_e32 vcc, 0, v[2:3]
	v_cmp_neq_f64_e64 s[0:1], 1.0, v[8:9]
	s_mov_b64 s[8:9], 0
	s_or_b64 s[0:1], vcc, s[0:1]
	s_and_saveexec_b64 s[10:11], s[0:1]
	s_cbranch_execz .LBB151_10
; %bb.5:
	s_load_dwordx2 s[10:11], s[4:5], 0x18
	s_load_dwordx2 s[0:1], s[4:5], 0x0
	v_lshrrev_b32_e32 v1, 3, v0
	v_lshl_or_b32 v10, s6, 4, v1
	s_mov_b64 s[6:7], 0
	s_waitcnt lgkmcnt(0)
	s_cmp_lg_u64 s[10:11], 0
	s_cbranch_scc0 .LBB151_11
; %bb.6:
	s_load_dword s3, s[4:5], 0x10
                                        ; implicit-def: $vgpr1
	s_waitcnt lgkmcnt(0)
	v_cmp_gt_i32_e32 vcc, s3, v10
	s_and_saveexec_b64 s[8:9], vcc
	s_xor_b64 s[8:9], exec, s[8:9]
	s_cbranch_execz .LBB151_8
; %bb.7:
	v_ashrrev_i32_e32 v11, 31, v10
	v_lshlrev_b64 v[4:5], 2, v[10:11]
	v_mov_b32_e32 v1, s11
	v_add_co_u32_e32 v4, vcc, s10, v4
	v_addc_co_u32_e32 v5, vcc, v1, v5, vcc
	global_load_dword v1, v[4:5], off
	s_mov_b64 s[6:7], exec
	s_waitcnt vmcnt(0)
	v_subrev_u32_e32 v1, s2, v1
.LBB151_8:
	s_or_b64 exec, exec, s[8:9]
	s_mov_b64 s[8:9], s[6:7]
	s_branch .LBB151_12
.LBB151_9:
	v_cmp_gt_i32_e32 vcc, s0, v10
	s_andn2_b64 s[6:7], s[8:9], exec
	s_and_b64 s[8:9], vcc, exec
	s_or_b64 s[8:9], s[6:7], s[8:9]
	s_and_b64 exec, exec, s[8:9]
	s_cbranch_execnz .LBB151_13
.LBB151_10:
	s_endpgm
.LBB151_11:
                                        ; implicit-def: $vgpr1
	s_cbranch_execnz .LBB151_9
.LBB151_12:
	v_mov_b32_e32 v10, v1
	s_and_b64 exec, exec, s[8:9]
	s_cbranch_execz .LBB151_10
.LBB151_13:
	s_load_dwordx8 s[8:15], s[4:5], 0x20
	v_ashrrev_i32_e32 v11, 31, v10
	v_lshlrev_b64 v[4:5], 2, v[10:11]
	v_and_b32_e32 v11, 7, v0
	s_load_dwordx2 s[6:7], s[4:5], 0x40
	s_waitcnt lgkmcnt(0)
	v_mov_b32_e32 v1, s9
	v_add_co_u32_e32 v6, vcc, s8, v4
	v_addc_co_u32_e32 v7, vcc, v1, v5, vcc
	v_add_co_u32_e32 v1, vcc, 4, v6
	global_load_dword v97, v[6:7], off
	v_addc_co_u32_e32 v6, vcc, 0, v7, vcc
	v_mov_b32_e32 v7, s11
	v_add_co_u32_e32 v4, vcc, s10, v4
	s_cmp_eq_u64 s[10:11], 0
	v_addc_co_u32_e32 v5, vcc, v7, v5, vcc
	s_cselect_b64 vcc, -1, 0
	v_cndmask_b32_e32 v5, v5, v6, vcc
	v_cndmask_b32_e32 v4, v4, v1, vcc
	global_load_dword v1, v[4:5], off
	v_mov_b32_e32 v7, s15
	s_cmp_eq_u32 s1, 1
	s_waitcnt vmcnt(1)
	v_subrev_u32_e32 v0, s2, v97
	v_add_u32_e32 v4, v0, v11
	v_ashrrev_i32_e32 v5, 31, v4
	s_waitcnt vmcnt(0)
	v_subrev_u32_e32 v96, s2, v1
	v_lshlrev_b64 v[0:1], 6, v[4:5]
	v_add_co_u32_e32 v6, vcc, s14, v0
	v_addc_co_u32_e32 v7, vcc, v7, v1, vcc
	v_cmp_lt_i32_e64 s[0:1], v4, v96
	s_cbranch_scc1 .LBB151_25
; %bb.14:
	v_pk_mov_b32 v[0:1], 0, 0
	s_mov_b64 s[8:9], 0
	v_pk_mov_b32 v[12:13], v[0:1], v[0:1] op_sel:[0,1]
	v_pk_mov_b32 v[14:15], v[0:1], v[0:1] op_sel:[0,1]
	;; [unrolled: 1-line block ×3, first 2 shown]
	s_and_saveexec_b64 s[10:11], s[0:1]
	s_cbranch_execz .LBB151_24
; %bb.15:
	v_add_u32_e32 v0, v97, v11
	v_subrev_u32_e32 v0, s2, v0
	v_add_u32_e32 v0, 8, v0
	v_max_i32_e32 v0, v0, v96
	v_not_b32_e32 v1, v97
	v_add3_u32 v0, v0, s2, v1
	v_sub_u32_e32 v5, v0, v11
	v_lshrrev_b32_e32 v0, 3, v5
	v_add_u32_e32 v0, 1, v0
	v_and_b32_e32 v19, 3, v0
	v_pk_mov_b32 v[16:17], 0, 0
	v_cmp_ne_u32_e32 vcc, 0, v19
	v_pk_mov_b32 v[14:15], v[16:17], v[16:17] op_sel:[0,1]
	v_pk_mov_b32 v[12:13], v[16:17], v[16:17] op_sel:[0,1]
	;; [unrolled: 1-line block ×3, first 2 shown]
	v_mov_b32_e32 v18, v4
	v_pk_mov_b32 v[20:21], v[6:7], v[6:7] op_sel:[0,1]
	s_and_saveexec_b64 s[14:15], vcc
	s_cbranch_execz .LBB151_19
; %bb.16:
	v_pk_mov_b32 v[0:1], 0, 0
	v_lshlrev_b32_e32 v22, 6, v19
	s_mov_b64 s[16:17], 0
	v_mov_b32_e32 v23, s13
	v_mov_b32_e32 v24, s7
	v_pk_mov_b32 v[20:21], v[6:7], v[6:7] op_sel:[0,1]
	v_mov_b32_e32 v18, v4
	v_pk_mov_b32 v[12:13], v[0:1], v[0:1] op_sel:[0,1]
	v_pk_mov_b32 v[14:15], v[0:1], v[0:1] op_sel:[0,1]
	v_pk_mov_b32 v[16:17], v[0:1], v[0:1] op_sel:[0,1]
.LBB151_17:                             ; =>This Inner Loop Header: Depth=1
	v_ashrrev_i32_e32 v19, 31, v18
	v_lshlrev_b64 v[26:27], 2, v[18:19]
	v_add_co_u32_e32 v42, vcc, s12, v26
	v_addc_co_u32_e32 v43, vcc, v23, v27, vcc
	global_load_dword v19, v[42:43], off
	global_load_dwordx4 v[26:29], v[20:21], off
	global_load_dwordx4 v[30:33], v[20:21], off offset:16
	global_load_dwordx4 v[34:37], v[20:21], off offset:48
	;; [unrolled: 1-line block ×3, first 2 shown]
	v_subrev_u32_e32 v22, 64, v22
	v_add_u32_e32 v18, 8, v18
	s_waitcnt vmcnt(4)
	v_subrev_u32_e32 v19, s2, v19
	v_lshlrev_b32_e32 v42, 2, v19
	v_ashrrev_i32_e32 v43, 31, v42
	v_lshlrev_b64 v[42:43], 3, v[42:43]
	v_add_co_u32_e32 v50, vcc, s6, v42
	v_addc_co_u32_e32 v51, vcc, v24, v43, vcc
	global_load_dwordx4 v[42:45], v[50:51], off
	global_load_dwordx4 v[46:49], v[50:51], off offset:16
	s_waitcnt vmcnt(5)
	v_cvt_f64_f32_e32 v[50:51], v26
	s_waitcnt vmcnt(4)
	v_cvt_f64_f32_e32 v[54:55], v30
	;; [unrolled: 2-line block ×3, first 2 shown]
	v_cvt_f64_f32_e32 v[62:63], v34
	v_add_co_u32_e32 v20, vcc, 0x200, v20
	v_cvt_f64_f32_e32 v[26:27], v27
	v_cvt_f64_f32_e32 v[30:31], v31
	;; [unrolled: 1-line block ×4, first 2 shown]
	v_addc_co_u32_e32 v21, vcc, 0, v21, vcc
	v_cvt_f64_f32_e32 v[52:53], v28
	v_cvt_f64_f32_e32 v[56:57], v32
	;; [unrolled: 1-line block ×4, first 2 shown]
	v_cmp_eq_u32_e32 vcc, 0, v22
	v_cvt_f64_f32_e32 v[28:29], v29
	v_cvt_f64_f32_e32 v[32:33], v33
	;; [unrolled: 1-line block ×4, first 2 shown]
	s_or_b64 s[16:17], vcc, s[16:17]
	s_waitcnt vmcnt(1)
	v_fmac_f64_e32 v[16:17], v[50:51], v[42:43]
	v_fmac_f64_e32 v[14:15], v[54:55], v[42:43]
	;; [unrolled: 1-line block ×8, first 2 shown]
	s_waitcnt vmcnt(0)
	v_fmac_f64_e32 v[16:17], v[52:53], v[46:47]
	v_fmac_f64_e32 v[14:15], v[56:57], v[46:47]
	;; [unrolled: 1-line block ×8, first 2 shown]
	s_andn2_b64 exec, exec, s[16:17]
	s_cbranch_execnz .LBB151_17
; %bb.18:
	s_or_b64 exec, exec, s[16:17]
.LBB151_19:
	s_or_b64 exec, exec, s[14:15]
	v_cmp_lt_u32_e32 vcc, 23, v5
	s_and_saveexec_b64 s[14:15], vcc
	s_cbranch_execz .LBB151_23
; %bb.20:
	s_mov_b64 s[16:17], 0
	v_mov_b32_e32 v5, s13
	v_mov_b32_e32 v98, s7
.LBB151_21:                             ; =>This Inner Loop Header: Depth=1
	global_load_dwordx4 v[26:29], v[20:21], off
	global_load_dwordx4 v[30:33], v[20:21], off offset:16
	global_load_dwordx4 v[34:37], v[20:21], off offset:32
	;; [unrolled: 1-line block ×7, first 2 shown]
	v_ashrrev_i32_e32 v19, 31, v18
	v_lshlrev_b64 v[22:23], 2, v[18:19]
	v_add_co_u32_e32 v24, vcc, s12, v22
	v_addc_co_u32_e32 v25, vcc, v5, v23, vcc
	global_load_dword v19, v[24:25], off
	v_add_u32_e32 v18, 32, v18
	s_waitcnt vmcnt(8)
	v_cvt_f64_f32_e32 v[68:69], v28
	v_cvt_f64_f32_e32 v[66:67], v29
	s_waitcnt vmcnt(6)
	v_cvt_f64_f32_e32 v[74:75], v36
	s_waitcnt vmcnt(5)
	v_cvt_f64_f32_e32 v[94:95], v40
	v_cvt_f64_f32_e32 v[64:65], v41
	s_waitcnt vmcnt(4)
	v_cvt_f64_f32_e32 v[82:83], v42
	v_cvt_f64_f32_e32 v[80:81], v43
	global_load_dwordx4 v[40:43], v[20:21], off offset:1024
	v_cvt_f64_f32_e32 v[110:111], v38
	v_cvt_f64_f32_e32 v[112:113], v39
	;; [unrolled: 1-line block ×6, first 2 shown]
	s_waitcnt vmcnt(1)
	v_subrev_u32_e32 v19, s2, v19
	v_cvt_f64_f32_e32 v[100:101], v27
	v_cvt_f64_f32_e32 v[106:107], v34
	;; [unrolled: 1-line block ×19, first 2 shown]
	s_waitcnt vmcnt(0)
	v_cvt_f64_f32_e32 v[38:39], v40
	v_lshlrev_b32_e32 v40, 2, v19
	v_cvt_f64_f32_e32 v[36:37], v41
	v_ashrrev_i32_e32 v41, 31, v40
	v_lshlrev_b64 v[40:41], 3, v[40:41]
	v_add_co_u32_e32 v114, vcc, s6, v40
	v_addc_co_u32_e32 v115, vcc, v98, v41, vcc
	v_cvt_f64_f32_e32 v[30:31], v42
	v_cvt_f64_f32_e32 v[28:29], v43
	global_load_dwordx4 v[40:43], v[114:115], off
	global_load_dword v19, v[24:25], off offset:32
	s_waitcnt vmcnt(1)
	v_fmac_f64_e32 v[16:17], v[48:49], v[40:41]
	v_fmac_f64_e32 v[14:15], v[102:103], v[40:41]
	v_fmac_f64_e32 v[16:17], v[100:101], v[42:43]
	global_load_dwordx4 v[100:103], v[20:21], off offset:1040
	v_fmac_f64_e32 v[12:13], v[106:107], v[40:41]
	v_fmac_f64_e32 v[0:1], v[110:111], v[40:41]
	v_fmac_f64_e32 v[14:15], v[104:105], v[42:43]
	v_fmac_f64_e32 v[12:13], v[108:109], v[42:43]
	v_fmac_f64_e32 v[0:1], v[112:113], v[42:43]
	s_waitcnt vmcnt(1)
	v_subrev_u32_e32 v19, s2, v19
	s_waitcnt vmcnt(0)
	v_cvt_f64_f32_e32 v[76:77], v100
	v_cvt_f64_f32_e32 v[44:45], v101
	;; [unrolled: 1-line block ×4, first 2 shown]
	global_load_dwordx4 v[100:103], v[20:21], off offset:1056
	s_waitcnt vmcnt(0)
	v_cvt_f64_f32_e32 v[78:79], v100
	v_cvt_f64_f32_e32 v[56:57], v101
	;; [unrolled: 1-line block ×4, first 2 shown]
	global_load_dwordx4 v[100:103], v[114:115], off offset:16
	s_waitcnt vmcnt(0)
	v_fmac_f64_e32 v[16:17], v[68:69], v[100:101]
	v_fmac_f64_e32 v[14:15], v[72:73], v[100:101]
	;; [unrolled: 1-line block ×6, first 2 shown]
	global_load_dwordx4 v[68:71], v[20:21], off offset:1072
	v_fmac_f64_e32 v[12:13], v[62:63], v[102:103]
	v_fmac_f64_e32 v[0:1], v[64:65], v[102:103]
	global_load_dwordx4 v[100:103], v[20:21], off offset:1536
	s_waitcnt vmcnt(1)
	v_cvt_f64_f32_e32 v[64:65], v70
	v_cvt_f64_f32_e32 v[62:63], v71
	;; [unrolled: 1-line block ×3, first 2 shown]
	s_waitcnt vmcnt(0)
	v_cvt_f64_f32_e32 v[74:75], v100
	v_lshlrev_b32_e32 v100, 2, v19
	v_cvt_f64_f32_e32 v[72:73], v101
	v_ashrrev_i32_e32 v101, 31, v100
	v_lshlrev_b64 v[100:101], 3, v[100:101]
	v_add_co_u32_e32 v104, vcc, s6, v100
	v_addc_co_u32_e32 v105, vcc, v98, v101, vcc
	v_cvt_f64_f32_e32 v[70:71], v102
	v_cvt_f64_f32_e32 v[66:67], v103
	global_load_dwordx4 v[100:103], v[104:105], off
	v_cvt_f64_f32_e32 v[68:69], v69
	s_waitcnt vmcnt(0)
	v_fmac_f64_e32 v[16:17], v[82:83], v[100:101]
	v_fmac_f64_e32 v[14:15], v[86:87], v[100:101]
	;; [unrolled: 1-line block ×7, first 2 shown]
	global_load_dwordx4 v[80:83], v[20:21], off offset:1552
	v_fmac_f64_e32 v[0:1], v[60:61], v[102:103]
	global_load_dwordx4 v[100:103], v[20:21], off offset:1568
	s_waitcnt vmcnt(1)
	v_cvt_f64_f32_e32 v[88:89], v80
	v_cvt_f64_f32_e32 v[84:85], v81
	;; [unrolled: 1-line block ×4, first 2 shown]
	s_waitcnt vmcnt(0)
	v_cvt_f64_f32_e32 v[92:93], v100
	v_cvt_f64_f32_e32 v[90:91], v101
	;; [unrolled: 1-line block ×4, first 2 shown]
	global_load_dwordx4 v[100:103], v[104:105], off offset:16
	s_waitcnt vmcnt(0)
	v_fmac_f64_e32 v[0:1], v[58:59], v[100:101]
	global_load_dword v19, v[24:25], off offset:64
	global_load_dword v58, v[24:25], off offset:96
	v_fmac_f64_e32 v[16:17], v[46:47], v[100:101]
	v_fmac_f64_e32 v[14:15], v[50:51], v[100:101]
	;; [unrolled: 1-line block ×4, first 2 shown]
	global_load_dwordx4 v[32:35], v[20:21], off offset:1584
	v_fmac_f64_e32 v[0:1], v[22:23], v[102:103]
	v_fmac_f64_e32 v[12:13], v[54:55], v[100:101]
	;; [unrolled: 1-line block ×3, first 2 shown]
	s_waitcnt vmcnt(2)
	v_subrev_u32_e32 v19, s2, v19
	s_waitcnt vmcnt(1)
	v_subrev_u32_e32 v23, s2, v58
	v_lshlrev_b32_e32 v22, 2, v19
	v_lshlrev_b32_e32 v24, 2, v23
	v_ashrrev_i32_e32 v23, 31, v22
	v_lshlrev_b64 v[22:23], 3, v[22:23]
	s_waitcnt vmcnt(0)
	v_cvt_f64_f32_e32 v[26:27], v32
	v_ashrrev_i32_e32 v25, 31, v24
	v_add_co_u32_e32 v32, vcc, s6, v22
	v_cvt_f64_f32_e32 v[46:47], v33
	v_lshlrev_b64 v[24:25], 3, v[24:25]
	v_addc_co_u32_e32 v33, vcc, v98, v23, vcc
	v_add_co_u32_e32 v58, vcc, s6, v24
	v_addc_co_u32_e32 v59, vcc, v98, v25, vcc
	global_load_dwordx4 v[22:25], v[32:33], off
	v_cvt_f64_f32_e32 v[50:51], v34
	v_cvt_f64_f32_e32 v[54:55], v35
	global_load_dwordx4 v[32:35], v[32:33], off offset:16
	v_add_co_u32_e32 v20, vcc, 0x800, v20
	v_addc_co_u32_e32 v21, vcc, 0, v21, vcc
	v_cmp_ge_i32_e32 vcc, v18, v96
	s_or_b64 s[16:17], vcc, s[16:17]
	s_waitcnt vmcnt(1)
	v_fmac_f64_e32 v[14:15], v[76:77], v[22:23]
	v_fmac_f64_e32 v[12:13], v[78:79], v[22:23]
	global_load_dwordx4 v[76:79], v[58:59], off
	v_fmac_f64_e32 v[16:17], v[38:39], v[22:23]
	v_fmac_f64_e32 v[16:17], v[36:37], v[24:25]
	global_load_dwordx4 v[36:39], v[58:59], off offset:16
	v_fmac_f64_e32 v[0:1], v[94:95], v[22:23]
	v_fmac_f64_e32 v[14:15], v[44:45], v[24:25]
	v_fmac_f64_e32 v[12:13], v[56:57], v[24:25]
	v_fmac_f64_e32 v[0:1], v[68:69], v[24:25]
	s_waitcnt vmcnt(2)
	v_fmac_f64_e32 v[16:17], v[30:31], v[32:33]
	v_fmac_f64_e32 v[14:15], v[42:43], v[32:33]
	v_fmac_f64_e32 v[12:13], v[52:53], v[32:33]
	v_fmac_f64_e32 v[0:1], v[64:65], v[32:33]
	v_fmac_f64_e32 v[16:17], v[28:29], v[34:35]
	v_fmac_f64_e32 v[14:15], v[40:41], v[34:35]
	v_fmac_f64_e32 v[12:13], v[48:49], v[34:35]
	v_fmac_f64_e32 v[0:1], v[62:63], v[34:35]
	s_waitcnt vmcnt(1)
	v_fmac_f64_e32 v[16:17], v[74:75], v[76:77]
	v_fmac_f64_e32 v[14:15], v[88:89], v[76:77]
	v_fmac_f64_e32 v[12:13], v[92:93], v[76:77]
	v_fmac_f64_e32 v[0:1], v[26:27], v[76:77]
	;; [unrolled: 9-line block ×3, first 2 shown]
	v_fmac_f64_e32 v[16:17], v[66:67], v[38:39]
	v_fmac_f64_e32 v[14:15], v[60:61], v[38:39]
	;; [unrolled: 1-line block ×4, first 2 shown]
	s_andn2_b64 exec, exec, s[16:17]
	s_cbranch_execnz .LBB151_21
; %bb.22:
	s_or_b64 exec, exec, s[16:17]
.LBB151_23:
	s_or_b64 exec, exec, s[14:15]
.LBB151_24:
	s_or_b64 exec, exec, s[10:11]
	s_andn2_b64 vcc, exec, s[8:9]
	s_cbranch_vccz .LBB151_26
	s_branch .LBB151_37
.LBB151_25:
                                        ; implicit-def: $vgpr0_vgpr1
                                        ; implicit-def: $vgpr12_vgpr13
                                        ; implicit-def: $vgpr14_vgpr15
                                        ; implicit-def: $vgpr16_vgpr17
.LBB151_26:
	v_pk_mov_b32 v[0:1], 0, 0
	v_pk_mov_b32 v[12:13], v[0:1], v[0:1] op_sel:[0,1]
	v_pk_mov_b32 v[14:15], v[0:1], v[0:1] op_sel:[0,1]
	;; [unrolled: 1-line block ×3, first 2 shown]
	s_and_saveexec_b64 s[8:9], s[0:1]
	s_cbranch_execz .LBB151_36
; %bb.27:
	v_add_u32_e32 v0, v97, v11
	v_subrev_u32_e32 v0, s2, v0
	v_add_u32_e32 v0, 8, v0
	v_max_i32_e32 v0, v0, v96
	v_not_b32_e32 v1, v97
	v_add3_u32 v0, v0, s2, v1
	v_sub_u32_e32 v18, v0, v11
	v_lshrrev_b32_e32 v0, 3, v18
	v_add_u32_e32 v0, 1, v0
	v_and_b32_e32 v5, 3, v0
	v_pk_mov_b32 v[16:17], 0, 0
	v_cmp_ne_u32_e32 vcc, 0, v5
	v_pk_mov_b32 v[14:15], v[16:17], v[16:17] op_sel:[0,1]
	v_pk_mov_b32 v[12:13], v[16:17], v[16:17] op_sel:[0,1]
	;; [unrolled: 1-line block ×3, first 2 shown]
	s_and_saveexec_b64 s[0:1], vcc
	s_cbranch_execz .LBB151_31
; %bb.28:
	v_pk_mov_b32 v[0:1], 0, 0
	v_lshlrev_b32_e32 v19, 6, v5
	s_mov_b64 s[10:11], 0
	v_mov_b32_e32 v20, s13
	v_mov_b32_e32 v21, s7
	v_pk_mov_b32 v[12:13], v[0:1], v[0:1] op_sel:[0,1]
	v_pk_mov_b32 v[14:15], v[0:1], v[0:1] op_sel:[0,1]
	;; [unrolled: 1-line block ×3, first 2 shown]
.LBB151_29:                             ; =>This Inner Loop Header: Depth=1
	v_ashrrev_i32_e32 v5, 31, v4
	v_lshlrev_b64 v[22:23], 2, v[4:5]
	v_add_co_u32_e32 v34, vcc, s12, v22
	v_addc_co_u32_e32 v35, vcc, v20, v23, vcc
	global_load_dword v5, v[34:35], off
	global_load_dwordx4 v[22:25], v[6:7], off offset:16
	global_load_dwordx4 v[26:29], v[6:7], off
	global_load_dwordx4 v[30:33], v[6:7], off offset:32
	v_subrev_u32_e32 v19, 64, v19
	v_add_u32_e32 v4, 8, v4
	s_waitcnt vmcnt(3)
	v_subrev_u32_e32 v5, s2, v5
	v_lshlrev_b32_e32 v34, 2, v5
	v_ashrrev_i32_e32 v35, 31, v34
	v_lshlrev_b64 v[34:35], 3, v[34:35]
	v_add_co_u32_e32 v46, vcc, s6, v34
	v_addc_co_u32_e32 v47, vcc, v21, v35, vcc
	global_load_dwordx4 v[34:37], v[46:47], off offset:16
	global_load_dwordx4 v[38:41], v[46:47], off
	global_load_dwordx4 v[42:45], v[6:7], off offset:48
	s_waitcnt vmcnt(4)
	v_cvt_f64_f32_e32 v[46:47], v26
	v_cvt_f64_f32_e32 v[26:27], v27
	;; [unrolled: 1-line block ×4, first 2 shown]
	v_add_co_u32_e32 v6, vcc, 0x200, v6
	v_cvt_f64_f32_e32 v[50:51], v22
	v_cvt_f64_f32_e32 v[22:23], v23
	;; [unrolled: 1-line block ×4, first 2 shown]
	v_addc_co_u32_e32 v7, vcc, 0, v7, vcc
	s_waitcnt vmcnt(3)
	v_cvt_f64_f32_e32 v[54:55], v30
	v_cvt_f64_f32_e32 v[30:31], v31
	;; [unrolled: 1-line block ×4, first 2 shown]
	v_cmp_eq_u32_e32 vcc, 0, v19
	s_or_b64 s[10:11], vcc, s[10:11]
	s_waitcnt vmcnt(1)
	v_fmac_f64_e32 v[16:17], v[46:47], v[38:39]
	v_fmac_f64_e32 v[14:15], v[26:27], v[38:39]
	;; [unrolled: 1-line block ×8, first 2 shown]
	s_waitcnt vmcnt(0)
	v_cvt_f64_f32_e32 v[58:59], v42
	v_cvt_f64_f32_e32 v[42:43], v43
	;; [unrolled: 1-line block ×4, first 2 shown]
	v_fmac_f64_e32 v[16:17], v[54:55], v[34:35]
	v_fmac_f64_e32 v[14:15], v[30:31], v[34:35]
	;; [unrolled: 1-line block ×8, first 2 shown]
	s_andn2_b64 exec, exec, s[10:11]
	s_cbranch_execnz .LBB151_29
; %bb.30:
	s_or_b64 exec, exec, s[10:11]
.LBB151_31:
	s_or_b64 exec, exec, s[0:1]
	v_cmp_lt_u32_e32 vcc, 23, v18
	s_and_saveexec_b64 s[0:1], vcc
	s_cbranch_execz .LBB151_35
; %bb.32:
	s_mov_b64 s[10:11], 0
	v_mov_b32_e32 v44, s13
	v_mov_b32_e32 v45, s7
.LBB151_33:                             ; =>This Inner Loop Header: Depth=1
	v_ashrrev_i32_e32 v5, 31, v4
	v_lshlrev_b64 v[34:35], 2, v[4:5]
	v_add_co_u32_e32 v46, vcc, s12, v34
	v_addc_co_u32_e32 v47, vcc, v44, v35, vcc
	global_load_dwordx4 v[18:21], v[6:7], off
	global_load_dwordx4 v[22:25], v[6:7], off offset:16
	global_load_dwordx4 v[26:29], v[6:7], off offset:32
	;; [unrolled: 1-line block ×5, first 2 shown]
	global_load_dword v78, v[46:47], off
	global_load_dword v90, v[46:47], off offset:32
	global_load_dword v91, v[46:47], off offset:64
	;; [unrolled: 1-line block ×3, first 2 shown]
	v_add_u32_e32 v4, 32, v4
	s_waitcnt vmcnt(9)
	v_cvt_f64_f32_e32 v[48:49], v18
	v_cvt_f64_f32_e32 v[50:51], v19
	s_waitcnt vmcnt(7)
	v_cvt_f64_f32_e32 v[64:65], v26
	v_cvt_f64_f32_e32 v[66:67], v27
	s_waitcnt vmcnt(5)
	v_cvt_f64_f32_e32 v[26:27], v36
	v_cvt_f64_f32_e32 v[68:69], v28
	s_waitcnt vmcnt(3)
	v_subrev_u32_e32 v36, s2, v78
	v_lshlrev_b32_e32 v36, 2, v36
	v_cvt_f64_f32_e32 v[70:71], v29
	v_cvt_f64_f32_e32 v[28:29], v37
	v_ashrrev_i32_e32 v37, 31, v36
	v_lshlrev_b64 v[36:37], 3, v[36:37]
	v_add_co_u32_e32 v78, vcc, s6, v36
	v_addc_co_u32_e32 v79, vcc, v45, v37, vcc
	v_cvt_f64_f32_e32 v[72:73], v30
	v_cvt_f64_f32_e32 v[74:75], v31
	;; [unrolled: 1-line block ×6, first 2 shown]
	global_load_dwordx4 v[36:39], v[78:79], off
	v_cvt_f64_f32_e32 v[52:53], v20
	v_cvt_f64_f32_e32 v[54:55], v21
	;; [unrolled: 1-line block ×10, first 2 shown]
	global_load_dwordx4 v[40:43], v[6:7], off offset:544
	s_waitcnt vmcnt(2)
	v_subrev_u32_e32 v5, s2, v5
	s_waitcnt vmcnt(1)
	v_fmac_f64_e32 v[16:17], v[48:49], v[36:37]
	global_load_dwordx4 v[46:49], v[6:7], off offset:560
	v_fmac_f64_e32 v[14:15], v[50:51], v[36:37]
	v_fmac_f64_e32 v[12:13], v[52:53], v[36:37]
	;; [unrolled: 1-line block ×7, first 2 shown]
	global_load_dwordx4 v[36:39], v[6:7], off offset:1024
	s_waitcnt vmcnt(2)
	v_cvt_f64_f32_e32 v[50:51], v40
	v_cvt_f64_f32_e32 v[52:53], v41
	;; [unrolled: 1-line block ×4, first 2 shown]
	global_load_dwordx4 v[40:43], v[6:7], off offset:1040
	s_waitcnt vmcnt(2)
	v_cvt_f64_f32_e32 v[58:59], v46
	v_cvt_f64_f32_e32 v[60:61], v47
	;; [unrolled: 1-line block ×4, first 2 shown]
	s_waitcnt vmcnt(1)
	v_cvt_f64_f32_e32 v[82:83], v36
	v_cvt_f64_f32_e32 v[84:85], v37
	;; [unrolled: 1-line block ×4, first 2 shown]
	global_load_dwordx4 v[36:39], v[78:79], off offset:16
	s_waitcnt vmcnt(0)
	v_fmac_f64_e32 v[0:1], v[70:71], v[36:37]
	v_fmac_f64_e32 v[0:1], v[34:35], v[38:39]
	v_subrev_u32_e32 v34, s2, v90
	v_lshlrev_b32_e32 v34, 2, v34
	v_ashrrev_i32_e32 v35, 31, v34
	v_lshlrev_b64 v[34:35], 3, v[34:35]
	v_add_co_u32_e32 v46, vcc, s6, v34
	v_fmac_f64_e32 v[16:17], v[64:65], v[36:37]
	v_fmac_f64_e32 v[14:15], v[66:67], v[36:37]
	;; [unrolled: 1-line block ×3, first 2 shown]
	v_addc_co_u32_e32 v47, vcc, v45, v35, vcc
	v_fmac_f64_e32 v[16:17], v[72:73], v[38:39]
	v_fmac_f64_e32 v[14:15], v[74:75], v[38:39]
	;; [unrolled: 1-line block ×3, first 2 shown]
	global_load_dwordx4 v[36:39], v[46:47], off
	v_cvt_f64_f32_e32 v[64:65], v40
	global_load_dwordx4 v[46:49], v[46:47], off offset:16
	v_cvt_f64_f32_e32 v[66:67], v41
	v_cvt_f64_f32_e32 v[68:69], v42
	;; [unrolled: 1-line block ×3, first 2 shown]
	s_waitcnt vmcnt(1)
	v_fmac_f64_e32 v[16:17], v[26:27], v[36:37]
	v_fmac_f64_e32 v[14:15], v[28:29], v[36:37]
	;; [unrolled: 1-line block ×8, first 2 shown]
	s_waitcnt vmcnt(0)
	v_fmac_f64_e32 v[16:17], v[50:51], v[46:47]
	v_fmac_f64_e32 v[14:15], v[52:53], v[46:47]
	;; [unrolled: 1-line block ×4, first 2 shown]
	global_load_dwordx4 v[30:33], v[6:7], off offset:1536
	global_load_dwordx4 v[50:53], v[6:7], off offset:1552
	v_fmac_f64_e32 v[16:17], v[58:59], v[48:49]
	v_fmac_f64_e32 v[14:15], v[60:61], v[48:49]
	;; [unrolled: 1-line block ×4, first 2 shown]
	global_load_dwordx4 v[46:49], v[6:7], off offset:1568
	global_load_dwordx4 v[26:29], v[6:7], off offset:1056
	global_load_dwordx4 v[22:25], v[6:7], off offset:1072
	s_waitcnt vmcnt(3)
	v_cvt_f64_f32_e32 v[54:55], v50
	v_cvt_f64_f32_e32 v[56:57], v51
	;; [unrolled: 1-line block ×4, first 2 shown]
	global_load_dwordx4 v[50:53], v[6:7], off offset:1584
	s_waitcnt vmcnt(3)
	v_cvt_f64_f32_e32 v[62:63], v46
	v_subrev_u32_e32 v46, s2, v91
	v_lshlrev_b32_e32 v46, 2, v46
	v_cvt_f64_f32_e32 v[70:71], v47
	v_ashrrev_i32_e32 v47, 31, v46
	v_lshlrev_b64 v[46:47], 3, v[46:47]
	v_add_co_u32_e32 v76, vcc, s6, v46
	v_addc_co_u32_e32 v77, vcc, v45, v47, vcc
	v_cvt_f64_f32_e32 v[72:73], v48
	v_cvt_f64_f32_e32 v[74:75], v49
	global_load_dwordx4 v[46:49], v[76:77], off
	s_waitcnt vmcnt(3)
	v_cvt_f64_f32_e32 v[36:37], v26
	v_cvt_f64_f32_e32 v[38:39], v27
	;; [unrolled: 1-line block ×4, first 2 shown]
	s_waitcnt vmcnt(2)
	v_cvt_f64_f32_e32 v[18:19], v22
	v_cvt_f64_f32_e32 v[20:21], v23
	;; [unrolled: 1-line block ×8, first 2 shown]
	s_waitcnt vmcnt(0)
	v_fmac_f64_e32 v[16:17], v[82:83], v[46:47]
	v_fmac_f64_e32 v[14:15], v[84:85], v[46:47]
	;; [unrolled: 1-line block ×8, first 2 shown]
	global_load_dwordx4 v[46:49], v[76:77], off offset:16
	v_lshlrev_b32_e32 v42, 2, v5
	v_ashrrev_i32_e32 v43, 31, v42
	v_lshlrev_b64 v[42:43], 3, v[42:43]
	v_add_co_u32_e32 v42, vcc, s6, v42
	v_addc_co_u32_e32 v43, vcc, v45, v43, vcc
	v_add_co_u32_e32 v6, vcc, 0x800, v6
	v_addc_co_u32_e32 v7, vcc, 0, v7, vcc
	v_cvt_f64_f32_e32 v[64:65], v50
	v_cvt_f64_f32_e32 v[50:51], v51
	v_cvt_f64_f32_e32 v[66:67], v52
	v_cvt_f64_f32_e32 v[52:53], v53
	v_cmp_ge_i32_e32 vcc, v4, v96
	s_or_b64 s[10:11], vcc, s[10:11]
	s_waitcnt vmcnt(0)
	v_fmac_f64_e32 v[16:17], v[36:37], v[46:47]
	v_fmac_f64_e32 v[14:15], v[38:39], v[46:47]
	global_load_dwordx4 v[36:39], v[42:43], off
	v_fmac_f64_e32 v[12:13], v[40:41], v[46:47]
	global_load_dwordx4 v[40:43], v[42:43], off offset:16
	v_fmac_f64_e32 v[0:1], v[34:35], v[46:47]
	v_fmac_f64_e32 v[16:17], v[18:19], v[48:49]
	;; [unrolled: 1-line block ×5, first 2 shown]
	s_waitcnt vmcnt(1)
	v_fmac_f64_e32 v[16:17], v[26:27], v[36:37]
	v_fmac_f64_e32 v[14:15], v[28:29], v[36:37]
	;; [unrolled: 1-line block ×8, first 2 shown]
	s_waitcnt vmcnt(0)
	v_fmac_f64_e32 v[16:17], v[62:63], v[40:41]
	v_fmac_f64_e32 v[14:15], v[70:71], v[40:41]
	;; [unrolled: 1-line block ×8, first 2 shown]
	s_andn2_b64 exec, exec, s[10:11]
	s_cbranch_execnz .LBB151_33
; %bb.34:
	s_or_b64 exec, exec, s[10:11]
.LBB151_35:
	s_or_b64 exec, exec, s[0:1]
.LBB151_36:
	s_or_b64 exec, exec, s[8:9]
.LBB151_37:
	v_mov_b32_dpp v4, v16 row_shr:1 row_mask:0xf bank_mask:0xf
	v_mov_b32_dpp v5, v17 row_shr:1 row_mask:0xf bank_mask:0xf
	v_add_f64 v[4:5], v[16:17], v[4:5]
	v_mov_b32_dpp v16, v14 row_shr:1 row_mask:0xf bank_mask:0xf
	v_mov_b32_dpp v17, v15 row_shr:1 row_mask:0xf bank_mask:0xf
	;; [unrolled: 1-line block ×6, first 2 shown]
	v_add_f64 v[14:15], v[14:15], v[16:17]
	v_add_f64 v[12:13], v[12:13], v[18:19]
	;; [unrolled: 1-line block ×3, first 2 shown]
	v_mov_b32_dpp v6, v4 row_shr:2 row_mask:0xf bank_mask:0xf
	v_mov_b32_dpp v7, v5 row_shr:2 row_mask:0xf bank_mask:0xf
	;; [unrolled: 1-line block ×8, first 2 shown]
	v_add_f64 v[4:5], v[4:5], v[6:7]
	v_add_f64 v[14:15], v[14:15], v[16:17]
	;; [unrolled: 1-line block ×4, first 2 shown]
	v_mov_b32_dpp v6, v4 row_shr:4 row_mask:0xf bank_mask:0xe
	v_mov_b32_dpp v7, v5 row_shr:4 row_mask:0xf bank_mask:0xe
	;; [unrolled: 1-line block ×8, first 2 shown]
	v_cmp_eq_u32_e32 vcc, 7, v11
	s_and_b64 exec, exec, vcc
	s_cbranch_execz .LBB151_10
; %bb.38:
	s_load_dwordx2 s[0:1], s[4:5], 0x50
	v_add_f64 v[4:5], v[4:5], v[6:7]
	v_add_f64 v[6:7], v[14:15], v[16:17]
	;; [unrolled: 1-line block ×4, first 2 shown]
	v_cmp_eq_f64_e32 vcc, 0, v[8:9]
	v_mul_f64 v[4:5], v[2:3], v[4:5]
	v_mul_f64 v[6:7], v[2:3], v[6:7]
	;; [unrolled: 1-line block ×4, first 2 shown]
	v_lshlrev_b32_e32 v10, 2, v10
	s_and_saveexec_b64 s[2:3], vcc
	s_xor_b64 s[2:3], exec, s[2:3]
	s_cbranch_execz .LBB151_40
; %bb.39:
	v_ashrrev_i32_e32 v11, 31, v10
	v_lshlrev_b64 v[8:9], 3, v[10:11]
	s_waitcnt lgkmcnt(0)
	v_mov_b32_e32 v10, s1
	v_add_co_u32_e32 v8, vcc, s0, v8
	v_addc_co_u32_e32 v9, vcc, v10, v9, vcc
	global_store_dwordx4 v[8:9], v[4:7], off
	global_store_dwordx4 v[8:9], v[0:3], off offset:16
                                        ; implicit-def: $vgpr10
                                        ; implicit-def: $vgpr8_vgpr9
                                        ; implicit-def: $vgpr4_vgpr5
                                        ; implicit-def: $vgpr0_vgpr1
.LBB151_40:
	s_andn2_saveexec_b64 s[2:3], s[2:3]
	s_cbranch_execz .LBB151_10
; %bb.41:
	v_ashrrev_i32_e32 v11, 31, v10
	v_lshlrev_b64 v[10:11], 3, v[10:11]
	s_waitcnt lgkmcnt(0)
	v_mov_b32_e32 v12, s1
	v_add_co_u32_e32 v18, vcc, s0, v10
	v_addc_co_u32_e32 v19, vcc, v12, v11, vcc
	global_load_dwordx4 v[10:13], v[18:19], off
	global_load_dwordx4 v[14:17], v[18:19], off offset:16
	s_waitcnt vmcnt(1)
	v_fmac_f64_e32 v[4:5], v[8:9], v[10:11]
	v_fmac_f64_e32 v[6:7], v[8:9], v[12:13]
	s_waitcnt vmcnt(0)
	v_fmac_f64_e32 v[0:1], v[8:9], v[14:15]
	v_fmac_f64_e32 v[2:3], v[8:9], v[16:17]
	global_store_dwordx4 v[18:19], v[4:7], off
	global_store_dwordx4 v[18:19], v[0:3], off offset:16
	s_endpgm
	.section	.rodata,"a",@progbits
	.p2align	6, 0x0
	.amdhsa_kernel _ZN9rocsparseL18bsrxmvn_4x4_kernelILj128ELj8EdiifddEEvT3_20rocsparse_direction_NS_24const_host_device_scalarIT1_EES1_PKS1_PKT2_SA_S7_PKT4_PKT5_S5_PT6_21rocsparse_index_base_b
		.amdhsa_group_segment_fixed_size 0
		.amdhsa_private_segment_fixed_size 0
		.amdhsa_kernarg_size 96
		.amdhsa_user_sgpr_count 6
		.amdhsa_user_sgpr_private_segment_buffer 1
		.amdhsa_user_sgpr_dispatch_ptr 0
		.amdhsa_user_sgpr_queue_ptr 0
		.amdhsa_user_sgpr_kernarg_segment_ptr 1
		.amdhsa_user_sgpr_dispatch_id 0
		.amdhsa_user_sgpr_flat_scratch_init 0
		.amdhsa_user_sgpr_kernarg_preload_length 0
		.amdhsa_user_sgpr_kernarg_preload_offset 0
		.amdhsa_user_sgpr_private_segment_size 0
		.amdhsa_uses_dynamic_stack 0
		.amdhsa_system_sgpr_private_segment_wavefront_offset 0
		.amdhsa_system_sgpr_workgroup_id_x 1
		.amdhsa_system_sgpr_workgroup_id_y 0
		.amdhsa_system_sgpr_workgroup_id_z 0
		.amdhsa_system_sgpr_workgroup_info 0
		.amdhsa_system_vgpr_workitem_id 0
		.amdhsa_next_free_vgpr 116
		.amdhsa_next_free_sgpr 18
		.amdhsa_accum_offset 116
		.amdhsa_reserve_vcc 1
		.amdhsa_reserve_flat_scratch 0
		.amdhsa_float_round_mode_32 0
		.amdhsa_float_round_mode_16_64 0
		.amdhsa_float_denorm_mode_32 3
		.amdhsa_float_denorm_mode_16_64 3
		.amdhsa_dx10_clamp 1
		.amdhsa_ieee_mode 1
		.amdhsa_fp16_overflow 0
		.amdhsa_tg_split 0
		.amdhsa_exception_fp_ieee_invalid_op 0
		.amdhsa_exception_fp_denorm_src 0
		.amdhsa_exception_fp_ieee_div_zero 0
		.amdhsa_exception_fp_ieee_overflow 0
		.amdhsa_exception_fp_ieee_underflow 0
		.amdhsa_exception_fp_ieee_inexact 0
		.amdhsa_exception_int_div_zero 0
	.end_amdhsa_kernel
	.section	.text._ZN9rocsparseL18bsrxmvn_4x4_kernelILj128ELj8EdiifddEEvT3_20rocsparse_direction_NS_24const_host_device_scalarIT1_EES1_PKS1_PKT2_SA_S7_PKT4_PKT5_S5_PT6_21rocsparse_index_base_b,"axG",@progbits,_ZN9rocsparseL18bsrxmvn_4x4_kernelILj128ELj8EdiifddEEvT3_20rocsparse_direction_NS_24const_host_device_scalarIT1_EES1_PKS1_PKT2_SA_S7_PKT4_PKT5_S5_PT6_21rocsparse_index_base_b,comdat
.Lfunc_end151:
	.size	_ZN9rocsparseL18bsrxmvn_4x4_kernelILj128ELj8EdiifddEEvT3_20rocsparse_direction_NS_24const_host_device_scalarIT1_EES1_PKS1_PKT2_SA_S7_PKT4_PKT5_S5_PT6_21rocsparse_index_base_b, .Lfunc_end151-_ZN9rocsparseL18bsrxmvn_4x4_kernelILj128ELj8EdiifddEEvT3_20rocsparse_direction_NS_24const_host_device_scalarIT1_EES1_PKS1_PKT2_SA_S7_PKT4_PKT5_S5_PT6_21rocsparse_index_base_b
                                        ; -- End function
	.section	.AMDGPU.csdata,"",@progbits
; Kernel info:
; codeLenInByte = 4004
; NumSgprs: 22
; NumVgprs: 116
; NumAgprs: 0
; TotalNumVgprs: 116
; ScratchSize: 0
; MemoryBound: 0
; FloatMode: 240
; IeeeMode: 1
; LDSByteSize: 0 bytes/workgroup (compile time only)
; SGPRBlocks: 2
; VGPRBlocks: 14
; NumSGPRsForWavesPerEU: 22
; NumVGPRsForWavesPerEU: 116
; AccumOffset: 116
; Occupancy: 4
; WaveLimiterHint : 1
; COMPUTE_PGM_RSRC2:SCRATCH_EN: 0
; COMPUTE_PGM_RSRC2:USER_SGPR: 6
; COMPUTE_PGM_RSRC2:TRAP_HANDLER: 0
; COMPUTE_PGM_RSRC2:TGID_X_EN: 1
; COMPUTE_PGM_RSRC2:TGID_Y_EN: 0
; COMPUTE_PGM_RSRC2:TGID_Z_EN: 0
; COMPUTE_PGM_RSRC2:TIDIG_COMP_CNT: 0
; COMPUTE_PGM_RSRC3_GFX90A:ACCUM_OFFSET: 28
; COMPUTE_PGM_RSRC3_GFX90A:TG_SPLIT: 0
	.section	.text._ZN9rocsparseL18bsrxmvn_4x4_kernelILj128ELj16EdiifddEEvT3_20rocsparse_direction_NS_24const_host_device_scalarIT1_EES1_PKS1_PKT2_SA_S7_PKT4_PKT5_S5_PT6_21rocsparse_index_base_b,"axG",@progbits,_ZN9rocsparseL18bsrxmvn_4x4_kernelILj128ELj16EdiifddEEvT3_20rocsparse_direction_NS_24const_host_device_scalarIT1_EES1_PKS1_PKT2_SA_S7_PKT4_PKT5_S5_PT6_21rocsparse_index_base_b,comdat
	.globl	_ZN9rocsparseL18bsrxmvn_4x4_kernelILj128ELj16EdiifddEEvT3_20rocsparse_direction_NS_24const_host_device_scalarIT1_EES1_PKS1_PKT2_SA_S7_PKT4_PKT5_S5_PT6_21rocsparse_index_base_b ; -- Begin function _ZN9rocsparseL18bsrxmvn_4x4_kernelILj128ELj16EdiifddEEvT3_20rocsparse_direction_NS_24const_host_device_scalarIT1_EES1_PKS1_PKT2_SA_S7_PKT4_PKT5_S5_PT6_21rocsparse_index_base_b
	.p2align	8
	.type	_ZN9rocsparseL18bsrxmvn_4x4_kernelILj128ELj16EdiifddEEvT3_20rocsparse_direction_NS_24const_host_device_scalarIT1_EES1_PKS1_PKT2_SA_S7_PKT4_PKT5_S5_PT6_21rocsparse_index_base_b,@function
_ZN9rocsparseL18bsrxmvn_4x4_kernelILj128ELj16EdiifddEEvT3_20rocsparse_direction_NS_24const_host_device_scalarIT1_EES1_PKS1_PKT2_SA_S7_PKT4_PKT5_S5_PT6_21rocsparse_index_base_b: ; @_ZN9rocsparseL18bsrxmvn_4x4_kernelILj128ELj16EdiifddEEvT3_20rocsparse_direction_NS_24const_host_device_scalarIT1_EES1_PKS1_PKT2_SA_S7_PKT4_PKT5_S5_PT6_21rocsparse_index_base_b
; %bb.0:
	s_load_dwordx2 s[2:3], s[4:5], 0x58
	s_load_dwordx2 s[10:11], s[4:5], 0x8
	;; [unrolled: 1-line block ×3, first 2 shown]
	s_waitcnt lgkmcnt(0)
	s_bitcmp1_b32 s3, 0
	s_cselect_b64 s[12:13], -1, 0
	s_xor_b64 s[8:9], s[12:13], -1
	s_and_b64 vcc, exec, s[12:13]
	v_pk_mov_b32 v[2:3], s[10:11], s[10:11] op_sel:[0,1]
	s_cbranch_vccnz .LBB152_2
; %bb.1:
	v_pk_mov_b32 v[2:3], s[10:11], s[10:11] op_sel:[0,1]
	flat_load_dwordx2 v[2:3], v[2:3]
.LBB152_2:
	s_andn2_b64 vcc, exec, s[8:9]
	v_pk_mov_b32 v[8:9], s[0:1], s[0:1] op_sel:[0,1]
	s_cbranch_vccnz .LBB152_4
; %bb.3:
	v_pk_mov_b32 v[4:5], s[0:1], s[0:1] op_sel:[0,1]
	flat_load_dwordx2 v[8:9], v[4:5]
.LBB152_4:
	s_waitcnt vmcnt(0) lgkmcnt(0)
	v_cmp_neq_f64_e32 vcc, 0, v[2:3]
	v_cmp_neq_f64_e64 s[0:1], 1.0, v[8:9]
	s_mov_b64 s[8:9], 0
	s_or_b64 s[0:1], vcc, s[0:1]
	s_and_saveexec_b64 s[10:11], s[0:1]
	s_cbranch_execz .LBB152_10
; %bb.5:
	s_load_dwordx2 s[10:11], s[4:5], 0x18
	s_load_dwordx2 s[0:1], s[4:5], 0x0
	v_lshrrev_b32_e32 v1, 4, v0
	v_lshl_or_b32 v10, s6, 3, v1
	s_mov_b64 s[6:7], 0
	s_waitcnt lgkmcnt(0)
	s_cmp_lg_u64 s[10:11], 0
	s_cbranch_scc0 .LBB152_11
; %bb.6:
	s_load_dword s3, s[4:5], 0x10
                                        ; implicit-def: $vgpr1
	s_waitcnt lgkmcnt(0)
	v_cmp_gt_i32_e32 vcc, s3, v10
	s_and_saveexec_b64 s[8:9], vcc
	s_xor_b64 s[8:9], exec, s[8:9]
	s_cbranch_execz .LBB152_8
; %bb.7:
	v_ashrrev_i32_e32 v11, 31, v10
	v_lshlrev_b64 v[4:5], 2, v[10:11]
	v_mov_b32_e32 v1, s11
	v_add_co_u32_e32 v4, vcc, s10, v4
	v_addc_co_u32_e32 v5, vcc, v1, v5, vcc
	global_load_dword v1, v[4:5], off
	s_mov_b64 s[6:7], exec
	s_waitcnt vmcnt(0)
	v_subrev_u32_e32 v1, s2, v1
.LBB152_8:
	s_or_b64 exec, exec, s[8:9]
	s_mov_b64 s[8:9], s[6:7]
	s_branch .LBB152_12
.LBB152_9:
	v_cmp_gt_i32_e32 vcc, s0, v10
	s_andn2_b64 s[6:7], s[8:9], exec
	s_and_b64 s[8:9], vcc, exec
	s_or_b64 s[8:9], s[6:7], s[8:9]
	s_and_b64 exec, exec, s[8:9]
	s_cbranch_execnz .LBB152_13
.LBB152_10:
	s_endpgm
.LBB152_11:
                                        ; implicit-def: $vgpr1
	s_cbranch_execnz .LBB152_9
.LBB152_12:
	v_mov_b32_e32 v10, v1
	s_and_b64 exec, exec, s[8:9]
	s_cbranch_execz .LBB152_10
.LBB152_13:
	s_load_dwordx8 s[8:15], s[4:5], 0x20
	v_ashrrev_i32_e32 v11, 31, v10
	v_lshlrev_b64 v[4:5], 2, v[10:11]
	v_and_b32_e32 v11, 15, v0
	s_load_dwordx2 s[6:7], s[4:5], 0x40
	s_waitcnt lgkmcnt(0)
	v_mov_b32_e32 v1, s9
	v_add_co_u32_e32 v6, vcc, s8, v4
	v_addc_co_u32_e32 v7, vcc, v1, v5, vcc
	v_add_co_u32_e32 v1, vcc, 4, v6
	global_load_dword v97, v[6:7], off
	v_addc_co_u32_e32 v6, vcc, 0, v7, vcc
	v_mov_b32_e32 v7, s11
	v_add_co_u32_e32 v4, vcc, s10, v4
	s_cmp_eq_u64 s[10:11], 0
	v_addc_co_u32_e32 v5, vcc, v7, v5, vcc
	s_cselect_b64 vcc, -1, 0
	v_cndmask_b32_e32 v5, v5, v6, vcc
	v_cndmask_b32_e32 v4, v4, v1, vcc
	global_load_dword v1, v[4:5], off
	v_mov_b32_e32 v7, s15
	s_cmp_eq_u32 s1, 1
	s_waitcnt vmcnt(1)
	v_subrev_u32_e32 v0, s2, v97
	v_add_u32_e32 v4, v0, v11
	v_ashrrev_i32_e32 v5, 31, v4
	s_waitcnt vmcnt(0)
	v_subrev_u32_e32 v96, s2, v1
	v_lshlrev_b64 v[0:1], 6, v[4:5]
	v_add_co_u32_e32 v6, vcc, s14, v0
	v_addc_co_u32_e32 v7, vcc, v7, v1, vcc
	v_cmp_lt_i32_e64 s[0:1], v4, v96
	s_cbranch_scc1 .LBB152_25
; %bb.14:
	v_pk_mov_b32 v[0:1], 0, 0
	s_mov_b64 s[8:9], 0
	v_pk_mov_b32 v[12:13], v[0:1], v[0:1] op_sel:[0,1]
	v_pk_mov_b32 v[14:15], v[0:1], v[0:1] op_sel:[0,1]
	;; [unrolled: 1-line block ×3, first 2 shown]
	s_and_saveexec_b64 s[10:11], s[0:1]
	s_cbranch_execz .LBB152_24
; %bb.15:
	v_add_u32_e32 v0, v97, v11
	v_subrev_u32_e32 v0, s2, v0
	v_add_u32_e32 v0, 16, v0
	v_max_i32_e32 v0, v0, v96
	v_not_b32_e32 v1, v97
	v_add3_u32 v0, v0, s2, v1
	v_sub_u32_e32 v5, v0, v11
	v_lshrrev_b32_e32 v0, 4, v5
	v_add_u32_e32 v0, 1, v0
	v_and_b32_e32 v19, 3, v0
	v_pk_mov_b32 v[16:17], 0, 0
	v_cmp_ne_u32_e32 vcc, 0, v19
	v_pk_mov_b32 v[14:15], v[16:17], v[16:17] op_sel:[0,1]
	v_pk_mov_b32 v[12:13], v[16:17], v[16:17] op_sel:[0,1]
	;; [unrolled: 1-line block ×3, first 2 shown]
	v_mov_b32_e32 v18, v4
	v_pk_mov_b32 v[20:21], v[6:7], v[6:7] op_sel:[0,1]
	s_and_saveexec_b64 s[14:15], vcc
	s_cbranch_execz .LBB152_19
; %bb.16:
	v_pk_mov_b32 v[0:1], 0, 0
	v_lshlrev_b32_e32 v22, 6, v19
	s_mov_b64 s[16:17], 0
	v_mov_b32_e32 v23, s13
	v_mov_b32_e32 v24, s7
	v_pk_mov_b32 v[20:21], v[6:7], v[6:7] op_sel:[0,1]
	v_mov_b32_e32 v18, v4
	v_pk_mov_b32 v[12:13], v[0:1], v[0:1] op_sel:[0,1]
	v_pk_mov_b32 v[14:15], v[0:1], v[0:1] op_sel:[0,1]
	;; [unrolled: 1-line block ×3, first 2 shown]
.LBB152_17:                             ; =>This Inner Loop Header: Depth=1
	v_ashrrev_i32_e32 v19, 31, v18
	v_lshlrev_b64 v[26:27], 2, v[18:19]
	v_add_co_u32_e32 v42, vcc, s12, v26
	v_addc_co_u32_e32 v43, vcc, v23, v27, vcc
	global_load_dword v19, v[42:43], off
	global_load_dwordx4 v[26:29], v[20:21], off
	global_load_dwordx4 v[30:33], v[20:21], off offset:16
	global_load_dwordx4 v[34:37], v[20:21], off offset:48
	;; [unrolled: 1-line block ×3, first 2 shown]
	v_subrev_u32_e32 v22, 64, v22
	v_add_u32_e32 v18, 16, v18
	s_waitcnt vmcnt(4)
	v_subrev_u32_e32 v19, s2, v19
	v_lshlrev_b32_e32 v42, 2, v19
	v_ashrrev_i32_e32 v43, 31, v42
	v_lshlrev_b64 v[42:43], 3, v[42:43]
	v_add_co_u32_e32 v50, vcc, s6, v42
	v_addc_co_u32_e32 v51, vcc, v24, v43, vcc
	global_load_dwordx4 v[42:45], v[50:51], off
	global_load_dwordx4 v[46:49], v[50:51], off offset:16
	s_waitcnt vmcnt(5)
	v_cvt_f64_f32_e32 v[50:51], v26
	s_waitcnt vmcnt(4)
	v_cvt_f64_f32_e32 v[54:55], v30
	;; [unrolled: 2-line block ×3, first 2 shown]
	v_cvt_f64_f32_e32 v[62:63], v34
	v_add_co_u32_e32 v20, vcc, 0x400, v20
	v_cvt_f64_f32_e32 v[26:27], v27
	v_cvt_f64_f32_e32 v[30:31], v31
	;; [unrolled: 1-line block ×4, first 2 shown]
	v_addc_co_u32_e32 v21, vcc, 0, v21, vcc
	v_cvt_f64_f32_e32 v[52:53], v28
	v_cvt_f64_f32_e32 v[56:57], v32
	;; [unrolled: 1-line block ×4, first 2 shown]
	v_cmp_eq_u32_e32 vcc, 0, v22
	v_cvt_f64_f32_e32 v[28:29], v29
	v_cvt_f64_f32_e32 v[32:33], v33
	;; [unrolled: 1-line block ×4, first 2 shown]
	s_or_b64 s[16:17], vcc, s[16:17]
	s_waitcnt vmcnt(1)
	v_fmac_f64_e32 v[16:17], v[50:51], v[42:43]
	v_fmac_f64_e32 v[14:15], v[54:55], v[42:43]
	;; [unrolled: 1-line block ×8, first 2 shown]
	s_waitcnt vmcnt(0)
	v_fmac_f64_e32 v[16:17], v[52:53], v[46:47]
	v_fmac_f64_e32 v[14:15], v[56:57], v[46:47]
	;; [unrolled: 1-line block ×8, first 2 shown]
	s_andn2_b64 exec, exec, s[16:17]
	s_cbranch_execnz .LBB152_17
; %bb.18:
	s_or_b64 exec, exec, s[16:17]
.LBB152_19:
	s_or_b64 exec, exec, s[14:15]
	v_cmp_lt_u32_e32 vcc, 47, v5
	s_and_saveexec_b64 s[14:15], vcc
	s_cbranch_execz .LBB152_23
; %bb.20:
	s_mov_b64 s[16:17], 0
	v_mov_b32_e32 v5, s13
	v_mov_b32_e32 v98, s7
.LBB152_21:                             ; =>This Inner Loop Header: Depth=1
	global_load_dwordx4 v[26:29], v[20:21], off
	global_load_dwordx4 v[30:33], v[20:21], off offset:16
	global_load_dwordx4 v[34:37], v[20:21], off offset:32
	;; [unrolled: 1-line block ×7, first 2 shown]
	v_ashrrev_i32_e32 v19, 31, v18
	v_lshlrev_b64 v[22:23], 2, v[18:19]
	v_add_co_u32_e32 v24, vcc, s12, v22
	v_addc_co_u32_e32 v25, vcc, v5, v23, vcc
	global_load_dword v19, v[24:25], off
	v_add_u32_e32 v18, 64, v18
	s_waitcnt vmcnt(8)
	v_cvt_f64_f32_e32 v[68:69], v28
	v_cvt_f64_f32_e32 v[66:67], v29
	s_waitcnt vmcnt(6)
	v_cvt_f64_f32_e32 v[74:75], v36
	s_waitcnt vmcnt(5)
	v_cvt_f64_f32_e32 v[94:95], v40
	v_cvt_f64_f32_e32 v[64:65], v41
	s_waitcnt vmcnt(4)
	v_cvt_f64_f32_e32 v[82:83], v42
	v_cvt_f64_f32_e32 v[80:81], v43
	global_load_dwordx4 v[40:43], v[20:21], off offset:2048
	v_cvt_f64_f32_e32 v[110:111], v38
	v_cvt_f64_f32_e32 v[112:113], v39
	;; [unrolled: 1-line block ×6, first 2 shown]
	s_waitcnt vmcnt(1)
	v_subrev_u32_e32 v19, s2, v19
	v_cvt_f64_f32_e32 v[100:101], v27
	v_cvt_f64_f32_e32 v[106:107], v34
	;; [unrolled: 1-line block ×19, first 2 shown]
	s_waitcnt vmcnt(0)
	v_cvt_f64_f32_e32 v[38:39], v40
	v_lshlrev_b32_e32 v40, 2, v19
	v_cvt_f64_f32_e32 v[36:37], v41
	v_ashrrev_i32_e32 v41, 31, v40
	v_lshlrev_b64 v[40:41], 3, v[40:41]
	v_add_co_u32_e32 v114, vcc, s6, v40
	v_addc_co_u32_e32 v115, vcc, v98, v41, vcc
	v_cvt_f64_f32_e32 v[30:31], v42
	v_cvt_f64_f32_e32 v[28:29], v43
	global_load_dwordx4 v[40:43], v[114:115], off
	global_load_dword v19, v[24:25], off offset:64
	s_waitcnt vmcnt(1)
	v_fmac_f64_e32 v[16:17], v[48:49], v[40:41]
	v_fmac_f64_e32 v[14:15], v[102:103], v[40:41]
	;; [unrolled: 1-line block ×3, first 2 shown]
	global_load_dwordx4 v[100:103], v[20:21], off offset:2064
	v_fmac_f64_e32 v[12:13], v[106:107], v[40:41]
	v_fmac_f64_e32 v[0:1], v[110:111], v[40:41]
	;; [unrolled: 1-line block ×5, first 2 shown]
	s_waitcnt vmcnt(1)
	v_subrev_u32_e32 v19, s2, v19
	s_waitcnt vmcnt(0)
	v_cvt_f64_f32_e32 v[76:77], v100
	v_cvt_f64_f32_e32 v[44:45], v101
	;; [unrolled: 1-line block ×4, first 2 shown]
	global_load_dwordx4 v[100:103], v[20:21], off offset:2080
	s_waitcnt vmcnt(0)
	v_cvt_f64_f32_e32 v[78:79], v100
	v_cvt_f64_f32_e32 v[56:57], v101
	;; [unrolled: 1-line block ×4, first 2 shown]
	global_load_dwordx4 v[100:103], v[114:115], off offset:16
	s_waitcnt vmcnt(0)
	v_fmac_f64_e32 v[16:17], v[68:69], v[100:101]
	v_fmac_f64_e32 v[14:15], v[72:73], v[100:101]
	;; [unrolled: 1-line block ×6, first 2 shown]
	global_load_dwordx4 v[68:71], v[20:21], off offset:2096
	v_fmac_f64_e32 v[12:13], v[62:63], v[102:103]
	v_fmac_f64_e32 v[0:1], v[64:65], v[102:103]
	global_load_dwordx4 v[100:103], v[20:21], off offset:3072
	s_waitcnt vmcnt(1)
	v_cvt_f64_f32_e32 v[64:65], v70
	v_cvt_f64_f32_e32 v[62:63], v71
	;; [unrolled: 1-line block ×3, first 2 shown]
	s_waitcnt vmcnt(0)
	v_cvt_f64_f32_e32 v[74:75], v100
	v_lshlrev_b32_e32 v100, 2, v19
	v_cvt_f64_f32_e32 v[72:73], v101
	v_ashrrev_i32_e32 v101, 31, v100
	v_lshlrev_b64 v[100:101], 3, v[100:101]
	v_add_co_u32_e32 v104, vcc, s6, v100
	v_addc_co_u32_e32 v105, vcc, v98, v101, vcc
	v_cvt_f64_f32_e32 v[70:71], v102
	v_cvt_f64_f32_e32 v[66:67], v103
	global_load_dwordx4 v[100:103], v[104:105], off
	v_cvt_f64_f32_e32 v[68:69], v69
	s_waitcnt vmcnt(0)
	v_fmac_f64_e32 v[16:17], v[82:83], v[100:101]
	v_fmac_f64_e32 v[14:15], v[86:87], v[100:101]
	;; [unrolled: 1-line block ×7, first 2 shown]
	global_load_dwordx4 v[80:83], v[20:21], off offset:3088
	v_fmac_f64_e32 v[0:1], v[60:61], v[102:103]
	global_load_dwordx4 v[100:103], v[20:21], off offset:3104
	s_waitcnt vmcnt(1)
	v_cvt_f64_f32_e32 v[88:89], v80
	v_cvt_f64_f32_e32 v[84:85], v81
	;; [unrolled: 1-line block ×4, first 2 shown]
	s_waitcnt vmcnt(0)
	v_cvt_f64_f32_e32 v[92:93], v100
	v_cvt_f64_f32_e32 v[90:91], v101
	;; [unrolled: 1-line block ×4, first 2 shown]
	global_load_dwordx4 v[100:103], v[104:105], off offset:16
	s_waitcnt vmcnt(0)
	v_fmac_f64_e32 v[0:1], v[58:59], v[100:101]
	global_load_dword v19, v[24:25], off offset:128
	global_load_dword v58, v[24:25], off offset:192
	v_fmac_f64_e32 v[16:17], v[46:47], v[100:101]
	v_fmac_f64_e32 v[14:15], v[50:51], v[100:101]
	;; [unrolled: 1-line block ×4, first 2 shown]
	global_load_dwordx4 v[32:35], v[20:21], off offset:3120
	v_fmac_f64_e32 v[0:1], v[22:23], v[102:103]
	v_fmac_f64_e32 v[12:13], v[54:55], v[100:101]
	;; [unrolled: 1-line block ×3, first 2 shown]
	s_waitcnt vmcnt(2)
	v_subrev_u32_e32 v19, s2, v19
	s_waitcnt vmcnt(1)
	v_subrev_u32_e32 v23, s2, v58
	v_lshlrev_b32_e32 v22, 2, v19
	v_lshlrev_b32_e32 v24, 2, v23
	v_ashrrev_i32_e32 v23, 31, v22
	v_lshlrev_b64 v[22:23], 3, v[22:23]
	s_waitcnt vmcnt(0)
	v_cvt_f64_f32_e32 v[26:27], v32
	v_ashrrev_i32_e32 v25, 31, v24
	v_add_co_u32_e32 v32, vcc, s6, v22
	v_cvt_f64_f32_e32 v[46:47], v33
	v_lshlrev_b64 v[24:25], 3, v[24:25]
	v_addc_co_u32_e32 v33, vcc, v98, v23, vcc
	v_add_co_u32_e32 v58, vcc, s6, v24
	v_addc_co_u32_e32 v59, vcc, v98, v25, vcc
	global_load_dwordx4 v[22:25], v[32:33], off
	v_cvt_f64_f32_e32 v[50:51], v34
	v_cvt_f64_f32_e32 v[54:55], v35
	global_load_dwordx4 v[32:35], v[32:33], off offset:16
	v_add_co_u32_e32 v20, vcc, 0x1000, v20
	v_addc_co_u32_e32 v21, vcc, 0, v21, vcc
	v_cmp_ge_i32_e32 vcc, v18, v96
	s_or_b64 s[16:17], vcc, s[16:17]
	s_waitcnt vmcnt(1)
	v_fmac_f64_e32 v[14:15], v[76:77], v[22:23]
	v_fmac_f64_e32 v[12:13], v[78:79], v[22:23]
	global_load_dwordx4 v[76:79], v[58:59], off
	v_fmac_f64_e32 v[16:17], v[38:39], v[22:23]
	v_fmac_f64_e32 v[16:17], v[36:37], v[24:25]
	global_load_dwordx4 v[36:39], v[58:59], off offset:16
	v_fmac_f64_e32 v[0:1], v[94:95], v[22:23]
	v_fmac_f64_e32 v[14:15], v[44:45], v[24:25]
	v_fmac_f64_e32 v[12:13], v[56:57], v[24:25]
	v_fmac_f64_e32 v[0:1], v[68:69], v[24:25]
	s_waitcnt vmcnt(2)
	v_fmac_f64_e32 v[16:17], v[30:31], v[32:33]
	v_fmac_f64_e32 v[14:15], v[42:43], v[32:33]
	v_fmac_f64_e32 v[12:13], v[52:53], v[32:33]
	v_fmac_f64_e32 v[0:1], v[64:65], v[32:33]
	v_fmac_f64_e32 v[16:17], v[28:29], v[34:35]
	v_fmac_f64_e32 v[14:15], v[40:41], v[34:35]
	v_fmac_f64_e32 v[12:13], v[48:49], v[34:35]
	v_fmac_f64_e32 v[0:1], v[62:63], v[34:35]
	s_waitcnt vmcnt(1)
	v_fmac_f64_e32 v[16:17], v[74:75], v[76:77]
	v_fmac_f64_e32 v[14:15], v[88:89], v[76:77]
	v_fmac_f64_e32 v[12:13], v[92:93], v[76:77]
	v_fmac_f64_e32 v[0:1], v[26:27], v[76:77]
	v_fmac_f64_e32 v[16:17], v[72:73], v[78:79]
	v_fmac_f64_e32 v[14:15], v[84:85], v[78:79]
	v_fmac_f64_e32 v[12:13], v[90:91], v[78:79]
	v_fmac_f64_e32 v[0:1], v[46:47], v[78:79]
	s_waitcnt vmcnt(0)
	v_fmac_f64_e32 v[16:17], v[70:71], v[36:37]
	v_fmac_f64_e32 v[14:15], v[80:81], v[36:37]
	v_fmac_f64_e32 v[12:13], v[86:87], v[36:37]
	v_fmac_f64_e32 v[0:1], v[50:51], v[36:37]
	v_fmac_f64_e32 v[16:17], v[66:67], v[38:39]
	v_fmac_f64_e32 v[14:15], v[60:61], v[38:39]
	;; [unrolled: 1-line block ×4, first 2 shown]
	s_andn2_b64 exec, exec, s[16:17]
	s_cbranch_execnz .LBB152_21
; %bb.22:
	s_or_b64 exec, exec, s[16:17]
.LBB152_23:
	s_or_b64 exec, exec, s[14:15]
.LBB152_24:
	s_or_b64 exec, exec, s[10:11]
	s_andn2_b64 vcc, exec, s[8:9]
	s_cbranch_vccz .LBB152_26
	s_branch .LBB152_37
.LBB152_25:
                                        ; implicit-def: $vgpr0_vgpr1
                                        ; implicit-def: $vgpr12_vgpr13
                                        ; implicit-def: $vgpr14_vgpr15
                                        ; implicit-def: $vgpr16_vgpr17
.LBB152_26:
	v_pk_mov_b32 v[0:1], 0, 0
	v_pk_mov_b32 v[12:13], v[0:1], v[0:1] op_sel:[0,1]
	v_pk_mov_b32 v[14:15], v[0:1], v[0:1] op_sel:[0,1]
	;; [unrolled: 1-line block ×3, first 2 shown]
	s_and_saveexec_b64 s[8:9], s[0:1]
	s_cbranch_execz .LBB152_36
; %bb.27:
	v_add_u32_e32 v0, v97, v11
	v_subrev_u32_e32 v0, s2, v0
	v_add_u32_e32 v0, 16, v0
	v_max_i32_e32 v0, v0, v96
	v_not_b32_e32 v1, v97
	v_add3_u32 v0, v0, s2, v1
	v_sub_u32_e32 v18, v0, v11
	v_lshrrev_b32_e32 v0, 4, v18
	v_add_u32_e32 v0, 1, v0
	v_and_b32_e32 v5, 3, v0
	v_pk_mov_b32 v[16:17], 0, 0
	v_cmp_ne_u32_e32 vcc, 0, v5
	v_pk_mov_b32 v[14:15], v[16:17], v[16:17] op_sel:[0,1]
	v_pk_mov_b32 v[12:13], v[16:17], v[16:17] op_sel:[0,1]
	;; [unrolled: 1-line block ×3, first 2 shown]
	s_and_saveexec_b64 s[0:1], vcc
	s_cbranch_execz .LBB152_31
; %bb.28:
	v_pk_mov_b32 v[0:1], 0, 0
	v_lshlrev_b32_e32 v19, 6, v5
	s_mov_b64 s[10:11], 0
	v_mov_b32_e32 v20, s13
	v_mov_b32_e32 v21, s7
	v_pk_mov_b32 v[12:13], v[0:1], v[0:1] op_sel:[0,1]
	v_pk_mov_b32 v[14:15], v[0:1], v[0:1] op_sel:[0,1]
	;; [unrolled: 1-line block ×3, first 2 shown]
.LBB152_29:                             ; =>This Inner Loop Header: Depth=1
	v_ashrrev_i32_e32 v5, 31, v4
	v_lshlrev_b64 v[22:23], 2, v[4:5]
	v_add_co_u32_e32 v34, vcc, s12, v22
	v_addc_co_u32_e32 v35, vcc, v20, v23, vcc
	global_load_dword v5, v[34:35], off
	global_load_dwordx4 v[22:25], v[6:7], off offset:16
	global_load_dwordx4 v[26:29], v[6:7], off
	global_load_dwordx4 v[30:33], v[6:7], off offset:32
	v_subrev_u32_e32 v19, 64, v19
	v_add_u32_e32 v4, 16, v4
	s_waitcnt vmcnt(3)
	v_subrev_u32_e32 v5, s2, v5
	v_lshlrev_b32_e32 v34, 2, v5
	v_ashrrev_i32_e32 v35, 31, v34
	v_lshlrev_b64 v[34:35], 3, v[34:35]
	v_add_co_u32_e32 v46, vcc, s6, v34
	v_addc_co_u32_e32 v47, vcc, v21, v35, vcc
	global_load_dwordx4 v[34:37], v[46:47], off offset:16
	global_load_dwordx4 v[38:41], v[46:47], off
	global_load_dwordx4 v[42:45], v[6:7], off offset:48
	s_waitcnt vmcnt(4)
	v_cvt_f64_f32_e32 v[46:47], v26
	v_cvt_f64_f32_e32 v[26:27], v27
	;; [unrolled: 1-line block ×4, first 2 shown]
	v_add_co_u32_e32 v6, vcc, 0x400, v6
	v_cvt_f64_f32_e32 v[50:51], v22
	v_cvt_f64_f32_e32 v[22:23], v23
	;; [unrolled: 1-line block ×4, first 2 shown]
	v_addc_co_u32_e32 v7, vcc, 0, v7, vcc
	s_waitcnt vmcnt(3)
	v_cvt_f64_f32_e32 v[54:55], v30
	v_cvt_f64_f32_e32 v[30:31], v31
	v_cvt_f64_f32_e32 v[56:57], v32
	v_cvt_f64_f32_e32 v[32:33], v33
	v_cmp_eq_u32_e32 vcc, 0, v19
	s_or_b64 s[10:11], vcc, s[10:11]
	s_waitcnt vmcnt(1)
	v_fmac_f64_e32 v[16:17], v[46:47], v[38:39]
	v_fmac_f64_e32 v[14:15], v[26:27], v[38:39]
	;; [unrolled: 1-line block ×8, first 2 shown]
	s_waitcnt vmcnt(0)
	v_cvt_f64_f32_e32 v[58:59], v42
	v_cvt_f64_f32_e32 v[42:43], v43
	;; [unrolled: 1-line block ×4, first 2 shown]
	v_fmac_f64_e32 v[16:17], v[54:55], v[34:35]
	v_fmac_f64_e32 v[14:15], v[30:31], v[34:35]
	;; [unrolled: 1-line block ×8, first 2 shown]
	s_andn2_b64 exec, exec, s[10:11]
	s_cbranch_execnz .LBB152_29
; %bb.30:
	s_or_b64 exec, exec, s[10:11]
.LBB152_31:
	s_or_b64 exec, exec, s[0:1]
	v_cmp_lt_u32_e32 vcc, 47, v18
	s_and_saveexec_b64 s[0:1], vcc
	s_cbranch_execz .LBB152_35
; %bb.32:
	s_mov_b64 s[10:11], 0
	v_mov_b32_e32 v44, s13
	v_mov_b32_e32 v45, s7
.LBB152_33:                             ; =>This Inner Loop Header: Depth=1
	v_ashrrev_i32_e32 v5, 31, v4
	v_lshlrev_b64 v[34:35], 2, v[4:5]
	v_add_co_u32_e32 v46, vcc, s12, v34
	v_addc_co_u32_e32 v47, vcc, v44, v35, vcc
	global_load_dwordx4 v[18:21], v[6:7], off
	global_load_dwordx4 v[22:25], v[6:7], off offset:16
	global_load_dwordx4 v[26:29], v[6:7], off offset:32
	;; [unrolled: 1-line block ×5, first 2 shown]
	global_load_dword v78, v[46:47], off
	global_load_dword v90, v[46:47], off offset:64
	global_load_dword v91, v[46:47], off offset:128
	;; [unrolled: 1-line block ×3, first 2 shown]
	v_add_u32_e32 v4, 64, v4
	s_waitcnt vmcnt(9)
	v_cvt_f64_f32_e32 v[48:49], v18
	v_cvt_f64_f32_e32 v[50:51], v19
	s_waitcnt vmcnt(7)
	v_cvt_f64_f32_e32 v[64:65], v26
	v_cvt_f64_f32_e32 v[66:67], v27
	;; [unrolled: 3-line block ×3, first 2 shown]
	s_waitcnt vmcnt(3)
	v_subrev_u32_e32 v36, s2, v78
	v_lshlrev_b32_e32 v36, 2, v36
	v_cvt_f64_f32_e32 v[70:71], v29
	v_cvt_f64_f32_e32 v[28:29], v37
	v_ashrrev_i32_e32 v37, 31, v36
	v_lshlrev_b64 v[36:37], 3, v[36:37]
	v_add_co_u32_e32 v78, vcc, s6, v36
	v_addc_co_u32_e32 v79, vcc, v45, v37, vcc
	v_cvt_f64_f32_e32 v[72:73], v30
	v_cvt_f64_f32_e32 v[74:75], v31
	;; [unrolled: 1-line block ×6, first 2 shown]
	global_load_dwordx4 v[36:39], v[78:79], off
	v_cvt_f64_f32_e32 v[52:53], v20
	v_cvt_f64_f32_e32 v[54:55], v21
	;; [unrolled: 1-line block ×10, first 2 shown]
	global_load_dwordx4 v[40:43], v[6:7], off offset:1056
	s_waitcnt vmcnt(2)
	v_subrev_u32_e32 v5, s2, v5
	s_waitcnt vmcnt(1)
	v_fmac_f64_e32 v[16:17], v[48:49], v[36:37]
	global_load_dwordx4 v[46:49], v[6:7], off offset:1072
	v_fmac_f64_e32 v[14:15], v[50:51], v[36:37]
	v_fmac_f64_e32 v[12:13], v[52:53], v[36:37]
	;; [unrolled: 1-line block ×7, first 2 shown]
	global_load_dwordx4 v[36:39], v[6:7], off offset:2048
	s_waitcnt vmcnt(2)
	v_cvt_f64_f32_e32 v[50:51], v40
	v_cvt_f64_f32_e32 v[52:53], v41
	;; [unrolled: 1-line block ×4, first 2 shown]
	global_load_dwordx4 v[40:43], v[6:7], off offset:2064
	s_waitcnt vmcnt(2)
	v_cvt_f64_f32_e32 v[58:59], v46
	v_cvt_f64_f32_e32 v[60:61], v47
	;; [unrolled: 1-line block ×4, first 2 shown]
	s_waitcnt vmcnt(1)
	v_cvt_f64_f32_e32 v[82:83], v36
	v_cvt_f64_f32_e32 v[84:85], v37
	;; [unrolled: 1-line block ×4, first 2 shown]
	global_load_dwordx4 v[36:39], v[78:79], off offset:16
	s_waitcnt vmcnt(0)
	v_fmac_f64_e32 v[0:1], v[70:71], v[36:37]
	v_fmac_f64_e32 v[0:1], v[34:35], v[38:39]
	v_subrev_u32_e32 v34, s2, v90
	v_lshlrev_b32_e32 v34, 2, v34
	v_ashrrev_i32_e32 v35, 31, v34
	v_lshlrev_b64 v[34:35], 3, v[34:35]
	v_add_co_u32_e32 v46, vcc, s6, v34
	v_fmac_f64_e32 v[16:17], v[64:65], v[36:37]
	v_fmac_f64_e32 v[14:15], v[66:67], v[36:37]
	;; [unrolled: 1-line block ×3, first 2 shown]
	v_addc_co_u32_e32 v47, vcc, v45, v35, vcc
	v_fmac_f64_e32 v[16:17], v[72:73], v[38:39]
	v_fmac_f64_e32 v[14:15], v[74:75], v[38:39]
	;; [unrolled: 1-line block ×3, first 2 shown]
	global_load_dwordx4 v[36:39], v[46:47], off
	v_cvt_f64_f32_e32 v[64:65], v40
	global_load_dwordx4 v[46:49], v[46:47], off offset:16
	v_cvt_f64_f32_e32 v[66:67], v41
	v_cvt_f64_f32_e32 v[68:69], v42
	;; [unrolled: 1-line block ×3, first 2 shown]
	s_waitcnt vmcnt(1)
	v_fmac_f64_e32 v[16:17], v[26:27], v[36:37]
	v_fmac_f64_e32 v[14:15], v[28:29], v[36:37]
	;; [unrolled: 1-line block ×8, first 2 shown]
	s_waitcnt vmcnt(0)
	v_fmac_f64_e32 v[16:17], v[50:51], v[46:47]
	v_fmac_f64_e32 v[14:15], v[52:53], v[46:47]
	;; [unrolled: 1-line block ×4, first 2 shown]
	global_load_dwordx4 v[30:33], v[6:7], off offset:3072
	global_load_dwordx4 v[50:53], v[6:7], off offset:3088
	v_fmac_f64_e32 v[16:17], v[58:59], v[48:49]
	v_fmac_f64_e32 v[14:15], v[60:61], v[48:49]
	;; [unrolled: 1-line block ×4, first 2 shown]
	global_load_dwordx4 v[46:49], v[6:7], off offset:3104
	global_load_dwordx4 v[26:29], v[6:7], off offset:2080
	;; [unrolled: 1-line block ×3, first 2 shown]
	s_waitcnt vmcnt(3)
	v_cvt_f64_f32_e32 v[54:55], v50
	v_cvt_f64_f32_e32 v[56:57], v51
	;; [unrolled: 1-line block ×4, first 2 shown]
	global_load_dwordx4 v[50:53], v[6:7], off offset:3120
	s_waitcnt vmcnt(3)
	v_cvt_f64_f32_e32 v[62:63], v46
	v_subrev_u32_e32 v46, s2, v91
	v_lshlrev_b32_e32 v46, 2, v46
	v_cvt_f64_f32_e32 v[70:71], v47
	v_ashrrev_i32_e32 v47, 31, v46
	v_lshlrev_b64 v[46:47], 3, v[46:47]
	v_add_co_u32_e32 v76, vcc, s6, v46
	v_addc_co_u32_e32 v77, vcc, v45, v47, vcc
	v_cvt_f64_f32_e32 v[72:73], v48
	v_cvt_f64_f32_e32 v[74:75], v49
	global_load_dwordx4 v[46:49], v[76:77], off
	s_waitcnt vmcnt(3)
	v_cvt_f64_f32_e32 v[36:37], v26
	v_cvt_f64_f32_e32 v[38:39], v27
	;; [unrolled: 1-line block ×4, first 2 shown]
	s_waitcnt vmcnt(2)
	v_cvt_f64_f32_e32 v[18:19], v22
	v_cvt_f64_f32_e32 v[20:21], v23
	;; [unrolled: 1-line block ×8, first 2 shown]
	s_waitcnt vmcnt(0)
	v_fmac_f64_e32 v[16:17], v[82:83], v[46:47]
	v_fmac_f64_e32 v[14:15], v[84:85], v[46:47]
	;; [unrolled: 1-line block ×8, first 2 shown]
	global_load_dwordx4 v[46:49], v[76:77], off offset:16
	v_lshlrev_b32_e32 v42, 2, v5
	v_ashrrev_i32_e32 v43, 31, v42
	v_lshlrev_b64 v[42:43], 3, v[42:43]
	v_add_co_u32_e32 v42, vcc, s6, v42
	v_addc_co_u32_e32 v43, vcc, v45, v43, vcc
	v_add_co_u32_e32 v6, vcc, 0x1000, v6
	v_addc_co_u32_e32 v7, vcc, 0, v7, vcc
	v_cvt_f64_f32_e32 v[64:65], v50
	v_cvt_f64_f32_e32 v[50:51], v51
	;; [unrolled: 1-line block ×4, first 2 shown]
	v_cmp_ge_i32_e32 vcc, v4, v96
	s_or_b64 s[10:11], vcc, s[10:11]
	s_waitcnt vmcnt(0)
	v_fmac_f64_e32 v[16:17], v[36:37], v[46:47]
	v_fmac_f64_e32 v[14:15], v[38:39], v[46:47]
	global_load_dwordx4 v[36:39], v[42:43], off
	v_fmac_f64_e32 v[12:13], v[40:41], v[46:47]
	global_load_dwordx4 v[40:43], v[42:43], off offset:16
	v_fmac_f64_e32 v[0:1], v[34:35], v[46:47]
	v_fmac_f64_e32 v[16:17], v[18:19], v[48:49]
	;; [unrolled: 1-line block ×5, first 2 shown]
	s_waitcnt vmcnt(1)
	v_fmac_f64_e32 v[16:17], v[26:27], v[36:37]
	v_fmac_f64_e32 v[14:15], v[28:29], v[36:37]
	;; [unrolled: 1-line block ×8, first 2 shown]
	s_waitcnt vmcnt(0)
	v_fmac_f64_e32 v[16:17], v[62:63], v[40:41]
	v_fmac_f64_e32 v[14:15], v[70:71], v[40:41]
	;; [unrolled: 1-line block ×8, first 2 shown]
	s_andn2_b64 exec, exec, s[10:11]
	s_cbranch_execnz .LBB152_33
; %bb.34:
	s_or_b64 exec, exec, s[10:11]
.LBB152_35:
	s_or_b64 exec, exec, s[0:1]
.LBB152_36:
	s_or_b64 exec, exec, s[8:9]
.LBB152_37:
	v_mov_b32_dpp v4, v16 row_shr:1 row_mask:0xf bank_mask:0xf
	v_mov_b32_dpp v5, v17 row_shr:1 row_mask:0xf bank_mask:0xf
	v_add_f64 v[4:5], v[16:17], v[4:5]
	v_mov_b32_dpp v16, v14 row_shr:1 row_mask:0xf bank_mask:0xf
	v_mov_b32_dpp v17, v15 row_shr:1 row_mask:0xf bank_mask:0xf
	;; [unrolled: 1-line block ×6, first 2 shown]
	v_add_f64 v[14:15], v[14:15], v[16:17]
	v_add_f64 v[12:13], v[12:13], v[18:19]
	;; [unrolled: 1-line block ×3, first 2 shown]
	v_mov_b32_dpp v6, v4 row_shr:2 row_mask:0xf bank_mask:0xf
	v_mov_b32_dpp v7, v5 row_shr:2 row_mask:0xf bank_mask:0xf
	;; [unrolled: 1-line block ×8, first 2 shown]
	v_add_f64 v[4:5], v[4:5], v[6:7]
	v_add_f64 v[14:15], v[14:15], v[16:17]
	;; [unrolled: 1-line block ×4, first 2 shown]
	v_mov_b32_dpp v6, v4 row_shr:4 row_mask:0xf bank_mask:0xe
	v_mov_b32_dpp v7, v5 row_shr:4 row_mask:0xf bank_mask:0xe
	;; [unrolled: 1-line block ×8, first 2 shown]
	v_add_f64 v[4:5], v[4:5], v[6:7]
	v_add_f64 v[14:15], v[14:15], v[16:17]
	;; [unrolled: 1-line block ×4, first 2 shown]
	v_mov_b32_dpp v6, v4 row_shr:8 row_mask:0xf bank_mask:0xc
	v_mov_b32_dpp v7, v5 row_shr:8 row_mask:0xf bank_mask:0xc
	;; [unrolled: 1-line block ×8, first 2 shown]
	v_cmp_eq_u32_e32 vcc, 15, v11
	s_and_b64 exec, exec, vcc
	s_cbranch_execz .LBB152_10
; %bb.38:
	s_load_dwordx2 s[0:1], s[4:5], 0x50
	v_add_f64 v[4:5], v[4:5], v[6:7]
	v_add_f64 v[6:7], v[14:15], v[16:17]
	;; [unrolled: 1-line block ×4, first 2 shown]
	v_cmp_eq_f64_e32 vcc, 0, v[8:9]
	v_mul_f64 v[4:5], v[2:3], v[4:5]
	v_mul_f64 v[6:7], v[2:3], v[6:7]
	;; [unrolled: 1-line block ×4, first 2 shown]
	v_lshlrev_b32_e32 v10, 2, v10
	s_and_saveexec_b64 s[2:3], vcc
	s_xor_b64 s[2:3], exec, s[2:3]
	s_cbranch_execz .LBB152_40
; %bb.39:
	v_ashrrev_i32_e32 v11, 31, v10
	v_lshlrev_b64 v[8:9], 3, v[10:11]
	s_waitcnt lgkmcnt(0)
	v_mov_b32_e32 v10, s1
	v_add_co_u32_e32 v8, vcc, s0, v8
	v_addc_co_u32_e32 v9, vcc, v10, v9, vcc
	global_store_dwordx4 v[8:9], v[4:7], off
	global_store_dwordx4 v[8:9], v[0:3], off offset:16
                                        ; implicit-def: $vgpr10
                                        ; implicit-def: $vgpr8_vgpr9
                                        ; implicit-def: $vgpr4_vgpr5
                                        ; implicit-def: $vgpr0_vgpr1
.LBB152_40:
	s_andn2_saveexec_b64 s[2:3], s[2:3]
	s_cbranch_execz .LBB152_10
; %bb.41:
	v_ashrrev_i32_e32 v11, 31, v10
	v_lshlrev_b64 v[10:11], 3, v[10:11]
	s_waitcnt lgkmcnt(0)
	v_mov_b32_e32 v12, s1
	v_add_co_u32_e32 v18, vcc, s0, v10
	v_addc_co_u32_e32 v19, vcc, v12, v11, vcc
	global_load_dwordx4 v[10:13], v[18:19], off
	global_load_dwordx4 v[14:17], v[18:19], off offset:16
	s_waitcnt vmcnt(1)
	v_fmac_f64_e32 v[4:5], v[8:9], v[10:11]
	v_fmac_f64_e32 v[6:7], v[8:9], v[12:13]
	s_waitcnt vmcnt(0)
	v_fmac_f64_e32 v[0:1], v[8:9], v[14:15]
	v_fmac_f64_e32 v[2:3], v[8:9], v[16:17]
	global_store_dwordx4 v[18:19], v[4:7], off
	global_store_dwordx4 v[18:19], v[0:3], off offset:16
	s_endpgm
	.section	.rodata,"a",@progbits
	.p2align	6, 0x0
	.amdhsa_kernel _ZN9rocsparseL18bsrxmvn_4x4_kernelILj128ELj16EdiifddEEvT3_20rocsparse_direction_NS_24const_host_device_scalarIT1_EES1_PKS1_PKT2_SA_S7_PKT4_PKT5_S5_PT6_21rocsparse_index_base_b
		.amdhsa_group_segment_fixed_size 0
		.amdhsa_private_segment_fixed_size 0
		.amdhsa_kernarg_size 96
		.amdhsa_user_sgpr_count 6
		.amdhsa_user_sgpr_private_segment_buffer 1
		.amdhsa_user_sgpr_dispatch_ptr 0
		.amdhsa_user_sgpr_queue_ptr 0
		.amdhsa_user_sgpr_kernarg_segment_ptr 1
		.amdhsa_user_sgpr_dispatch_id 0
		.amdhsa_user_sgpr_flat_scratch_init 0
		.amdhsa_user_sgpr_kernarg_preload_length 0
		.amdhsa_user_sgpr_kernarg_preload_offset 0
		.amdhsa_user_sgpr_private_segment_size 0
		.amdhsa_uses_dynamic_stack 0
		.amdhsa_system_sgpr_private_segment_wavefront_offset 0
		.amdhsa_system_sgpr_workgroup_id_x 1
		.amdhsa_system_sgpr_workgroup_id_y 0
		.amdhsa_system_sgpr_workgroup_id_z 0
		.amdhsa_system_sgpr_workgroup_info 0
		.amdhsa_system_vgpr_workitem_id 0
		.amdhsa_next_free_vgpr 116
		.amdhsa_next_free_sgpr 18
		.amdhsa_accum_offset 116
		.amdhsa_reserve_vcc 1
		.amdhsa_reserve_flat_scratch 0
		.amdhsa_float_round_mode_32 0
		.amdhsa_float_round_mode_16_64 0
		.amdhsa_float_denorm_mode_32 3
		.amdhsa_float_denorm_mode_16_64 3
		.amdhsa_dx10_clamp 1
		.amdhsa_ieee_mode 1
		.amdhsa_fp16_overflow 0
		.amdhsa_tg_split 0
		.amdhsa_exception_fp_ieee_invalid_op 0
		.amdhsa_exception_fp_denorm_src 0
		.amdhsa_exception_fp_ieee_div_zero 0
		.amdhsa_exception_fp_ieee_overflow 0
		.amdhsa_exception_fp_ieee_underflow 0
		.amdhsa_exception_fp_ieee_inexact 0
		.amdhsa_exception_int_div_zero 0
	.end_amdhsa_kernel
	.section	.text._ZN9rocsparseL18bsrxmvn_4x4_kernelILj128ELj16EdiifddEEvT3_20rocsparse_direction_NS_24const_host_device_scalarIT1_EES1_PKS1_PKT2_SA_S7_PKT4_PKT5_S5_PT6_21rocsparse_index_base_b,"axG",@progbits,_ZN9rocsparseL18bsrxmvn_4x4_kernelILj128ELj16EdiifddEEvT3_20rocsparse_direction_NS_24const_host_device_scalarIT1_EES1_PKS1_PKT2_SA_S7_PKT4_PKT5_S5_PT6_21rocsparse_index_base_b,comdat
.Lfunc_end152:
	.size	_ZN9rocsparseL18bsrxmvn_4x4_kernelILj128ELj16EdiifddEEvT3_20rocsparse_direction_NS_24const_host_device_scalarIT1_EES1_PKS1_PKT2_SA_S7_PKT4_PKT5_S5_PT6_21rocsparse_index_base_b, .Lfunc_end152-_ZN9rocsparseL18bsrxmvn_4x4_kernelILj128ELj16EdiifddEEvT3_20rocsparse_direction_NS_24const_host_device_scalarIT1_EES1_PKS1_PKT2_SA_S7_PKT4_PKT5_S5_PT6_21rocsparse_index_base_b
                                        ; -- End function
	.section	.AMDGPU.csdata,"",@progbits
; Kernel info:
; codeLenInByte = 4100
; NumSgprs: 22
; NumVgprs: 116
; NumAgprs: 0
; TotalNumVgprs: 116
; ScratchSize: 0
; MemoryBound: 0
; FloatMode: 240
; IeeeMode: 1
; LDSByteSize: 0 bytes/workgroup (compile time only)
; SGPRBlocks: 2
; VGPRBlocks: 14
; NumSGPRsForWavesPerEU: 22
; NumVGPRsForWavesPerEU: 116
; AccumOffset: 116
; Occupancy: 4
; WaveLimiterHint : 1
; COMPUTE_PGM_RSRC2:SCRATCH_EN: 0
; COMPUTE_PGM_RSRC2:USER_SGPR: 6
; COMPUTE_PGM_RSRC2:TRAP_HANDLER: 0
; COMPUTE_PGM_RSRC2:TGID_X_EN: 1
; COMPUTE_PGM_RSRC2:TGID_Y_EN: 0
; COMPUTE_PGM_RSRC2:TGID_Z_EN: 0
; COMPUTE_PGM_RSRC2:TIDIG_COMP_CNT: 0
; COMPUTE_PGM_RSRC3_GFX90A:ACCUM_OFFSET: 28
; COMPUTE_PGM_RSRC3_GFX90A:TG_SPLIT: 0
	.section	.text._ZN9rocsparseL18bsrxmvn_4x4_kernelILj128ELj32EdiifddEEvT3_20rocsparse_direction_NS_24const_host_device_scalarIT1_EES1_PKS1_PKT2_SA_S7_PKT4_PKT5_S5_PT6_21rocsparse_index_base_b,"axG",@progbits,_ZN9rocsparseL18bsrxmvn_4x4_kernelILj128ELj32EdiifddEEvT3_20rocsparse_direction_NS_24const_host_device_scalarIT1_EES1_PKS1_PKT2_SA_S7_PKT4_PKT5_S5_PT6_21rocsparse_index_base_b,comdat
	.globl	_ZN9rocsparseL18bsrxmvn_4x4_kernelILj128ELj32EdiifddEEvT3_20rocsparse_direction_NS_24const_host_device_scalarIT1_EES1_PKS1_PKT2_SA_S7_PKT4_PKT5_S5_PT6_21rocsparse_index_base_b ; -- Begin function _ZN9rocsparseL18bsrxmvn_4x4_kernelILj128ELj32EdiifddEEvT3_20rocsparse_direction_NS_24const_host_device_scalarIT1_EES1_PKS1_PKT2_SA_S7_PKT4_PKT5_S5_PT6_21rocsparse_index_base_b
	.p2align	8
	.type	_ZN9rocsparseL18bsrxmvn_4x4_kernelILj128ELj32EdiifddEEvT3_20rocsparse_direction_NS_24const_host_device_scalarIT1_EES1_PKS1_PKT2_SA_S7_PKT4_PKT5_S5_PT6_21rocsparse_index_base_b,@function
_ZN9rocsparseL18bsrxmvn_4x4_kernelILj128ELj32EdiifddEEvT3_20rocsparse_direction_NS_24const_host_device_scalarIT1_EES1_PKS1_PKT2_SA_S7_PKT4_PKT5_S5_PT6_21rocsparse_index_base_b: ; @_ZN9rocsparseL18bsrxmvn_4x4_kernelILj128ELj32EdiifddEEvT3_20rocsparse_direction_NS_24const_host_device_scalarIT1_EES1_PKS1_PKT2_SA_S7_PKT4_PKT5_S5_PT6_21rocsparse_index_base_b
; %bb.0:
	s_load_dwordx2 s[2:3], s[4:5], 0x58
	s_load_dwordx2 s[10:11], s[4:5], 0x8
	;; [unrolled: 1-line block ×3, first 2 shown]
	s_waitcnt lgkmcnt(0)
	s_bitcmp1_b32 s3, 0
	s_cselect_b64 s[12:13], -1, 0
	s_xor_b64 s[8:9], s[12:13], -1
	s_and_b64 vcc, exec, s[12:13]
	v_pk_mov_b32 v[10:11], s[10:11], s[10:11] op_sel:[0,1]
	s_cbranch_vccnz .LBB153_2
; %bb.1:
	v_pk_mov_b32 v[2:3], s[10:11], s[10:11] op_sel:[0,1]
	flat_load_dwordx2 v[10:11], v[2:3]
.LBB153_2:
	s_andn2_b64 vcc, exec, s[8:9]
	v_pk_mov_b32 v[8:9], s[0:1], s[0:1] op_sel:[0,1]
	s_cbranch_vccnz .LBB153_4
; %bb.3:
	v_pk_mov_b32 v[2:3], s[0:1], s[0:1] op_sel:[0,1]
	flat_load_dwordx2 v[8:9], v[2:3]
.LBB153_4:
	s_waitcnt vmcnt(0) lgkmcnt(0)
	v_cmp_neq_f64_e32 vcc, 0, v[10:11]
	v_cmp_neq_f64_e64 s[0:1], 1.0, v[8:9]
	s_mov_b64 s[8:9], 0
	s_or_b64 s[0:1], vcc, s[0:1]
	s_and_saveexec_b64 s[10:11], s[0:1]
	s_cbranch_execz .LBB153_10
; %bb.5:
	s_load_dwordx2 s[10:11], s[4:5], 0x18
	s_load_dwordx2 s[0:1], s[4:5], 0x0
	v_lshrrev_b32_e32 v1, 5, v0
	v_lshl_or_b32 v12, s6, 2, v1
	s_mov_b64 s[6:7], 0
	s_waitcnt lgkmcnt(0)
	s_cmp_lg_u64 s[10:11], 0
	s_cbranch_scc0 .LBB153_11
; %bb.6:
	s_load_dword s3, s[4:5], 0x10
                                        ; implicit-def: $vgpr1
	s_waitcnt lgkmcnt(0)
	v_cmp_gt_i32_e32 vcc, s3, v12
	s_and_saveexec_b64 s[8:9], vcc
	s_xor_b64 s[8:9], exec, s[8:9]
	s_cbranch_execz .LBB153_8
; %bb.7:
	v_ashrrev_i32_e32 v13, 31, v12
	v_lshlrev_b64 v[2:3], 2, v[12:13]
	v_mov_b32_e32 v1, s11
	v_add_co_u32_e32 v2, vcc, s10, v2
	v_addc_co_u32_e32 v3, vcc, v1, v3, vcc
	global_load_dword v1, v[2:3], off
	s_mov_b64 s[6:7], exec
	s_waitcnt vmcnt(0)
	v_subrev_u32_e32 v1, s2, v1
.LBB153_8:
	s_or_b64 exec, exec, s[8:9]
	s_mov_b64 s[8:9], s[6:7]
	s_branch .LBB153_12
.LBB153_9:
	v_cmp_gt_i32_e32 vcc, s0, v12
	s_andn2_b64 s[6:7], s[8:9], exec
	s_and_b64 s[8:9], vcc, exec
	s_or_b64 s[8:9], s[6:7], s[8:9]
	s_and_b64 exec, exec, s[8:9]
	s_cbranch_execnz .LBB153_13
.LBB153_10:
	s_endpgm
.LBB153_11:
                                        ; implicit-def: $vgpr1
	s_cbranch_execnz .LBB153_9
.LBB153_12:
	v_mov_b32_e32 v12, v1
	s_and_b64 exec, exec, s[8:9]
	s_cbranch_execz .LBB153_10
.LBB153_13:
	s_load_dwordx8 s[8:15], s[4:5], 0x20
	v_ashrrev_i32_e32 v13, 31, v12
	v_lshlrev_b64 v[2:3], 2, v[12:13]
	v_and_b32_e32 v13, 31, v0
	s_load_dwordx2 s[6:7], s[4:5], 0x40
	s_waitcnt lgkmcnt(0)
	v_mov_b32_e32 v1, s9
	v_add_co_u32_e32 v4, vcc, s8, v2
	v_addc_co_u32_e32 v5, vcc, v1, v3, vcc
	v_add_co_u32_e32 v1, vcc, 4, v4
	global_load_dword v101, v[4:5], off
	v_addc_co_u32_e32 v4, vcc, 0, v5, vcc
	v_mov_b32_e32 v5, s11
	v_add_co_u32_e32 v2, vcc, s10, v2
	s_cmp_eq_u64 s[10:11], 0
	v_addc_co_u32_e32 v3, vcc, v5, v3, vcc
	s_cselect_b64 vcc, -1, 0
	v_cndmask_b32_e32 v3, v3, v4, vcc
	v_cndmask_b32_e32 v2, v2, v1, vcc
	global_load_dword v1, v[2:3], off
	v_mov_b32_e32 v2, s15
	s_cmp_eq_u32 s1, 1
	s_waitcnt vmcnt(1)
	v_subrev_u32_e32 v0, s2, v101
	v_add_u32_e32 v14, v0, v13
	v_ashrrev_i32_e32 v15, 31, v14
	s_waitcnt vmcnt(0)
	v_subrev_u32_e32 v100, s2, v1
	v_lshlrev_b64 v[0:1], 6, v[14:15]
	v_add_co_u32_e32 v16, vcc, s14, v0
	v_addc_co_u32_e32 v17, vcc, v2, v1, vcc
	v_cmp_lt_i32_e64 s[0:1], v14, v100
	s_cbranch_scc1 .LBB153_25
; %bb.14:
	v_pk_mov_b32 v[4:5], 0, 0
	s_mov_b64 s[8:9], 0
	v_pk_mov_b32 v[6:7], v[4:5], v[4:5] op_sel:[0,1]
	v_pk_mov_b32 v[18:19], v[4:5], v[4:5] op_sel:[0,1]
	;; [unrolled: 1-line block ×3, first 2 shown]
	s_and_saveexec_b64 s[10:11], s[0:1]
	s_cbranch_execz .LBB153_24
; %bb.15:
	v_add_u32_e32 v0, v101, v13
	v_subrev_u32_e32 v0, s2, v0
	v_add_u32_e32 v0, 32, v0
	v_max_i32_e32 v0, v0, v100
	v_not_b32_e32 v1, v101
	v_add3_u32 v0, v0, s2, v1
	v_sub_u32_e32 v0, v0, v13
	v_lshrrev_b32_e32 v1, 5, v0
	v_add_u32_e32 v1, 1, v1
	v_and_b32_e32 v1, 3, v1
	v_pk_mov_b32 v[20:21], 0, 0
	v_cmp_ne_u32_e32 vcc, 0, v1
	v_pk_mov_b32 v[18:19], v[20:21], v[20:21] op_sel:[0,1]
	v_pk_mov_b32 v[6:7], v[20:21], v[20:21] op_sel:[0,1]
	;; [unrolled: 1-line block ×3, first 2 shown]
	v_mov_b32_e32 v22, v14
	v_pk_mov_b32 v[24:25], v[16:17], v[16:17] op_sel:[0,1]
	s_and_saveexec_b64 s[14:15], vcc
	s_cbranch_execz .LBB153_19
; %bb.16:
	v_pk_mov_b32 v[4:5], 0, 0
	v_lshlrev_b32_e32 v1, 6, v1
	s_mov_b64 s[16:17], 0
	v_mov_b32_e32 v2, s13
	v_mov_b32_e32 v3, s7
	v_pk_mov_b32 v[24:25], v[16:17], v[16:17] op_sel:[0,1]
	v_mov_b32_e32 v22, v14
	v_pk_mov_b32 v[6:7], v[4:5], v[4:5] op_sel:[0,1]
	v_pk_mov_b32 v[18:19], v[4:5], v[4:5] op_sel:[0,1]
	;; [unrolled: 1-line block ×3, first 2 shown]
.LBB153_17:                             ; =>This Inner Loop Header: Depth=1
	v_ashrrev_i32_e32 v23, 31, v22
	v_lshlrev_b64 v[26:27], 2, v[22:23]
	v_add_co_u32_e32 v42, vcc, s12, v26
	v_addc_co_u32_e32 v43, vcc, v2, v27, vcc
	global_load_dword v15, v[42:43], off
	global_load_dwordx4 v[26:29], v[24:25], off
	global_load_dwordx4 v[30:33], v[24:25], off offset:16
	global_load_dwordx4 v[34:37], v[24:25], off offset:48
	;; [unrolled: 1-line block ×3, first 2 shown]
	v_subrev_u32_e32 v1, 64, v1
	v_add_u32_e32 v22, 32, v22
	s_waitcnt vmcnt(4)
	v_subrev_u32_e32 v15, s2, v15
	v_lshlrev_b32_e32 v42, 2, v15
	v_ashrrev_i32_e32 v43, 31, v42
	v_lshlrev_b64 v[42:43], 3, v[42:43]
	v_add_co_u32_e32 v50, vcc, s6, v42
	v_addc_co_u32_e32 v51, vcc, v3, v43, vcc
	global_load_dwordx4 v[42:45], v[50:51], off
	global_load_dwordx4 v[46:49], v[50:51], off offset:16
	s_waitcnt vmcnt(5)
	v_cvt_f64_f32_e32 v[50:51], v26
	s_waitcnt vmcnt(4)
	v_cvt_f64_f32_e32 v[54:55], v30
	;; [unrolled: 2-line block ×3, first 2 shown]
	v_cvt_f64_f32_e32 v[62:63], v34
	v_add_co_u32_e32 v24, vcc, 0x800, v24
	v_cvt_f64_f32_e32 v[26:27], v27
	v_cvt_f64_f32_e32 v[30:31], v31
	;; [unrolled: 1-line block ×4, first 2 shown]
	v_addc_co_u32_e32 v25, vcc, 0, v25, vcc
	v_cvt_f64_f32_e32 v[52:53], v28
	v_cvt_f64_f32_e32 v[56:57], v32
	;; [unrolled: 1-line block ×4, first 2 shown]
	v_cmp_eq_u32_e32 vcc, 0, v1
	v_cvt_f64_f32_e32 v[28:29], v29
	v_cvt_f64_f32_e32 v[32:33], v33
	;; [unrolled: 1-line block ×4, first 2 shown]
	s_or_b64 s[16:17], vcc, s[16:17]
	s_waitcnt vmcnt(1)
	v_fmac_f64_e32 v[20:21], v[50:51], v[42:43]
	v_fmac_f64_e32 v[18:19], v[54:55], v[42:43]
	;; [unrolled: 1-line block ×8, first 2 shown]
	s_waitcnt vmcnt(0)
	v_fmac_f64_e32 v[20:21], v[52:53], v[46:47]
	v_fmac_f64_e32 v[18:19], v[56:57], v[46:47]
	;; [unrolled: 1-line block ×8, first 2 shown]
	s_andn2_b64 exec, exec, s[16:17]
	s_cbranch_execnz .LBB153_17
; %bb.18:
	s_or_b64 exec, exec, s[16:17]
.LBB153_19:
	s_or_b64 exec, exec, s[14:15]
	s_movk_i32 s3, 0x5f
	v_cmp_lt_u32_e32 vcc, s3, v0
	s_and_saveexec_b64 s[14:15], vcc
	s_cbranch_execz .LBB153_23
; %bb.20:
	s_mov_b64 s[16:17], 0
	v_mov_b32_e32 v15, s13
	v_mov_b32_e32 v102, s7
	s_movk_i32 s3, 0x1000
.LBB153_21:                             ; =>This Inner Loop Header: Depth=1
	v_ashrrev_i32_e32 v23, 31, v22
	v_lshlrev_b64 v[26:27], 2, v[22:23]
	v_add_co_u32_e32 v26, vcc, s12, v26
	v_addc_co_u32_e32 v27, vcc, v15, v27, vcc
	global_load_dwordx4 v[0:3], v[24:25], off
	global_load_dwordx4 v[28:31], v[24:25], off offset:16
	global_load_dwordx4 v[32:35], v[24:25], off offset:32
	;; [unrolled: 1-line block ×7, first 2 shown]
	global_load_dword v23, v[26:27], off
	v_add_u32_e32 v22, 0x80, v22
	s_waitcnt vmcnt(8)
	v_cvt_f64_f32_e32 v[64:65], v0
	v_cvt_f64_f32_e32 v[50:51], v1
	s_waitcnt vmcnt(6)
	v_cvt_f64_f32_e32 v[92:93], v34
	v_cvt_f64_f32_e32 v[90:91], v35
	;; [unrolled: 3-line block ×4, first 2 shown]
	s_waitcnt vmcnt(0)
	v_subrev_u32_e32 v0, s2, v23
	v_lshlrev_b32_e32 v0, 2, v0
	v_ashrrev_i32_e32 v1, 31, v0
	v_lshlrev_b64 v[0:1], 3, v[0:1]
	v_cvt_f64_f32_e32 v[42:43], v98
	v_add_co_u32_e32 v98, vcc, s6, v0
	v_cvt_f64_f32_e32 v[74:75], v28
	v_cvt_f64_f32_e32 v[54:55], v29
	;; [unrolled: 1-line block ×3, first 2 shown]
	v_addc_co_u32_e32 v99, vcc, v102, v1, vcc
	v_cvt_f64_f32_e32 v[70:71], v2
	v_cvt_f64_f32_e32 v[68:69], v3
	global_load_dwordx4 v[0:3], v[98:99], off
	v_cvt_f64_f32_e32 v[76:77], v44
	v_cvt_f64_f32_e32 v[52:53], v45
	;; [unrolled: 1-line block ×5, first 2 shown]
	v_add_co_u32_e32 v96, vcc, s3, v24
	v_cvt_f64_f32_e32 v[60:61], v32
	v_cvt_f64_f32_e32 v[56:57], v33
	;; [unrolled: 1-line block ×7, first 2 shown]
	v_addc_co_u32_e32 v97, vcc, 0, v25, vcc
	v_cvt_f64_f32_e32 v[88:89], v30
	v_cvt_f64_f32_e32 v[86:87], v31
	;; [unrolled: 1-line block ×6, first 2 shown]
	global_load_dword v23, v[26:27], off offset:128
	global_load_dwordx4 v[104:107], v[96:97], off offset:16
	s_waitcnt vmcnt(2)
	v_fmac_f64_e32 v[6:7], v[60:61], v[0:1]
	v_fmac_f64_e32 v[4:5], v[62:63], v[0:1]
	global_load_dwordx4 v[60:63], v[96:97], off
	v_fmac_f64_e32 v[20:21], v[64:65], v[0:1]
	v_fmac_f64_e32 v[18:19], v[74:75], v[0:1]
	;; [unrolled: 1-line block ×6, first 2 shown]
	s_waitcnt vmcnt(2)
	v_subrev_u32_e32 v23, s2, v23
	s_waitcnt vmcnt(1)
	v_cvt_f64_f32_e32 v[78:79], v104
	v_cvt_f64_f32_e32 v[56:57], v105
	v_cvt_f64_f32_e32 v[54:55], v106
	v_cvt_f64_f32_e32 v[50:51], v107
	global_load_dwordx4 v[104:107], v[96:97], off offset:32
	s_waitcnt vmcnt(1)
	v_cvt_f64_f32_e32 v[74:75], v60
	v_cvt_f64_f32_e32 v[64:65], v61
	;; [unrolled: 1-line block ×4, first 2 shown]
	s_waitcnt vmcnt(0)
	v_cvt_f64_f32_e32 v[84:85], v104
	v_cvt_f64_f32_e32 v[62:63], v105
	;; [unrolled: 1-line block ×4, first 2 shown]
	global_load_dwordx4 v[104:107], v[98:99], off offset:16
	s_waitcnt vmcnt(0)
	v_fmac_f64_e32 v[6:7], v[92:93], v[104:105]
	v_fmac_f64_e32 v[18:19], v[88:89], v[104:105]
	;; [unrolled: 1-line block ×5, first 2 shown]
	global_load_dwordx4 v[88:91], v[96:97], off offset:48
	global_load_dwordx4 v[92:95], v[96:97], off offset:2064
	v_fmac_f64_e32 v[18:19], v[86:87], v[106:107]
	v_fmac_f64_e32 v[20:21], v[68:69], v[106:107]
	;; [unrolled: 1-line block ×3, first 2 shown]
	s_waitcnt vmcnt(1)
	v_cvt_f64_f32_e32 v[86:87], v88
	v_lshlrev_b32_e32 v88, 2, v23
	v_cvt_f64_f32_e32 v[70:71], v89
	v_cvt_f64_f32_e32 v[68:69], v90
	;; [unrolled: 1-line block ×3, first 2 shown]
	v_ashrrev_i32_e32 v89, 31, v88
	v_lshlrev_b64 v[88:89], 3, v[88:89]
	v_add_co_u32_e32 v98, vcc, s6, v88
	v_addc_co_u32_e32 v99, vcc, v102, v89, vcc
	global_load_dwordx4 v[88:91], v[98:99], off
	s_waitcnt vmcnt(0)
	v_fmac_f64_e32 v[6:7], v[80:81], v[88:89]
	v_fmac_f64_e32 v[4:5], v[82:83], v[88:89]
	global_load_dwordx4 v[80:83], v[96:97], off offset:2048
	v_fmac_f64_e32 v[20:21], v[72:73], v[88:89]
	v_fmac_f64_e32 v[18:19], v[76:77], v[88:89]
	v_cvt_f64_f32_e32 v[88:89], v94
	v_fmac_f64_e32 v[6:7], v[44:45], v[90:91]
	v_fmac_f64_e32 v[4:5], v[46:47], v[90:91]
	global_load_dwordx4 v[44:47], v[96:97], off offset:2080
	v_fmac_f64_e32 v[20:21], v[48:49], v[90:91]
	v_fmac_f64_e32 v[18:19], v[52:53], v[90:91]
	v_cvt_f64_f32_e32 v[90:91], v95
	s_waitcnt vmcnt(1)
	v_cvt_f64_f32_e32 v[48:49], v80
	v_cvt_f64_f32_e32 v[52:53], v81
	v_cvt_f64_f32_e32 v[72:73], v82
	v_cvt_f64_f32_e32 v[76:77], v83
	v_cvt_f64_f32_e32 v[80:81], v92
	v_cvt_f64_f32_e32 v[82:83], v93
	s_waitcnt vmcnt(0)
	v_cvt_f64_f32_e32 v[92:93], v44
	v_cvt_f64_f32_e32 v[94:95], v45
	;; [unrolled: 1-line block ×4, first 2 shown]
	global_load_dwordx4 v[44:47], v[98:99], off offset:16
	s_waitcnt vmcnt(0)
	v_fmac_f64_e32 v[20:21], v[36:37], v[44:45]
	global_load_dword v23, v[26:27], off offset:256
	global_load_dword v36, v[26:27], off offset:384
	v_fmac_f64_e32 v[18:19], v[38:39], v[44:45]
	v_fmac_f64_e32 v[4:5], v[42:43], v[44:45]
	;; [unrolled: 1-line block ×5, first 2 shown]
	global_load_dwordx4 v[32:35], v[96:97], off offset:2096
	v_fmac_f64_e32 v[4:5], v[28:29], v[46:47]
	v_fmac_f64_e32 v[6:7], v[30:31], v[46:47]
	s_waitcnt vmcnt(2)
	v_subrev_u32_e32 v23, s2, v23
	s_waitcnt vmcnt(1)
	v_subrev_u32_e32 v27, s2, v36
	v_lshlrev_b32_e32 v26, 2, v23
	v_lshlrev_b32_e32 v28, 2, v27
	v_ashrrev_i32_e32 v27, 31, v26
	v_lshlrev_b64 v[26:27], 3, v[26:27]
	v_ashrrev_i32_e32 v29, 31, v28
	s_waitcnt vmcnt(0)
	v_cvt_f64_f32_e32 v[42:43], v32
	v_cvt_f64_f32_e32 v[44:45], v33
	;; [unrolled: 1-line block ×4, first 2 shown]
	v_add_co_u32_e32 v30, vcc, s6, v26
	v_lshlrev_b64 v[28:29], 3, v[28:29]
	v_addc_co_u32_e32 v31, vcc, v102, v27, vcc
	v_add_co_u32_e32 v38, vcc, s6, v28
	v_addc_co_u32_e32 v39, vcc, v102, v29, vcc
	global_load_dwordx4 v[26:29], v[30:31], off
	global_load_dwordx4 v[34:37], v[38:39], off
	v_add_co_u32_e32 v24, vcc, 0x2000, v24
	global_load_dwordx4 v[30:33], v[30:31], off offset:16
	v_addc_co_u32_e32 v25, vcc, 0, v25, vcc
	global_load_dwordx4 v[38:41], v[38:39], off offset:16
	v_cmp_ge_i32_e32 vcc, v22, v100
	s_or_b64 s[16:17], vcc, s[16:17]
	s_waitcnt vmcnt(3)
	v_fmac_f64_e32 v[20:21], v[74:75], v[26:27]
	v_fmac_f64_e32 v[18:19], v[78:79], v[26:27]
	;; [unrolled: 1-line block ×8, first 2 shown]
	s_waitcnt vmcnt(1)
	v_fmac_f64_e32 v[20:21], v[2:3], v[30:31]
	v_fmac_f64_e32 v[18:19], v[54:55], v[30:31]
	;; [unrolled: 1-line block ×16, first 2 shown]
	s_waitcnt vmcnt(0)
	v_fmac_f64_e32 v[20:21], v[72:73], v[38:39]
	v_fmac_f64_e32 v[18:19], v[88:89], v[38:39]
	;; [unrolled: 1-line block ×8, first 2 shown]
	s_andn2_b64 exec, exec, s[16:17]
	s_cbranch_execnz .LBB153_21
; %bb.22:
	s_or_b64 exec, exec, s[16:17]
.LBB153_23:
	s_or_b64 exec, exec, s[14:15]
.LBB153_24:
	s_or_b64 exec, exec, s[10:11]
	s_andn2_b64 vcc, exec, s[8:9]
	s_cbranch_vccz .LBB153_26
	s_branch .LBB153_37
.LBB153_25:
                                        ; implicit-def: $vgpr4_vgpr5
                                        ; implicit-def: $vgpr6_vgpr7
                                        ; implicit-def: $vgpr18_vgpr19
                                        ; implicit-def: $vgpr20_vgpr21
.LBB153_26:
	v_pk_mov_b32 v[4:5], 0, 0
	v_pk_mov_b32 v[6:7], v[4:5], v[4:5] op_sel:[0,1]
	v_pk_mov_b32 v[18:19], v[4:5], v[4:5] op_sel:[0,1]
	;; [unrolled: 1-line block ×3, first 2 shown]
	s_and_saveexec_b64 s[8:9], s[0:1]
	s_cbranch_execz .LBB153_36
; %bb.27:
	v_add_u32_e32 v0, v101, v13
	v_subrev_u32_e32 v0, s2, v0
	v_add_u32_e32 v0, 32, v0
	v_max_i32_e32 v0, v0, v100
	v_not_b32_e32 v1, v101
	v_add3_u32 v0, v0, s2, v1
	v_sub_u32_e32 v0, v0, v13
	v_lshrrev_b32_e32 v1, 5, v0
	v_add_u32_e32 v1, 1, v1
	v_and_b32_e32 v1, 3, v1
	v_pk_mov_b32 v[20:21], 0, 0
	v_cmp_ne_u32_e32 vcc, 0, v1
	v_pk_mov_b32 v[18:19], v[20:21], v[20:21] op_sel:[0,1]
	v_pk_mov_b32 v[6:7], v[20:21], v[20:21] op_sel:[0,1]
	;; [unrolled: 1-line block ×3, first 2 shown]
	s_and_saveexec_b64 s[0:1], vcc
	s_cbranch_execz .LBB153_31
; %bb.28:
	v_pk_mov_b32 v[4:5], 0, 0
	v_lshlrev_b32_e32 v1, 6, v1
	s_mov_b64 s[10:11], 0
	v_mov_b32_e32 v2, s13
	v_mov_b32_e32 v3, s7
	v_pk_mov_b32 v[6:7], v[4:5], v[4:5] op_sel:[0,1]
	v_pk_mov_b32 v[18:19], v[4:5], v[4:5] op_sel:[0,1]
	v_pk_mov_b32 v[20:21], v[4:5], v[4:5] op_sel:[0,1]
.LBB153_29:                             ; =>This Inner Loop Header: Depth=1
	v_ashrrev_i32_e32 v15, 31, v14
	v_lshlrev_b64 v[22:23], 2, v[14:15]
	v_add_co_u32_e32 v34, vcc, s12, v22
	v_addc_co_u32_e32 v35, vcc, v2, v23, vcc
	global_load_dword v15, v[34:35], off
	global_load_dwordx4 v[22:25], v[16:17], off offset:16
	global_load_dwordx4 v[26:29], v[16:17], off
	global_load_dwordx4 v[30:33], v[16:17], off offset:32
	v_subrev_u32_e32 v1, 64, v1
	v_add_u32_e32 v14, 32, v14
	s_waitcnt vmcnt(3)
	v_subrev_u32_e32 v15, s2, v15
	v_lshlrev_b32_e32 v34, 2, v15
	v_ashrrev_i32_e32 v35, 31, v34
	v_lshlrev_b64 v[34:35], 3, v[34:35]
	v_add_co_u32_e32 v46, vcc, s6, v34
	v_addc_co_u32_e32 v47, vcc, v3, v35, vcc
	global_load_dwordx4 v[34:37], v[46:47], off offset:16
	global_load_dwordx4 v[38:41], v[46:47], off
	global_load_dwordx4 v[42:45], v[16:17], off offset:48
	s_waitcnt vmcnt(4)
	v_cvt_f64_f32_e32 v[46:47], v26
	v_cvt_f64_f32_e32 v[26:27], v27
	;; [unrolled: 1-line block ×4, first 2 shown]
	v_add_co_u32_e32 v16, vcc, 0x800, v16
	v_cvt_f64_f32_e32 v[50:51], v22
	v_cvt_f64_f32_e32 v[22:23], v23
	;; [unrolled: 1-line block ×4, first 2 shown]
	v_addc_co_u32_e32 v17, vcc, 0, v17, vcc
	s_waitcnt vmcnt(3)
	v_cvt_f64_f32_e32 v[54:55], v30
	v_cvt_f64_f32_e32 v[30:31], v31
	v_cvt_f64_f32_e32 v[56:57], v32
	v_cvt_f64_f32_e32 v[32:33], v33
	v_cmp_eq_u32_e32 vcc, 0, v1
	s_or_b64 s[10:11], vcc, s[10:11]
	s_waitcnt vmcnt(1)
	v_fmac_f64_e32 v[20:21], v[46:47], v[38:39]
	v_fmac_f64_e32 v[18:19], v[26:27], v[38:39]
	;; [unrolled: 1-line block ×8, first 2 shown]
	s_waitcnt vmcnt(0)
	v_cvt_f64_f32_e32 v[58:59], v42
	v_cvt_f64_f32_e32 v[42:43], v43
	;; [unrolled: 1-line block ×4, first 2 shown]
	v_fmac_f64_e32 v[20:21], v[54:55], v[34:35]
	v_fmac_f64_e32 v[18:19], v[30:31], v[34:35]
	;; [unrolled: 1-line block ×8, first 2 shown]
	s_andn2_b64 exec, exec, s[10:11]
	s_cbranch_execnz .LBB153_29
; %bb.30:
	s_or_b64 exec, exec, s[10:11]
.LBB153_31:
	s_or_b64 exec, exec, s[0:1]
	s_movk_i32 s0, 0x5f
	v_cmp_lt_u32_e32 vcc, s0, v0
	s_and_saveexec_b64 s[0:1], vcc
	s_cbranch_execz .LBB153_35
; %bb.32:
	s_mov_b64 s[10:11], 0
	v_mov_b32_e32 v48, s13
	v_mov_b32_e32 v49, s7
	s_movk_i32 s3, 0x1000
.LBB153_33:                             ; =>This Inner Loop Header: Depth=1
	v_ashrrev_i32_e32 v15, 31, v14
	v_lshlrev_b64 v[34:35], 2, v[14:15]
	v_add_co_u32_e32 v34, vcc, s12, v34
	v_addc_co_u32_e32 v35, vcc, v48, v35, vcc
	global_load_dwordx4 v[0:3], v[16:17], off
	global_load_dwordx4 v[22:25], v[16:17], off offset:16
	global_load_dwordx4 v[26:29], v[16:17], off offset:32
	global_load_dwordx4 v[30:33], v[16:17], off offset:48
	global_load_dwordx4 v[50:53], v[16:17], off offset:2048
	global_load_dwordx4 v[54:57], v[16:17], off offset:2064
	global_load_dword v78, v[34:35], off
	global_load_dword v82, v[34:35], off offset:128
	global_load_dword v83, v[34:35], off offset:256
	;; [unrolled: 1-line block ×3, first 2 shown]
	v_add_u32_e32 v14, 0x80, v14
	s_waitcnt vmcnt(9)
	v_cvt_f64_f32_e32 v[58:59], v0
	s_waitcnt vmcnt(8)
	v_cvt_f64_f32_e32 v[70:71], v24
	v_cvt_f64_f32_e32 v[72:73], v25
	s_waitcnt vmcnt(7)
	v_cvt_f64_f32_e32 v[74:75], v26
	v_cvt_f64_f32_e32 v[76:77], v27
	;; [unrolled: 1-line block ×3, first 2 shown]
	s_waitcnt vmcnt(3)
	v_subrev_u32_e32 v34, s2, v78
	v_lshlrev_b32_e32 v34, 2, v34
	v_ashrrev_i32_e32 v35, 31, v34
	v_lshlrev_b64 v[34:35], 3, v[34:35]
	v_add_co_u32_e32 v34, vcc, s6, v34
	v_addc_co_u32_e32 v35, vcc, v49, v35, vcc
	v_cvt_f64_f32_e32 v[46:47], v29
	v_cvt_f64_f32_e32 v[40:41], v30
	;; [unrolled: 1-line block ×7, first 2 shown]
	global_load_dwordx4 v[50:53], v[34:35], off
	v_cvt_f64_f32_e32 v[60:61], v1
	v_cvt_f64_f32_e32 v[62:63], v2
	v_cvt_f64_f32_e32 v[64:65], v3
	v_cvt_f64_f32_e32 v[66:67], v22
	v_cvt_f64_f32_e32 v[68:69], v23
	v_cvt_f64_f32_e32 v[36:37], v33
	v_cvt_f64_f32_e32 v[38:39], v32
	v_cvt_f64_f32_e32 v[32:33], v54
	v_cvt_f64_f32_e32 v[2:3], v55
	v_cvt_f64_f32_e32 v[22:23], v56
	v_cvt_f64_f32_e32 v[0:1], v57
	global_load_dwordx4 v[54:57], v[16:17], off offset:2080
	s_waitcnt vmcnt(2)
	v_subrev_u32_e32 v15, s2, v15
	s_waitcnt vmcnt(1)
	v_fmac_f64_e32 v[20:21], v[58:59], v[50:51]
	v_fmac_f64_e32 v[18:19], v[60:61], v[50:51]
	global_load_dwordx4 v[58:61], v[16:17], off offset:2096
	v_fmac_f64_e32 v[6:7], v[62:63], v[50:51]
	v_fmac_f64_e32 v[4:5], v[64:65], v[50:51]
	;; [unrolled: 1-line block ×6, first 2 shown]
	global_load_dwordx4 v[50:53], v[34:35], off offset:16
	v_add_co_u32_e32 v34, vcc, s3, v16
	v_addc_co_u32_e32 v35, vcc, 0, v17, vcc
	s_waitcnt vmcnt(2)
	v_cvt_f64_f32_e32 v[62:63], v54
	v_cvt_f64_f32_e32 v[54:55], v55
	;; [unrolled: 1-line block ×4, first 2 shown]
	s_waitcnt vmcnt(1)
	v_cvt_f64_f32_e32 v[66:67], v58
	v_cvt_f64_f32_e32 v[58:59], v59
	;; [unrolled: 1-line block ×4, first 2 shown]
	s_waitcnt vmcnt(0)
	v_fmac_f64_e32 v[6:7], v[44:45], v[50:51]
	v_fmac_f64_e32 v[4:5], v[46:47], v[50:51]
	global_load_dwordx4 v[44:47], v[34:35], off
	v_fmac_f64_e32 v[4:5], v[36:37], v[52:53]
	v_subrev_u32_e32 v36, s2, v82
	v_lshlrev_b32_e32 v36, 2, v36
	v_ashrrev_i32_e32 v37, 31, v36
	v_fmac_f64_e32 v[20:21], v[74:75], v[50:51]
	v_fmac_f64_e32 v[18:19], v[76:77], v[50:51]
	v_lshlrev_b64 v[36:37], 3, v[36:37]
	v_fmac_f64_e32 v[20:21], v[40:41], v[52:53]
	v_fmac_f64_e32 v[18:19], v[42:43], v[52:53]
	global_load_dwordx4 v[40:43], v[34:35], off offset:16
	v_fmac_f64_e32 v[6:7], v[38:39], v[52:53]
	s_waitcnt vmcnt(1)
	v_cvt_f64_f32_e32 v[50:51], v44
	v_add_co_u32_e32 v44, vcc, s6, v36
	v_cvt_f64_f32_e32 v[52:53], v45
	v_addc_co_u32_e32 v45, vcc, v49, v37, vcc
	global_load_dwordx4 v[36:39], v[44:45], off
	v_cvt_f64_f32_e32 v[70:71], v46
	v_cvt_f64_f32_e32 v[72:73], v47
	s_waitcnt vmcnt(1)
	v_cvt_f64_f32_e32 v[74:75], v40
	v_cvt_f64_f32_e32 v[76:77], v41
	;; [unrolled: 1-line block ×4, first 2 shown]
	global_load_dwordx4 v[40:43], v[34:35], off offset:48
	s_waitcnt vmcnt(1)
	v_fmac_f64_e32 v[20:21], v[24:25], v[36:37]
	v_fmac_f64_e32 v[18:19], v[26:27], v[36:37]
	;; [unrolled: 1-line block ×8, first 2 shown]
	global_load_dwordx4 v[36:39], v[44:45], off offset:16
	global_load_dwordx4 v[24:27], v[34:35], off offset:32
	s_waitcnt vmcnt(2)
	v_cvt_f64_f32_e32 v[0:1], v40
	v_cvt_f64_f32_e32 v[2:3], v41
	;; [unrolled: 1-line block ×3, first 2 shown]
	global_load_dwordx4 v[44:47], v[34:35], off offset:2064
	s_waitcnt vmcnt(2)
	v_fmac_f64_e32 v[20:21], v[62:63], v[36:37]
	v_fmac_f64_e32 v[18:19], v[54:55], v[36:37]
	;; [unrolled: 1-line block ×8, first 2 shown]
	global_load_dwordx4 v[36:39], v[34:35], off offset:2080
	s_waitcnt vmcnt(2)
	v_cvt_f64_f32_e32 v[28:29], v24
	v_cvt_f64_f32_e32 v[30:31], v25
	;; [unrolled: 1-line block ×3, first 2 shown]
	global_load_dwordx4 v[40:43], v[34:35], off offset:2048
	v_cvt_f64_f32_e32 v[32:33], v26
	v_cvt_f64_f32_e32 v[26:27], v27
	s_waitcnt vmcnt(2)
	v_cvt_f64_f32_e32 v[58:59], v44
	v_cvt_f64_f32_e32 v[44:45], v45
	;; [unrolled: 1-line block ×4, first 2 shown]
	s_waitcnt vmcnt(1)
	v_cvt_f64_f32_e32 v[62:63], v36
	v_subrev_u32_e32 v36, s2, v83
	v_lshlrev_b32_e32 v36, 2, v36
	v_cvt_f64_f32_e32 v[64:65], v37
	v_ashrrev_i32_e32 v37, 31, v36
	v_lshlrev_b64 v[36:37], 3, v[36:37]
	v_add_co_u32_e32 v82, vcc, s6, v36
	v_addc_co_u32_e32 v83, vcc, v49, v37, vcc
	v_cvt_f64_f32_e32 v[66:67], v38
	v_cvt_f64_f32_e32 v[68:69], v39
	global_load_dwordx4 v[36:39], v[82:83], off
	s_waitcnt vmcnt(1)
	v_cvt_f64_f32_e32 v[54:55], v40
	v_cvt_f64_f32_e32 v[40:41], v41
	;; [unrolled: 1-line block ×4, first 2 shown]
	s_waitcnt vmcnt(0)
	v_fmac_f64_e32 v[20:21], v[50:51], v[36:37]
	v_fmac_f64_e32 v[18:19], v[52:53], v[36:37]
	;; [unrolled: 1-line block ×4, first 2 shown]
	global_load_dwordx4 v[34:37], v[34:35], off offset:2096
	v_fmac_f64_e32 v[20:21], v[74:75], v[38:39]
	v_fmac_f64_e32 v[18:19], v[76:77], v[38:39]
	;; [unrolled: 1-line block ×4, first 2 shown]
	s_waitcnt vmcnt(0)
	v_cvt_f64_f32_e32 v[38:39], v34
	v_lshlrev_b32_e32 v34, 2, v15
	v_cvt_f64_f32_e32 v[50:51], v35
	v_ashrrev_i32_e32 v35, 31, v34
	v_lshlrev_b64 v[34:35], 3, v[34:35]
	v_add_co_u32_e32 v72, vcc, s6, v34
	v_cvt_f64_f32_e32 v[52:53], v36
	v_cvt_f64_f32_e32 v[70:71], v37
	v_addc_co_u32_e32 v73, vcc, v49, v35, vcc
	global_load_dwordx4 v[34:37], v[82:83], off offset:16
	v_add_co_u32_e32 v16, vcc, 0x2000, v16
	v_addc_co_u32_e32 v17, vcc, 0, v17, vcc
	v_cmp_ge_i32_e32 vcc, v14, v100
	s_or_b64 s[10:11], vcc, s[10:11]
	s_waitcnt vmcnt(0)
	v_fmac_f64_e32 v[20:21], v[28:29], v[34:35]
	v_fmac_f64_e32 v[18:19], v[30:31], v[34:35]
	global_load_dwordx4 v[28:31], v[72:73], off
	v_fmac_f64_e32 v[6:7], v[32:33], v[34:35]
	v_fmac_f64_e32 v[4:5], v[26:27], v[34:35]
	global_load_dwordx4 v[32:35], v[72:73], off offset:16
	v_fmac_f64_e32 v[20:21], v[0:1], v[36:37]
	v_fmac_f64_e32 v[18:19], v[2:3], v[36:37]
	;; [unrolled: 1-line block ×4, first 2 shown]
	s_waitcnt vmcnt(1)
	v_fmac_f64_e32 v[20:21], v[54:55], v[28:29]
	v_fmac_f64_e32 v[18:19], v[40:41], v[28:29]
	;; [unrolled: 1-line block ×8, first 2 shown]
	s_waitcnt vmcnt(0)
	v_fmac_f64_e32 v[20:21], v[62:63], v[32:33]
	v_fmac_f64_e32 v[18:19], v[64:65], v[32:33]
	v_fmac_f64_e32 v[6:7], v[66:67], v[32:33]
	v_fmac_f64_e32 v[4:5], v[68:69], v[32:33]
	v_fmac_f64_e32 v[20:21], v[38:39], v[34:35]
	v_fmac_f64_e32 v[18:19], v[50:51], v[34:35]
	v_fmac_f64_e32 v[6:7], v[52:53], v[34:35]
	v_fmac_f64_e32 v[4:5], v[70:71], v[34:35]
	s_andn2_b64 exec, exec, s[10:11]
	s_cbranch_execnz .LBB153_33
; %bb.34:
	s_or_b64 exec, exec, s[10:11]
.LBB153_35:
	s_or_b64 exec, exec, s[0:1]
.LBB153_36:
	s_or_b64 exec, exec, s[8:9]
.LBB153_37:
	v_mov_b32_dpp v0, v20 row_shr:1 row_mask:0xf bank_mask:0xf
	v_mov_b32_dpp v1, v21 row_shr:1 row_mask:0xf bank_mask:0xf
	;; [unrolled: 1-line block ×4, first 2 shown]
	v_add_f64 v[0:1], v[20:21], v[0:1]
	v_add_f64 v[14:15], v[18:19], v[14:15]
	v_mov_b32_dpp v18, v6 row_shr:1 row_mask:0xf bank_mask:0xf
	v_mov_b32_dpp v19, v7 row_shr:1 row_mask:0xf bank_mask:0xf
	v_mov_b32_dpp v20, v4 row_shr:1 row_mask:0xf bank_mask:0xf
	v_mov_b32_dpp v21, v5 row_shr:1 row_mask:0xf bank_mask:0xf
	v_add_f64 v[6:7], v[6:7], v[18:19]
	v_add_f64 v[4:5], v[4:5], v[20:21]
	v_mov_b32_dpp v2, v0 row_shr:2 row_mask:0xf bank_mask:0xf
	v_mov_b32_dpp v3, v1 row_shr:2 row_mask:0xf bank_mask:0xf
	v_mov_b32_dpp v16, v14 row_shr:2 row_mask:0xf bank_mask:0xf
	v_mov_b32_dpp v17, v15 row_shr:2 row_mask:0xf bank_mask:0xf
	v_mov_b32_dpp v18, v6 row_shr:2 row_mask:0xf bank_mask:0xf
	v_mov_b32_dpp v19, v7 row_shr:2 row_mask:0xf bank_mask:0xf
	v_mov_b32_dpp v20, v4 row_shr:2 row_mask:0xf bank_mask:0xf
	v_mov_b32_dpp v21, v5 row_shr:2 row_mask:0xf bank_mask:0xf
	v_add_f64 v[0:1], v[0:1], v[2:3]
	v_add_f64 v[14:15], v[14:15], v[16:17]
	v_add_f64 v[6:7], v[6:7], v[18:19]
	v_add_f64 v[4:5], v[4:5], v[20:21]
	v_mov_b32_dpp v2, v0 row_shr:4 row_mask:0xf bank_mask:0xe
	v_mov_b32_dpp v3, v1 row_shr:4 row_mask:0xf bank_mask:0xe
	v_mov_b32_dpp v16, v14 row_shr:4 row_mask:0xf bank_mask:0xe
	v_mov_b32_dpp v17, v15 row_shr:4 row_mask:0xf bank_mask:0xe
	v_mov_b32_dpp v18, v6 row_shr:4 row_mask:0xf bank_mask:0xe
	v_mov_b32_dpp v19, v7 row_shr:4 row_mask:0xf bank_mask:0xe
	v_mov_b32_dpp v20, v4 row_shr:4 row_mask:0xf bank_mask:0xe
	v_mov_b32_dpp v21, v5 row_shr:4 row_mask:0xf bank_mask:0xe
	v_add_f64 v[0:1], v[0:1], v[2:3]
	v_add_f64 v[14:15], v[14:15], v[16:17]
	;; [unrolled: 12-line block ×3, first 2 shown]
	v_add_f64 v[6:7], v[6:7], v[18:19]
	v_add_f64 v[4:5], v[4:5], v[20:21]
	v_mov_b32_dpp v2, v0 row_bcast:15 row_mask:0xa bank_mask:0xf
	v_mov_b32_dpp v3, v1 row_bcast:15 row_mask:0xa bank_mask:0xf
	;; [unrolled: 1-line block ×8, first 2 shown]
	v_cmp_eq_u32_e32 vcc, 31, v13
	s_and_b64 exec, exec, vcc
	s_cbranch_execz .LBB153_10
; %bb.38:
	s_load_dwordx2 s[0:1], s[4:5], 0x50
	v_add_f64 v[0:1], v[0:1], v[2:3]
	v_add_f64 v[2:3], v[14:15], v[16:17]
	;; [unrolled: 1-line block ×4, first 2 shown]
	v_cmp_eq_f64_e32 vcc, 0, v[8:9]
	v_mul_f64 v[4:5], v[10:11], v[0:1]
	v_mul_f64 v[6:7], v[10:11], v[2:3]
	;; [unrolled: 1-line block ×4, first 2 shown]
	v_lshlrev_b32_e32 v10, 2, v12
	s_and_saveexec_b64 s[2:3], vcc
	s_xor_b64 s[2:3], exec, s[2:3]
	s_cbranch_execz .LBB153_40
; %bb.39:
	v_ashrrev_i32_e32 v11, 31, v10
	v_lshlrev_b64 v[8:9], 3, v[10:11]
	s_waitcnt lgkmcnt(0)
	v_mov_b32_e32 v10, s1
	v_add_co_u32_e32 v8, vcc, s0, v8
	v_addc_co_u32_e32 v9, vcc, v10, v9, vcc
	global_store_dwordx4 v[8:9], v[4:7], off
	global_store_dwordx4 v[8:9], v[0:3], off offset:16
                                        ; implicit-def: $vgpr10
                                        ; implicit-def: $vgpr8_vgpr9
                                        ; implicit-def: $vgpr4_vgpr5
                                        ; implicit-def: $vgpr0_vgpr1
.LBB153_40:
	s_andn2_saveexec_b64 s[2:3], s[2:3]
	s_cbranch_execz .LBB153_10
; %bb.41:
	v_ashrrev_i32_e32 v11, 31, v10
	v_lshlrev_b64 v[10:11], 3, v[10:11]
	s_waitcnt lgkmcnt(0)
	v_mov_b32_e32 v12, s1
	v_add_co_u32_e32 v18, vcc, s0, v10
	v_addc_co_u32_e32 v19, vcc, v12, v11, vcc
	global_load_dwordx4 v[10:13], v[18:19], off
	global_load_dwordx4 v[14:17], v[18:19], off offset:16
	s_waitcnt vmcnt(1)
	v_fmac_f64_e32 v[4:5], v[8:9], v[10:11]
	v_fmac_f64_e32 v[6:7], v[8:9], v[12:13]
	s_waitcnt vmcnt(0)
	v_fmac_f64_e32 v[0:1], v[8:9], v[14:15]
	v_fmac_f64_e32 v[2:3], v[8:9], v[16:17]
	global_store_dwordx4 v[18:19], v[4:7], off
	global_store_dwordx4 v[18:19], v[0:3], off offset:16
	s_endpgm
	.section	.rodata,"a",@progbits
	.p2align	6, 0x0
	.amdhsa_kernel _ZN9rocsparseL18bsrxmvn_4x4_kernelILj128ELj32EdiifddEEvT3_20rocsparse_direction_NS_24const_host_device_scalarIT1_EES1_PKS1_PKT2_SA_S7_PKT4_PKT5_S5_PT6_21rocsparse_index_base_b
		.amdhsa_group_segment_fixed_size 0
		.amdhsa_private_segment_fixed_size 0
		.amdhsa_kernarg_size 96
		.amdhsa_user_sgpr_count 6
		.amdhsa_user_sgpr_private_segment_buffer 1
		.amdhsa_user_sgpr_dispatch_ptr 0
		.amdhsa_user_sgpr_queue_ptr 0
		.amdhsa_user_sgpr_kernarg_segment_ptr 1
		.amdhsa_user_sgpr_dispatch_id 0
		.amdhsa_user_sgpr_flat_scratch_init 0
		.amdhsa_user_sgpr_kernarg_preload_length 0
		.amdhsa_user_sgpr_kernarg_preload_offset 0
		.amdhsa_user_sgpr_private_segment_size 0
		.amdhsa_uses_dynamic_stack 0
		.amdhsa_system_sgpr_private_segment_wavefront_offset 0
		.amdhsa_system_sgpr_workgroup_id_x 1
		.amdhsa_system_sgpr_workgroup_id_y 0
		.amdhsa_system_sgpr_workgroup_id_z 0
		.amdhsa_system_sgpr_workgroup_info 0
		.amdhsa_system_vgpr_workitem_id 0
		.amdhsa_next_free_vgpr 108
		.amdhsa_next_free_sgpr 18
		.amdhsa_accum_offset 108
		.amdhsa_reserve_vcc 1
		.amdhsa_reserve_flat_scratch 0
		.amdhsa_float_round_mode_32 0
		.amdhsa_float_round_mode_16_64 0
		.amdhsa_float_denorm_mode_32 3
		.amdhsa_float_denorm_mode_16_64 3
		.amdhsa_dx10_clamp 1
		.amdhsa_ieee_mode 1
		.amdhsa_fp16_overflow 0
		.amdhsa_tg_split 0
		.amdhsa_exception_fp_ieee_invalid_op 0
		.amdhsa_exception_fp_denorm_src 0
		.amdhsa_exception_fp_ieee_div_zero 0
		.amdhsa_exception_fp_ieee_overflow 0
		.amdhsa_exception_fp_ieee_underflow 0
		.amdhsa_exception_fp_ieee_inexact 0
		.amdhsa_exception_int_div_zero 0
	.end_amdhsa_kernel
	.section	.text._ZN9rocsparseL18bsrxmvn_4x4_kernelILj128ELj32EdiifddEEvT3_20rocsparse_direction_NS_24const_host_device_scalarIT1_EES1_PKS1_PKT2_SA_S7_PKT4_PKT5_S5_PT6_21rocsparse_index_base_b,"axG",@progbits,_ZN9rocsparseL18bsrxmvn_4x4_kernelILj128ELj32EdiifddEEvT3_20rocsparse_direction_NS_24const_host_device_scalarIT1_EES1_PKS1_PKT2_SA_S7_PKT4_PKT5_S5_PT6_21rocsparse_index_base_b,comdat
.Lfunc_end153:
	.size	_ZN9rocsparseL18bsrxmvn_4x4_kernelILj128ELj32EdiifddEEvT3_20rocsparse_direction_NS_24const_host_device_scalarIT1_EES1_PKS1_PKT2_SA_S7_PKT4_PKT5_S5_PT6_21rocsparse_index_base_b, .Lfunc_end153-_ZN9rocsparseL18bsrxmvn_4x4_kernelILj128ELj32EdiifddEEvT3_20rocsparse_direction_NS_24const_host_device_scalarIT1_EES1_PKS1_PKT2_SA_S7_PKT4_PKT5_S5_PT6_21rocsparse_index_base_b
                                        ; -- End function
	.section	.AMDGPU.csdata,"",@progbits
; Kernel info:
; codeLenInByte = 4240
; NumSgprs: 22
; NumVgprs: 108
; NumAgprs: 0
; TotalNumVgprs: 108
; ScratchSize: 0
; MemoryBound: 0
; FloatMode: 240
; IeeeMode: 1
; LDSByteSize: 0 bytes/workgroup (compile time only)
; SGPRBlocks: 2
; VGPRBlocks: 13
; NumSGPRsForWavesPerEU: 22
; NumVGPRsForWavesPerEU: 108
; AccumOffset: 108
; Occupancy: 4
; WaveLimiterHint : 1
; COMPUTE_PGM_RSRC2:SCRATCH_EN: 0
; COMPUTE_PGM_RSRC2:USER_SGPR: 6
; COMPUTE_PGM_RSRC2:TRAP_HANDLER: 0
; COMPUTE_PGM_RSRC2:TGID_X_EN: 1
; COMPUTE_PGM_RSRC2:TGID_Y_EN: 0
; COMPUTE_PGM_RSRC2:TGID_Z_EN: 0
; COMPUTE_PGM_RSRC2:TIDIG_COMP_CNT: 0
; COMPUTE_PGM_RSRC3_GFX90A:ACCUM_OFFSET: 26
; COMPUTE_PGM_RSRC3_GFX90A:TG_SPLIT: 0
	.section	.text._ZN9rocsparseL18bsrxmvn_4x4_kernelILj128ELj64EdiifddEEvT3_20rocsparse_direction_NS_24const_host_device_scalarIT1_EES1_PKS1_PKT2_SA_S7_PKT4_PKT5_S5_PT6_21rocsparse_index_base_b,"axG",@progbits,_ZN9rocsparseL18bsrxmvn_4x4_kernelILj128ELj64EdiifddEEvT3_20rocsparse_direction_NS_24const_host_device_scalarIT1_EES1_PKS1_PKT2_SA_S7_PKT4_PKT5_S5_PT6_21rocsparse_index_base_b,comdat
	.globl	_ZN9rocsparseL18bsrxmvn_4x4_kernelILj128ELj64EdiifddEEvT3_20rocsparse_direction_NS_24const_host_device_scalarIT1_EES1_PKS1_PKT2_SA_S7_PKT4_PKT5_S5_PT6_21rocsparse_index_base_b ; -- Begin function _ZN9rocsparseL18bsrxmvn_4x4_kernelILj128ELj64EdiifddEEvT3_20rocsparse_direction_NS_24const_host_device_scalarIT1_EES1_PKS1_PKT2_SA_S7_PKT4_PKT5_S5_PT6_21rocsparse_index_base_b
	.p2align	8
	.type	_ZN9rocsparseL18bsrxmvn_4x4_kernelILj128ELj64EdiifddEEvT3_20rocsparse_direction_NS_24const_host_device_scalarIT1_EES1_PKS1_PKT2_SA_S7_PKT4_PKT5_S5_PT6_21rocsparse_index_base_b,@function
_ZN9rocsparseL18bsrxmvn_4x4_kernelILj128ELj64EdiifddEEvT3_20rocsparse_direction_NS_24const_host_device_scalarIT1_EES1_PKS1_PKT2_SA_S7_PKT4_PKT5_S5_PT6_21rocsparse_index_base_b: ; @_ZN9rocsparseL18bsrxmvn_4x4_kernelILj128ELj64EdiifddEEvT3_20rocsparse_direction_NS_24const_host_device_scalarIT1_EES1_PKS1_PKT2_SA_S7_PKT4_PKT5_S5_PT6_21rocsparse_index_base_b
; %bb.0:
	s_load_dwordx2 s[16:17], s[4:5], 0x58
	s_load_dwordx2 s[8:9], s[4:5], 0x8
	;; [unrolled: 1-line block ×3, first 2 shown]
	s_waitcnt lgkmcnt(0)
	s_bitcmp1_b32 s17, 0
	s_cselect_b64 s[10:11], -1, 0
	s_xor_b64 s[2:3], s[10:11], -1
	s_and_b64 vcc, exec, s[10:11]
	v_pk_mov_b32 v[10:11], s[8:9], s[8:9] op_sel:[0,1]
	s_cbranch_vccnz .LBB154_2
; %bb.1:
	v_pk_mov_b32 v[2:3], s[8:9], s[8:9] op_sel:[0,1]
	flat_load_dwordx2 v[10:11], v[2:3]
.LBB154_2:
	s_andn2_b64 vcc, exec, s[2:3]
	v_pk_mov_b32 v[8:9], s[0:1], s[0:1] op_sel:[0,1]
	s_cbranch_vccnz .LBB154_4
; %bb.3:
	v_pk_mov_b32 v[2:3], s[0:1], s[0:1] op_sel:[0,1]
	flat_load_dwordx2 v[8:9], v[2:3]
.LBB154_4:
	s_waitcnt vmcnt(0) lgkmcnt(0)
	v_cmp_neq_f64_e32 vcc, 0, v[10:11]
	v_cmp_neq_f64_e64 s[0:1], 1.0, v[8:9]
	s_mov_b64 s[2:3], 0
	s_or_b64 s[0:1], vcc, s[0:1]
	s_and_saveexec_b64 s[8:9], s[0:1]
	s_cbranch_execz .LBB154_10
; %bb.5:
	s_load_dwordx2 s[8:9], s[4:5], 0x18
	s_load_dwordx2 s[0:1], s[4:5], 0x0
	v_lshrrev_b32_e32 v1, 6, v0
	v_lshl_or_b32 v12, s6, 1, v1
	s_mov_b64 s[6:7], 0
	s_waitcnt lgkmcnt(0)
	s_cmp_lg_u64 s[8:9], 0
	s_cbranch_scc0 .LBB154_11
; %bb.6:
	s_load_dword s2, s[4:5], 0x10
                                        ; implicit-def: $vgpr1
	s_waitcnt lgkmcnt(0)
	v_cmp_gt_i32_e32 vcc, s2, v12
	s_and_saveexec_b64 s[2:3], vcc
	s_xor_b64 s[2:3], exec, s[2:3]
	s_cbranch_execz .LBB154_8
; %bb.7:
	v_ashrrev_i32_e32 v13, 31, v12
	v_lshlrev_b64 v[2:3], 2, v[12:13]
	v_mov_b32_e32 v1, s9
	v_add_co_u32_e32 v2, vcc, s8, v2
	v_addc_co_u32_e32 v3, vcc, v1, v3, vcc
	global_load_dword v1, v[2:3], off
	s_mov_b64 s[6:7], exec
	s_waitcnt vmcnt(0)
	v_subrev_u32_e32 v1, s16, v1
.LBB154_8:
	s_or_b64 exec, exec, s[2:3]
	s_mov_b64 s[2:3], s[6:7]
	s_branch .LBB154_12
.LBB154_9:
	v_cmp_gt_i32_e32 vcc, s0, v12
	s_andn2_b64 s[2:3], s[2:3], exec
	s_and_b64 s[6:7], vcc, exec
	s_or_b64 s[2:3], s[2:3], s[6:7]
	s_and_b64 exec, exec, s[2:3]
	s_cbranch_execnz .LBB154_13
.LBB154_10:
	s_endpgm
.LBB154_11:
                                        ; implicit-def: $vgpr1
	s_cbranch_execnz .LBB154_9
.LBB154_12:
	v_mov_b32_e32 v12, v1
	s_and_b64 exec, exec, s[2:3]
	s_cbranch_execz .LBB154_10
.LBB154_13:
	s_load_dwordx8 s[8:15], s[4:5], 0x20
	v_ashrrev_i32_e32 v13, 31, v12
	v_lshlrev_b64 v[2:3], 2, v[12:13]
	v_and_b32_e32 v13, 63, v0
	s_load_dwordx2 s[6:7], s[4:5], 0x40
	s_waitcnt lgkmcnt(0)
	v_mov_b32_e32 v1, s9
	v_add_co_u32_e32 v4, vcc, s8, v2
	v_addc_co_u32_e32 v5, vcc, v1, v3, vcc
	v_add_co_u32_e32 v1, vcc, 4, v4
	global_load_dword v91, v[4:5], off
	v_addc_co_u32_e32 v4, vcc, 0, v5, vcc
	v_mov_b32_e32 v5, s11
	v_add_co_u32_e32 v2, vcc, s10, v2
	s_cmp_eq_u64 s[10:11], 0
	v_addc_co_u32_e32 v3, vcc, v5, v3, vcc
	s_cselect_b64 vcc, -1, 0
	v_cndmask_b32_e32 v3, v3, v4, vcc
	v_cndmask_b32_e32 v2, v2, v1, vcc
	global_load_dword v1, v[2:3], off
	v_mov_b32_e32 v2, s15
	s_cmp_eq_u32 s1, 1
	s_waitcnt vmcnt(1)
	v_subrev_u32_e32 v0, s16, v91
	v_add_u32_e32 v18, v0, v13
	v_ashrrev_i32_e32 v19, 31, v18
	s_waitcnt vmcnt(0)
	v_subrev_u32_e32 v90, s16, v1
	v_lshlrev_b64 v[0:1], 6, v[18:19]
	v_add_co_u32_e32 v20, vcc, s14, v0
	v_addc_co_u32_e32 v21, vcc, v2, v1, vcc
	v_cmp_lt_i32_e64 s[0:1], v18, v90
	s_cbranch_scc1 .LBB154_25
; %bb.14:
	v_pk_mov_b32 v[14:15], 0, 0
	s_mov_b64 s[8:9], 0
	v_pk_mov_b32 v[16:17], v[14:15], v[14:15] op_sel:[0,1]
	v_pk_mov_b32 v[22:23], v[14:15], v[14:15] op_sel:[0,1]
	;; [unrolled: 1-line block ×3, first 2 shown]
	s_and_saveexec_b64 s[10:11], s[0:1]
	s_cbranch_execz .LBB154_24
; %bb.15:
	v_add_u32_e32 v0, v91, v13
	v_subrev_u32_e32 v0, s16, v0
	v_add_u32_e32 v0, 64, v0
	v_max_i32_e32 v0, v0, v90
	v_not_b32_e32 v1, v91
	v_add3_u32 v0, v0, s16, v1
	v_sub_u32_e32 v0, v0, v13
	v_lshrrev_b32_e32 v1, 6, v0
	v_add_u32_e32 v1, 1, v1
	v_and_b32_e32 v1, 3, v1
	v_pk_mov_b32 v[24:25], 0, 0
	v_cmp_ne_u32_e32 vcc, 0, v1
	v_pk_mov_b32 v[22:23], v[24:25], v[24:25] op_sel:[0,1]
	v_pk_mov_b32 v[16:17], v[24:25], v[24:25] op_sel:[0,1]
	;; [unrolled: 1-line block ×3, first 2 shown]
	v_mov_b32_e32 v4, v18
	v_pk_mov_b32 v[6:7], v[20:21], v[20:21] op_sel:[0,1]
	s_and_saveexec_b64 s[2:3], vcc
	s_cbranch_execz .LBB154_19
; %bb.16:
	v_pk_mov_b32 v[14:15], 0, 0
	v_lshlrev_b32_e32 v1, 6, v1
	s_mov_b64 s[14:15], 0
	v_mov_b32_e32 v2, s13
	v_mov_b32_e32 v3, s7
	v_pk_mov_b32 v[6:7], v[20:21], v[20:21] op_sel:[0,1]
	v_mov_b32_e32 v4, v18
	v_pk_mov_b32 v[16:17], v[14:15], v[14:15] op_sel:[0,1]
	v_pk_mov_b32 v[22:23], v[14:15], v[14:15] op_sel:[0,1]
	;; [unrolled: 1-line block ×3, first 2 shown]
.LBB154_17:                             ; =>This Inner Loop Header: Depth=1
	v_ashrrev_i32_e32 v5, 31, v4
	v_lshlrev_b64 v[26:27], 2, v[4:5]
	v_add_co_u32_e32 v42, vcc, s12, v26
	v_addc_co_u32_e32 v43, vcc, v2, v27, vcc
	global_load_dword v5, v[42:43], off
	global_load_dwordx4 v[26:29], v[6:7], off
	global_load_dwordx4 v[30:33], v[6:7], off offset:16
	global_load_dwordx4 v[34:37], v[6:7], off offset:48
	;; [unrolled: 1-line block ×3, first 2 shown]
	v_subrev_u32_e32 v1, 64, v1
	v_add_u32_e32 v4, 64, v4
	s_waitcnt vmcnt(4)
	v_subrev_u32_e32 v5, s16, v5
	v_lshlrev_b32_e32 v42, 2, v5
	v_ashrrev_i32_e32 v43, 31, v42
	v_lshlrev_b64 v[42:43], 3, v[42:43]
	v_add_co_u32_e32 v50, vcc, s6, v42
	v_addc_co_u32_e32 v51, vcc, v3, v43, vcc
	global_load_dwordx4 v[42:45], v[50:51], off
	global_load_dwordx4 v[46:49], v[50:51], off offset:16
	s_waitcnt vmcnt(5)
	v_cvt_f64_f32_e32 v[50:51], v26
	s_waitcnt vmcnt(4)
	v_cvt_f64_f32_e32 v[54:55], v30
	;; [unrolled: 2-line block ×3, first 2 shown]
	v_cvt_f64_f32_e32 v[62:63], v34
	v_add_co_u32_e32 v6, vcc, 0x1000, v6
	v_cvt_f64_f32_e32 v[26:27], v27
	v_cvt_f64_f32_e32 v[30:31], v31
	;; [unrolled: 1-line block ×4, first 2 shown]
	v_addc_co_u32_e32 v7, vcc, 0, v7, vcc
	v_cvt_f64_f32_e32 v[52:53], v28
	v_cvt_f64_f32_e32 v[56:57], v32
	;; [unrolled: 1-line block ×4, first 2 shown]
	v_cmp_eq_u32_e32 vcc, 0, v1
	v_cvt_f64_f32_e32 v[28:29], v29
	v_cvt_f64_f32_e32 v[32:33], v33
	;; [unrolled: 1-line block ×4, first 2 shown]
	s_or_b64 s[14:15], vcc, s[14:15]
	s_waitcnt vmcnt(1)
	v_fmac_f64_e32 v[24:25], v[50:51], v[42:43]
	v_fmac_f64_e32 v[22:23], v[54:55], v[42:43]
	;; [unrolled: 1-line block ×8, first 2 shown]
	s_waitcnt vmcnt(0)
	v_fmac_f64_e32 v[24:25], v[52:53], v[46:47]
	v_fmac_f64_e32 v[22:23], v[56:57], v[46:47]
	;; [unrolled: 1-line block ×8, first 2 shown]
	s_andn2_b64 exec, exec, s[14:15]
	s_cbranch_execnz .LBB154_17
; %bb.18:
	s_or_b64 exec, exec, s[14:15]
.LBB154_19:
	s_or_b64 exec, exec, s[2:3]
	s_movk_i32 s2, 0xbf
	v_cmp_lt_u32_e32 vcc, s2, v0
	s_and_saveexec_b64 s[14:15], vcc
	s_cbranch_execz .LBB154_23
; %bb.20:
	s_mov_b64 s[18:19], 0
	v_mov_b32_e32 v19, s13
	v_mov_b32_e32 v92, s7
	s_movk_i32 s17, 0x1000
	s_movk_i32 s20, 0x2000
	;; [unrolled: 1-line block ×3, first 2 shown]
.LBB154_21:                             ; =>This Inner Loop Header: Depth=1
	global_load_dwordx4 v[0:3], v[6:7], off
	global_load_dwordx4 v[26:29], v[6:7], off offset:16
	global_load_dwordx4 v[30:33], v[6:7], off offset:32
	v_ashrrev_i32_e32 v5, 31, v4
	v_add_co_u32_e32 v54, vcc, s17, v6
	v_add_co_u32_e64 v56, s[2:3], s20, v6
	v_addc_co_u32_e32 v55, vcc, 0, v7, vcc
	v_addc_co_u32_e64 v57, vcc, 0, v7, s[2:3]
	v_lshlrev_b64 v[58:59], 2, v[4:5]
	v_add_co_u32_e32 v58, vcc, s12, v58
	v_addc_co_u32_e32 v59, vcc, v19, v59, vcc
	global_load_dwordx4 v[34:37], v[6:7], off offset:48
	global_load_dwordx4 v[38:41], v[56:57], off offset:-4096
	global_load_dwordx4 v[42:45], v[54:55], off offset:16
	global_load_dwordx4 v[46:49], v[54:55], off offset:32
	;; [unrolled: 1-line block ×3, first 2 shown]
	v_add_u32_e32 v4, 0x100, v4
	v_cmp_ge_i32_e64 s[2:3], v4, v90
	s_or_b64 s[18:19], s[2:3], s[18:19]
	s_waitcnt vmcnt(7)
	v_cvt_f64_f32_e32 v[54:55], v0
	global_load_dword v0, v[58:59], off
	v_cvt_f64_f32_e32 v[80:81], v1
	v_cvt_f64_f32_e32 v[94:95], v2
	;; [unrolled: 1-line block ×3, first 2 shown]
	s_waitcnt vmcnt(7)
	v_cvt_f64_f32_e32 v[98:99], v26
	v_cvt_f64_f32_e32 v[100:101], v28
	;; [unrolled: 1-line block ×3, first 2 shown]
	s_waitcnt vmcnt(6)
	v_cvt_f64_f32_e32 v[28:29], v30
	v_cvt_f64_f32_e32 v[104:105], v31
	;; [unrolled: 1-line block ×5, first 2 shown]
	s_waitcnt vmcnt(4)
	v_cvt_f64_f32_e32 v[116:117], v38
	s_waitcnt vmcnt(3)
	v_cvt_f64_f32_e32 v[118:119], v42
	v_cvt_f64_f32_e32 v[84:85], v43
	;; [unrolled: 1-line block ×9, first 2 shown]
	s_waitcnt vmcnt(2)
	v_cvt_f64_f32_e32 v[72:73], v48
	v_cvt_f64_f32_e32 v[62:63], v49
	s_waitcnt vmcnt(1)
	v_cvt_f64_f32_e32 v[88:89], v50
	v_cvt_f64_f32_e32 v[78:79], v51
	;; [unrolled: 1-line block ×8, first 2 shown]
	global_load_dwordx4 v[32:35], v[56:57], off offset:16
	s_waitcnt vmcnt(1)
	v_subrev_u32_e32 v0, s16, v0
	v_lshlrev_b32_e32 v0, 2, v0
	v_ashrrev_i32_e32 v1, 31, v0
	v_lshlrev_b64 v[0:1], 3, v[0:1]
	v_add_co_u32_e32 v42, vcc, s6, v0
	v_addc_co_u32_e32 v43, vcc, v92, v1, vcc
	global_load_dwordx4 v[0:3], v[42:43], off
	s_waitcnt vmcnt(1)
	v_cvt_f64_f32_e32 v[36:37], v33
	s_waitcnt vmcnt(0)
	v_fmac_f64_e32 v[24:25], v[54:55], v[0:1]
	v_fmac_f64_e32 v[22:23], v[98:99], v[0:1]
	;; [unrolled: 1-line block ×4, first 2 shown]
	global_load_dwordx4 v[28:31], v[56:57], off
	v_fmac_f64_e32 v[24:25], v[80:81], v[2:3]
	v_fmac_f64_e32 v[22:23], v[26:27], v[2:3]
	;; [unrolled: 1-line block ×4, first 2 shown]
	global_load_dwordx4 v[0:3], v[56:57], off offset:32
	v_cvt_f64_f32_e32 v[54:55], v32
	v_cvt_f64_f32_e32 v[32:33], v34
	s_waitcnt vmcnt(1)
	v_cvt_f64_f32_e32 v[50:51], v28
	v_cvt_f64_f32_e32 v[48:49], v29
	;; [unrolled: 1-line block ×5, first 2 shown]
	s_waitcnt vmcnt(0)
	v_cvt_f64_f32_e32 v[52:53], v0
	v_cvt_f64_f32_e32 v[40:41], v1
	;; [unrolled: 1-line block ×4, first 2 shown]
	global_load_dwordx4 v[0:3], v[42:43], off offset:16
	s_waitcnt vmcnt(0)
	v_fmac_f64_e32 v[24:25], v[94:95], v[0:1]
	v_fmac_f64_e32 v[22:23], v[100:101], v[0:1]
	;; [unrolled: 1-line block ×4, first 2 shown]
	global_load_dword v0, v[58:59], off offset:256
	v_fmac_f64_e32 v[24:25], v[96:97], v[2:3]
	global_load_dwordx4 v[94:97], v[56:57], off offset:48
	v_fmac_f64_e32 v[22:23], v[102:103], v[2:3]
	v_fmac_f64_e32 v[16:17], v[108:109], v[2:3]
	;; [unrolled: 1-line block ×3, first 2 shown]
	s_waitcnt vmcnt(1)
	v_subrev_u32_e32 v0, s16, v0
	v_lshlrev_b32_e32 v0, 2, v0
	v_ashrrev_i32_e32 v1, 31, v0
	v_lshlrev_b64 v[0:1], 3, v[0:1]
	v_add_co_u32_e32 v80, vcc, s6, v0
	v_addc_co_u32_e32 v81, vcc, v92, v1, vcc
	global_load_dwordx4 v[0:3], v[80:81], off
	s_waitcnt vmcnt(1)
	v_cvt_f64_f32_e32 v[56:57], v94
	v_add_co_u32_e32 v94, vcc, s21, v6
	v_cvt_f64_f32_e32 v[46:47], v95
	v_addc_co_u32_e32 v95, vcc, 0, v7, vcc
	v_cvt_f64_f32_e32 v[44:45], v96
	v_cvt_f64_f32_e32 v[42:43], v97
	s_waitcnt vmcnt(0)
	v_fmac_f64_e32 v[24:25], v[116:117], v[0:1]
	v_fmac_f64_e32 v[22:23], v[118:119], v[0:1]
	;; [unrolled: 1-line block ×8, first 2 shown]
	global_load_dwordx4 v[0:3], v[94:95], off offset:32
	global_load_dwordx4 v[86:89], v[94:95], off
	global_load_dwordx4 v[82:85], v[94:95], off offset:16
	s_waitcnt vmcnt(2)
	v_cvt_f64_f32_e32 v[100:101], v0
	v_cvt_f64_f32_e32 v[102:103], v1
	;; [unrolled: 1-line block ×4, first 2 shown]
	global_load_dwordx4 v[0:3], v[80:81], off offset:16
	s_waitcnt vmcnt(2)
	v_cvt_f64_f32_e32 v[76:77], v86
	s_waitcnt vmcnt(1)
	v_cvt_f64_f32_e32 v[96:97], v82
	v_cvt_f64_f32_e32 v[78:79], v87
	;; [unrolled: 1-line block ×7, first 2 shown]
	s_waitcnt vmcnt(0)
	v_fmac_f64_e32 v[24:25], v[68:69], v[0:1]
	v_fmac_f64_e32 v[22:23], v[70:71], v[0:1]
	;; [unrolled: 1-line block ×4, first 2 shown]
	global_load_dword v0, v[58:59], off offset:512
	global_load_dword v1, v[58:59], off offset:768
	v_fmac_f64_e32 v[24:25], v[66:67], v[2:3]
	v_fmac_f64_e32 v[22:23], v[64:65], v[2:3]
	;; [unrolled: 1-line block ×4, first 2 shown]
	global_load_dwordx4 v[64:67], v[94:95], off offset:48
	s_waitcnt vmcnt(2)
	v_subrev_u32_e32 v0, s16, v0
	s_waitcnt vmcnt(1)
	v_subrev_u32_e32 v1, s16, v1
	v_lshlrev_b32_e32 v0, 2, v0
	v_lshlrev_b32_e32 v2, 2, v1
	v_ashrrev_i32_e32 v1, 31, v0
	v_lshlrev_b64 v[0:1], 3, v[0:1]
	v_ashrrev_i32_e32 v3, 31, v2
	v_add_co_u32_e32 v58, vcc, s6, v0
	v_lshlrev_b64 v[2:3], 3, v[2:3]
	v_addc_co_u32_e32 v59, vcc, v92, v1, vcc
	v_add_co_u32_e32 v70, vcc, s6, v2
	v_addc_co_u32_e32 v71, vcc, v92, v3, vcc
	global_load_dwordx4 v[0:3], v[58:59], off
	s_waitcnt vmcnt(1)
	v_cvt_f64_f32_e32 v[62:63], v64
	global_load_dwordx4 v[58:61], v[58:59], off offset:16
	v_cvt_f64_f32_e32 v[64:65], v65
	v_cvt_f64_f32_e32 v[68:69], v66
	;; [unrolled: 1-line block ×3, first 2 shown]
	v_add_co_u32_e32 v6, vcc, 0x4000, v6
	v_addc_co_u32_e32 v7, vcc, 0, v7, vcc
	s_waitcnt vmcnt(1)
	v_fmac_f64_e32 v[24:25], v[50:51], v[0:1]
	v_fmac_f64_e32 v[16:17], v[52:53], v[0:1]
	global_load_dwordx4 v[50:53], v[70:71], off
	v_fmac_f64_e32 v[22:23], v[54:55], v[0:1]
	v_fmac_f64_e32 v[14:15], v[56:57], v[0:1]
	global_load_dwordx4 v[54:57], v[70:71], off offset:16
	v_fmac_f64_e32 v[24:25], v[48:49], v[2:3]
	v_fmac_f64_e32 v[22:23], v[36:37], v[2:3]
	v_fmac_f64_e32 v[16:17], v[40:41], v[2:3]
	v_fmac_f64_e32 v[14:15], v[46:47], v[2:3]
	s_waitcnt vmcnt(2)
	v_fmac_f64_e32 v[24:25], v[28:29], v[58:59]
	v_fmac_f64_e32 v[22:23], v[32:33], v[58:59]
	v_fmac_f64_e32 v[16:17], v[38:39], v[58:59]
	v_fmac_f64_e32 v[14:15], v[44:45], v[58:59]
	v_fmac_f64_e32 v[24:25], v[26:27], v[60:61]
	v_fmac_f64_e32 v[22:23], v[30:31], v[60:61]
	v_fmac_f64_e32 v[16:17], v[34:35], v[60:61]
	v_fmac_f64_e32 v[14:15], v[42:43], v[60:61]
	s_waitcnt vmcnt(1)
	v_fmac_f64_e32 v[24:25], v[76:77], v[50:51]
	v_fmac_f64_e32 v[22:23], v[96:97], v[50:51]
	v_fmac_f64_e32 v[16:17], v[100:101], v[50:51]
	v_fmac_f64_e32 v[14:15], v[62:63], v[50:51]
	;; [unrolled: 9-line block ×3, first 2 shown]
	v_fmac_f64_e32 v[24:25], v[88:89], v[56:57]
	v_fmac_f64_e32 v[22:23], v[84:85], v[56:57]
	;; [unrolled: 1-line block ×4, first 2 shown]
	s_andn2_b64 exec, exec, s[18:19]
	s_cbranch_execnz .LBB154_21
; %bb.22:
	s_or_b64 exec, exec, s[18:19]
.LBB154_23:
	s_or_b64 exec, exec, s[14:15]
.LBB154_24:
	s_or_b64 exec, exec, s[10:11]
	s_andn2_b64 vcc, exec, s[8:9]
	s_cbranch_vccz .LBB154_26
	s_branch .LBB154_37
.LBB154_25:
                                        ; implicit-def: $vgpr14_vgpr15
                                        ; implicit-def: $vgpr16_vgpr17
                                        ; implicit-def: $vgpr22_vgpr23
                                        ; implicit-def: $vgpr24_vgpr25
.LBB154_26:
	v_pk_mov_b32 v[14:15], 0, 0
	v_pk_mov_b32 v[16:17], v[14:15], v[14:15] op_sel:[0,1]
	v_pk_mov_b32 v[22:23], v[14:15], v[14:15] op_sel:[0,1]
	;; [unrolled: 1-line block ×3, first 2 shown]
	s_and_saveexec_b64 s[2:3], s[0:1]
	s_cbranch_execz .LBB154_36
; %bb.27:
	v_add_u32_e32 v0, v91, v13
	v_subrev_u32_e32 v0, s16, v0
	v_add_u32_e32 v0, 64, v0
	v_max_i32_e32 v0, v0, v90
	v_not_b32_e32 v1, v91
	v_add3_u32 v0, v0, s16, v1
	v_sub_u32_e32 v0, v0, v13
	v_lshrrev_b32_e32 v1, 6, v0
	v_add_u32_e32 v1, 1, v1
	v_and_b32_e32 v1, 3, v1
	v_pk_mov_b32 v[24:25], 0, 0
	v_cmp_ne_u32_e32 vcc, 0, v1
	v_pk_mov_b32 v[22:23], v[24:25], v[24:25] op_sel:[0,1]
	v_pk_mov_b32 v[16:17], v[24:25], v[24:25] op_sel:[0,1]
	;; [unrolled: 1-line block ×3, first 2 shown]
	s_and_saveexec_b64 s[0:1], vcc
	s_cbranch_execz .LBB154_31
; %bb.28:
	v_pk_mov_b32 v[14:15], 0, 0
	v_lshlrev_b32_e32 v1, 6, v1
	s_mov_b64 s[8:9], 0
	v_mov_b32_e32 v2, s13
	v_mov_b32_e32 v3, s7
	v_pk_mov_b32 v[16:17], v[14:15], v[14:15] op_sel:[0,1]
	v_pk_mov_b32 v[22:23], v[14:15], v[14:15] op_sel:[0,1]
	;; [unrolled: 1-line block ×3, first 2 shown]
.LBB154_29:                             ; =>This Inner Loop Header: Depth=1
	v_ashrrev_i32_e32 v19, 31, v18
	v_lshlrev_b64 v[4:5], 2, v[18:19]
	v_add_co_u32_e32 v34, vcc, s12, v4
	v_addc_co_u32_e32 v35, vcc, v2, v5, vcc
	global_load_dword v19, v[34:35], off
	global_load_dwordx4 v[4:7], v[20:21], off offset:16
	global_load_dwordx4 v[26:29], v[20:21], off
	global_load_dwordx4 v[30:33], v[20:21], off offset:32
	v_subrev_u32_e32 v1, 64, v1
	v_add_u32_e32 v18, 64, v18
	s_waitcnt vmcnt(3)
	v_subrev_u32_e32 v19, s16, v19
	v_lshlrev_b32_e32 v34, 2, v19
	v_ashrrev_i32_e32 v35, 31, v34
	v_lshlrev_b64 v[34:35], 3, v[34:35]
	v_add_co_u32_e32 v46, vcc, s6, v34
	v_addc_co_u32_e32 v47, vcc, v3, v35, vcc
	global_load_dwordx4 v[34:37], v[46:47], off offset:16
	global_load_dwordx4 v[38:41], v[46:47], off
	global_load_dwordx4 v[42:45], v[20:21], off offset:48
	s_waitcnt vmcnt(4)
	v_cvt_f64_f32_e32 v[46:47], v26
	v_cvt_f64_f32_e32 v[26:27], v27
	;; [unrolled: 1-line block ×4, first 2 shown]
	v_add_co_u32_e32 v20, vcc, 0x1000, v20
	v_cvt_f64_f32_e32 v[50:51], v4
	v_cvt_f64_f32_e32 v[4:5], v5
	;; [unrolled: 1-line block ×4, first 2 shown]
	v_addc_co_u32_e32 v21, vcc, 0, v21, vcc
	s_waitcnt vmcnt(3)
	v_cvt_f64_f32_e32 v[54:55], v30
	v_cvt_f64_f32_e32 v[30:31], v31
	;; [unrolled: 1-line block ×4, first 2 shown]
	v_cmp_eq_u32_e32 vcc, 0, v1
	s_or_b64 s[8:9], vcc, s[8:9]
	s_waitcnt vmcnt(1)
	v_fmac_f64_e32 v[24:25], v[46:47], v[38:39]
	v_fmac_f64_e32 v[22:23], v[26:27], v[38:39]
	;; [unrolled: 1-line block ×8, first 2 shown]
	s_waitcnt vmcnt(0)
	v_cvt_f64_f32_e32 v[58:59], v42
	v_cvt_f64_f32_e32 v[42:43], v43
	;; [unrolled: 1-line block ×4, first 2 shown]
	v_fmac_f64_e32 v[24:25], v[54:55], v[34:35]
	v_fmac_f64_e32 v[22:23], v[30:31], v[34:35]
	v_fmac_f64_e32 v[16:17], v[56:57], v[34:35]
	v_fmac_f64_e32 v[14:15], v[32:33], v[34:35]
	v_fmac_f64_e32 v[24:25], v[58:59], v[36:37]
	v_fmac_f64_e32 v[22:23], v[42:43], v[36:37]
	v_fmac_f64_e32 v[16:17], v[60:61], v[36:37]
	v_fmac_f64_e32 v[14:15], v[44:45], v[36:37]
	s_andn2_b64 exec, exec, s[8:9]
	s_cbranch_execnz .LBB154_29
; %bb.30:
	s_or_b64 exec, exec, s[8:9]
.LBB154_31:
	s_or_b64 exec, exec, s[0:1]
	s_movk_i32 s0, 0xbf
	v_cmp_lt_u32_e32 vcc, s0, v0
	s_and_saveexec_b64 s[8:9], vcc
	s_cbranch_execz .LBB154_35
; %bb.32:
	s_mov_b64 s[10:11], 0
	v_mov_b32_e32 v52, s13
	v_mov_b32_e32 v53, s7
	s_movk_i32 s7, 0x1000
	s_movk_i32 s13, 0x2000
	;; [unrolled: 1-line block ×3, first 2 shown]
.LBB154_33:                             ; =>This Inner Loop Header: Depth=1
	global_load_dwordx4 v[28:31], v[20:21], off
	global_load_dwordx4 v[32:35], v[20:21], off offset:16
	global_load_dwordx4 v[36:39], v[20:21], off offset:32
	v_ashrrev_i32_e32 v19, 31, v18
	v_add_co_u32_e32 v26, vcc, s13, v20
	v_addc_co_u32_e32 v27, vcc, 0, v21, vcc
	v_lshlrev_b64 v[48:49], 2, v[18:19]
	v_add_co_u32_e32 v48, vcc, s12, v48
	v_addc_co_u32_e32 v49, vcc, v52, v49, vcc
	global_load_dwordx4 v[40:43], v[20:21], off offset:48
	global_load_dwordx4 v[44:47], v[26:27], off offset:-4096
	global_load_dwordx4 v[4:7], v[26:27], off
	global_load_dwordx4 v[0:3], v[26:27], off offset:48
	v_add_u32_e32 v18, 0x100, v18
	v_cmp_ge_i32_e64 s[0:1], v18, v90
	s_or_b64 s[10:11], s[0:1], s[10:11]
	s_waitcnt vmcnt(6)
	v_cvt_f64_f32_e32 v[50:51], v28
	s_waitcnt vmcnt(5)
	v_cvt_f64_f32_e32 v[60:61], v32
	;; [unrolled: 2-line block ×3, first 2 shown]
	global_load_dword v38, v[48:49], off
	global_load_dword v91, v[48:49], off offset:256
	global_load_dword v96, v[48:49], off offset:512
	;; [unrolled: 1-line block ×3, first 2 shown]
	v_cvt_f64_f32_e32 v[72:73], v39
	v_cvt_f64_f32_e32 v[62:63], v33
	;; [unrolled: 1-line block ×9, first 2 shown]
	s_waitcnt vmcnt(7)
	v_cvt_f64_f32_e32 v[74:75], v40
	s_waitcnt vmcnt(6)
	v_cvt_f64_f32_e32 v[32:33], v46
	v_cvt_f64_f32_e32 v[36:37], v47
	;; [unrolled: 1-line block ×7, first 2 shown]
	s_waitcnt vmcnt(3)
	v_subrev_u32_e32 v38, s16, v38
	v_lshlrev_b32_e32 v38, 2, v38
	v_ashrrev_i32_e32 v39, 31, v38
	v_lshlrev_b64 v[38:39], 3, v[38:39]
	v_add_co_u32_e32 v46, vcc, s6, v38
	v_addc_co_u32_e32 v47, vcc, v53, v39, vcc
	global_load_dwordx4 v[38:41], v[46:47], off
	v_add_co_u32_e32 v48, vcc, s7, v20
	v_addc_co_u32_e32 v49, vcc, 0, v21, vcc
	global_load_dwordx4 v[42:45], v[48:49], off offset:16
	s_waitcnt vmcnt(2)
	v_subrev_u32_e32 v19, s16, v19
	s_waitcnt vmcnt(1)
	v_fmac_f64_e32 v[24:25], v[50:51], v[38:39]
	v_fmac_f64_e32 v[22:23], v[54:55], v[38:39]
	;; [unrolled: 1-line block ×8, first 2 shown]
	global_load_dwordx4 v[38:41], v[48:49], off offset:32
	s_waitcnt vmcnt(1)
	v_cvt_f64_f32_e32 v[54:55], v42
	v_cvt_f64_f32_e32 v[56:57], v43
	;; [unrolled: 1-line block ×6, first 2 shown]
	s_waitcnt vmcnt(0)
	v_cvt_f64_f32_e32 v[62:63], v38
	v_cvt_f64_f32_e32 v[64:65], v39
	;; [unrolled: 1-line block ×4, first 2 shown]
	global_load_dwordx4 v[38:41], v[48:49], off offset:48
	s_waitcnt vmcnt(0)
	v_cvt_f64_f32_e32 v[86:87], v38
	v_cvt_f64_f32_e32 v[88:89], v39
	;; [unrolled: 1-line block ×4, first 2 shown]
	global_load_dwordx4 v[38:41], v[46:47], off offset:16
	s_waitcnt vmcnt(0)
	v_fmac_f64_e32 v[24:25], v[66:67], v[38:39]
	v_fmac_f64_e32 v[22:23], v[68:69], v[38:39]
	;; [unrolled: 1-line block ×7, first 2 shown]
	v_cvt_f64_f32_e32 v[38:39], v4
	v_fmac_f64_e32 v[14:15], v[80:81], v[40:41]
	v_cvt_f64_f32_e32 v[40:41], v5
	global_load_dwordx4 v[4:7], v[26:27], off offset:16
	s_waitcnt vmcnt(0)
	v_cvt_f64_f32_e32 v[46:47], v4
	v_subrev_u32_e32 v4, s16, v91
	v_lshlrev_b32_e32 v4, 2, v4
	v_cvt_f64_f32_e32 v[48:49], v5
	v_ashrrev_i32_e32 v5, 31, v4
	v_lshlrev_b64 v[4:5], 3, v[4:5]
	v_add_co_u32_e32 v66, vcc, s6, v4
	v_addc_co_u32_e32 v67, vcc, v53, v5, vcc
	v_cvt_f64_f32_e32 v[50:51], v6
	v_cvt_f64_f32_e32 v[34:35], v7
	global_load_dwordx4 v[4:7], v[66:67], off
	s_waitcnt vmcnt(0)
	v_fmac_f64_e32 v[24:25], v[28:29], v[4:5]
	v_fmac_f64_e32 v[22:23], v[30:31], v[4:5]
	;; [unrolled: 1-line block ×4, first 2 shown]
	global_load_dwordx4 v[54:57], v[26:27], off offset:32
	v_fmac_f64_e32 v[14:15], v[36:37], v[4:5]
	v_add_co_u32_e32 v36, vcc, s14, v20
	v_fmac_f64_e32 v[16:17], v[32:33], v[4:5]
	v_addc_co_u32_e32 v37, vcc, 0, v21, vcc
	v_fmac_f64_e32 v[16:17], v[58:59], v[6:7]
	v_fmac_f64_e32 v[14:15], v[60:61], v[6:7]
	global_load_dwordx4 v[58:61], v[36:37], off
	v_cvt_f64_f32_e32 v[4:5], v0
	v_cvt_f64_f32_e32 v[0:1], v1
	;; [unrolled: 1-line block ×4, first 2 shown]
	s_waitcnt vmcnt(1)
	v_cvt_f64_f32_e32 v[28:29], v54
	v_cvt_f64_f32_e32 v[30:31], v55
	;; [unrolled: 1-line block ×4, first 2 shown]
	global_load_dwordx4 v[54:57], v[66:67], off offset:16
	s_waitcnt vmcnt(1)
	v_cvt_f64_f32_e32 v[66:67], v58
	v_cvt_f64_f32_e32 v[58:59], v59
	;; [unrolled: 1-line block ×4, first 2 shown]
	s_waitcnt vmcnt(0)
	v_fmac_f64_e32 v[24:25], v[62:63], v[54:55]
	v_fmac_f64_e32 v[22:23], v[64:65], v[54:55]
	;; [unrolled: 1-line block ×6, first 2 shown]
	global_load_dwordx4 v[62:65], v[36:37], off offset:16
	v_fmac_f64_e32 v[16:17], v[92:93], v[56:57]
	v_fmac_f64_e32 v[14:15], v[94:95], v[56:57]
	global_load_dwordx4 v[54:57], v[36:37], off offset:32
	s_waitcnt vmcnt(1)
	v_cvt_f64_f32_e32 v[70:71], v62
	v_cvt_f64_f32_e32 v[62:63], v63
	;; [unrolled: 1-line block ×3, first 2 shown]
	s_waitcnt vmcnt(0)
	v_cvt_f64_f32_e32 v[74:75], v54
	v_subrev_u32_e32 v54, s16, v96
	v_lshlrev_b32_e32 v54, 2, v54
	v_cvt_f64_f32_e32 v[76:77], v55
	v_ashrrev_i32_e32 v55, 31, v54
	v_lshlrev_b64 v[54:55], 3, v[54:55]
	v_add_co_u32_e32 v82, vcc, s6, v54
	v_addc_co_u32_e32 v83, vcc, v53, v55, vcc
	v_cvt_f64_f32_e32 v[78:79], v56
	v_cvt_f64_f32_e32 v[80:81], v57
	global_load_dwordx4 v[54:57], v[82:83], off
	v_cvt_f64_f32_e32 v[64:65], v65
	s_waitcnt vmcnt(0)
	v_fmac_f64_e32 v[24:25], v[38:39], v[54:55]
	global_load_dwordx4 v[36:39], v[36:37], off offset:48
	v_fmac_f64_e32 v[14:15], v[44:45], v[54:55]
	v_fmac_f64_e32 v[14:15], v[34:35], v[56:57]
	v_lshlrev_b32_e32 v34, 2, v19
	v_ashrrev_i32_e32 v35, 31, v34
	v_lshlrev_b64 v[34:35], 3, v[34:35]
	v_fmac_f64_e32 v[24:25], v[46:47], v[56:57]
	v_add_co_u32_e32 v46, vcc, s6, v34
	v_fmac_f64_e32 v[22:23], v[40:41], v[54:55]
	v_fmac_f64_e32 v[16:17], v[42:43], v[54:55]
	v_addc_co_u32_e32 v47, vcc, v53, v35, vcc
	v_fmac_f64_e32 v[22:23], v[48:49], v[56:57]
	v_fmac_f64_e32 v[16:17], v[50:51], v[56:57]
	v_add_co_u32_e32 v20, vcc, 0x4000, v20
	v_addc_co_u32_e32 v21, vcc, 0, v21, vcc
	s_waitcnt vmcnt(0)
	v_cvt_f64_f32_e32 v[40:41], v36
	v_cvt_f64_f32_e32 v[42:43], v37
	global_load_dwordx4 v[34:37], v[82:83], off offset:16
	v_cvt_f64_f32_e32 v[44:45], v38
	v_cvt_f64_f32_e32 v[38:39], v39
	s_waitcnt vmcnt(0)
	v_fmac_f64_e32 v[24:25], v[28:29], v[34:35]
	v_fmac_f64_e32 v[22:23], v[30:31], v[34:35]
	global_load_dwordx4 v[28:31], v[46:47], off
	v_fmac_f64_e32 v[16:17], v[32:33], v[34:35]
	v_fmac_f64_e32 v[14:15], v[26:27], v[34:35]
	global_load_dwordx4 v[32:35], v[46:47], off offset:16
	v_fmac_f64_e32 v[24:25], v[4:5], v[36:37]
	v_fmac_f64_e32 v[22:23], v[0:1], v[36:37]
	;; [unrolled: 1-line block ×4, first 2 shown]
	s_waitcnt vmcnt(1)
	v_fmac_f64_e32 v[24:25], v[66:67], v[28:29]
	v_fmac_f64_e32 v[22:23], v[58:59], v[28:29]
	;; [unrolled: 1-line block ×8, first 2 shown]
	s_waitcnt vmcnt(0)
	v_fmac_f64_e32 v[24:25], v[74:75], v[32:33]
	v_fmac_f64_e32 v[22:23], v[76:77], v[32:33]
	;; [unrolled: 1-line block ×8, first 2 shown]
	s_andn2_b64 exec, exec, s[10:11]
	s_cbranch_execnz .LBB154_33
; %bb.34:
	s_or_b64 exec, exec, s[10:11]
.LBB154_35:
	s_or_b64 exec, exec, s[8:9]
.LBB154_36:
	s_or_b64 exec, exec, s[2:3]
.LBB154_37:
	v_mov_b32_dpp v0, v24 row_shr:1 row_mask:0xf bank_mask:0xf
	v_mov_b32_dpp v1, v25 row_shr:1 row_mask:0xf bank_mask:0xf
	v_mov_b32_dpp v4, v22 row_shr:1 row_mask:0xf bank_mask:0xf
	v_mov_b32_dpp v5, v23 row_shr:1 row_mask:0xf bank_mask:0xf
	v_mov_b32_dpp v18, v16 row_shr:1 row_mask:0xf bank_mask:0xf
	v_mov_b32_dpp v19, v17 row_shr:1 row_mask:0xf bank_mask:0xf
	v_mov_b32_dpp v20, v14 row_shr:1 row_mask:0xf bank_mask:0xf
	v_mov_b32_dpp v21, v15 row_shr:1 row_mask:0xf bank_mask:0xf
	v_add_f64 v[0:1], v[24:25], v[0:1]
	v_add_f64 v[4:5], v[22:23], v[4:5]
	v_add_f64 v[16:17], v[16:17], v[18:19]
	v_add_f64 v[14:15], v[14:15], v[20:21]
	v_mov_b32_dpp v2, v0 row_shr:2 row_mask:0xf bank_mask:0xf
	v_mov_b32_dpp v3, v1 row_shr:2 row_mask:0xf bank_mask:0xf
	v_mov_b32_dpp v6, v4 row_shr:2 row_mask:0xf bank_mask:0xf
	v_mov_b32_dpp v7, v5 row_shr:2 row_mask:0xf bank_mask:0xf
	v_mov_b32_dpp v18, v16 row_shr:2 row_mask:0xf bank_mask:0xf
	v_mov_b32_dpp v19, v17 row_shr:2 row_mask:0xf bank_mask:0xf
	v_mov_b32_dpp v20, v14 row_shr:2 row_mask:0xf bank_mask:0xf
	v_mov_b32_dpp v21, v15 row_shr:2 row_mask:0xf bank_mask:0xf
	v_add_f64 v[0:1], v[0:1], v[2:3]
	v_add_f64 v[4:5], v[4:5], v[6:7]
	v_add_f64 v[16:17], v[16:17], v[18:19]
	v_add_f64 v[14:15], v[14:15], v[20:21]
	;; [unrolled: 12-line block ×4, first 2 shown]
	v_mov_b32_dpp v2, v0 row_bcast:15 row_mask:0xa bank_mask:0xf
	v_mov_b32_dpp v3, v1 row_bcast:15 row_mask:0xa bank_mask:0xf
	;; [unrolled: 1-line block ×8, first 2 shown]
	v_add_f64 v[0:1], v[0:1], v[2:3]
	v_add_f64 v[4:5], v[4:5], v[6:7]
	;; [unrolled: 1-line block ×4, first 2 shown]
	v_mov_b32_dpp v2, v0 row_bcast:31 row_mask:0xc bank_mask:0xf
	v_mov_b32_dpp v3, v1 row_bcast:31 row_mask:0xc bank_mask:0xf
	;; [unrolled: 1-line block ×8, first 2 shown]
	v_cmp_eq_u32_e32 vcc, 63, v13
	s_and_b64 exec, exec, vcc
	s_cbranch_execz .LBB154_10
; %bb.38:
	s_load_dwordx2 s[0:1], s[4:5], 0x50
	v_add_f64 v[0:1], v[0:1], v[2:3]
	v_add_f64 v[2:3], v[4:5], v[6:7]
	;; [unrolled: 1-line block ×4, first 2 shown]
	v_cmp_eq_f64_e32 vcc, 0, v[8:9]
	v_mul_f64 v[4:5], v[10:11], v[0:1]
	v_mul_f64 v[6:7], v[10:11], v[2:3]
	;; [unrolled: 1-line block ×4, first 2 shown]
	v_lshlrev_b32_e32 v10, 2, v12
	s_and_saveexec_b64 s[2:3], vcc
	s_xor_b64 s[2:3], exec, s[2:3]
	s_cbranch_execz .LBB154_40
; %bb.39:
	v_ashrrev_i32_e32 v11, 31, v10
	v_lshlrev_b64 v[8:9], 3, v[10:11]
	s_waitcnt lgkmcnt(0)
	v_mov_b32_e32 v10, s1
	v_add_co_u32_e32 v8, vcc, s0, v8
	v_addc_co_u32_e32 v9, vcc, v10, v9, vcc
	global_store_dwordx4 v[8:9], v[4:7], off
	global_store_dwordx4 v[8:9], v[0:3], off offset:16
                                        ; implicit-def: $vgpr10
                                        ; implicit-def: $vgpr8_vgpr9
                                        ; implicit-def: $vgpr4_vgpr5
                                        ; implicit-def: $vgpr0_vgpr1
.LBB154_40:
	s_andn2_saveexec_b64 s[2:3], s[2:3]
	s_cbranch_execz .LBB154_10
; %bb.41:
	v_ashrrev_i32_e32 v11, 31, v10
	v_lshlrev_b64 v[10:11], 3, v[10:11]
	s_waitcnt lgkmcnt(0)
	v_mov_b32_e32 v12, s1
	v_add_co_u32_e32 v18, vcc, s0, v10
	v_addc_co_u32_e32 v19, vcc, v12, v11, vcc
	global_load_dwordx4 v[10:13], v[18:19], off
	global_load_dwordx4 v[14:17], v[18:19], off offset:16
	s_waitcnt vmcnt(1)
	v_fmac_f64_e32 v[4:5], v[8:9], v[10:11]
	v_fmac_f64_e32 v[6:7], v[8:9], v[12:13]
	s_waitcnt vmcnt(0)
	v_fmac_f64_e32 v[0:1], v[8:9], v[14:15]
	v_fmac_f64_e32 v[2:3], v[8:9], v[16:17]
	global_store_dwordx4 v[18:19], v[4:7], off
	global_store_dwordx4 v[18:19], v[0:3], off offset:16
	s_endpgm
	.section	.rodata,"a",@progbits
	.p2align	6, 0x0
	.amdhsa_kernel _ZN9rocsparseL18bsrxmvn_4x4_kernelILj128ELj64EdiifddEEvT3_20rocsparse_direction_NS_24const_host_device_scalarIT1_EES1_PKS1_PKT2_SA_S7_PKT4_PKT5_S5_PT6_21rocsparse_index_base_b
		.amdhsa_group_segment_fixed_size 0
		.amdhsa_private_segment_fixed_size 0
		.amdhsa_kernarg_size 96
		.amdhsa_user_sgpr_count 6
		.amdhsa_user_sgpr_private_segment_buffer 1
		.amdhsa_user_sgpr_dispatch_ptr 0
		.amdhsa_user_sgpr_queue_ptr 0
		.amdhsa_user_sgpr_kernarg_segment_ptr 1
		.amdhsa_user_sgpr_dispatch_id 0
		.amdhsa_user_sgpr_flat_scratch_init 0
		.amdhsa_user_sgpr_kernarg_preload_length 0
		.amdhsa_user_sgpr_kernarg_preload_offset 0
		.amdhsa_user_sgpr_private_segment_size 0
		.amdhsa_uses_dynamic_stack 0
		.amdhsa_system_sgpr_private_segment_wavefront_offset 0
		.amdhsa_system_sgpr_workgroup_id_x 1
		.amdhsa_system_sgpr_workgroup_id_y 0
		.amdhsa_system_sgpr_workgroup_id_z 0
		.amdhsa_system_sgpr_workgroup_info 0
		.amdhsa_system_vgpr_workitem_id 0
		.amdhsa_next_free_vgpr 120
		.amdhsa_next_free_sgpr 22
		.amdhsa_accum_offset 120
		.amdhsa_reserve_vcc 1
		.amdhsa_reserve_flat_scratch 0
		.amdhsa_float_round_mode_32 0
		.amdhsa_float_round_mode_16_64 0
		.amdhsa_float_denorm_mode_32 3
		.amdhsa_float_denorm_mode_16_64 3
		.amdhsa_dx10_clamp 1
		.amdhsa_ieee_mode 1
		.amdhsa_fp16_overflow 0
		.amdhsa_tg_split 0
		.amdhsa_exception_fp_ieee_invalid_op 0
		.amdhsa_exception_fp_denorm_src 0
		.amdhsa_exception_fp_ieee_div_zero 0
		.amdhsa_exception_fp_ieee_overflow 0
		.amdhsa_exception_fp_ieee_underflow 0
		.amdhsa_exception_fp_ieee_inexact 0
		.amdhsa_exception_int_div_zero 0
	.end_amdhsa_kernel
	.section	.text._ZN9rocsparseL18bsrxmvn_4x4_kernelILj128ELj64EdiifddEEvT3_20rocsparse_direction_NS_24const_host_device_scalarIT1_EES1_PKS1_PKT2_SA_S7_PKT4_PKT5_S5_PT6_21rocsparse_index_base_b,"axG",@progbits,_ZN9rocsparseL18bsrxmvn_4x4_kernelILj128ELj64EdiifddEEvT3_20rocsparse_direction_NS_24const_host_device_scalarIT1_EES1_PKS1_PKT2_SA_S7_PKT4_PKT5_S5_PT6_21rocsparse_index_base_b,comdat
.Lfunc_end154:
	.size	_ZN9rocsparseL18bsrxmvn_4x4_kernelILj128ELj64EdiifddEEvT3_20rocsparse_direction_NS_24const_host_device_scalarIT1_EES1_PKS1_PKT2_SA_S7_PKT4_PKT5_S5_PT6_21rocsparse_index_base_b, .Lfunc_end154-_ZN9rocsparseL18bsrxmvn_4x4_kernelILj128ELj64EdiifddEEvT3_20rocsparse_direction_NS_24const_host_device_scalarIT1_EES1_PKS1_PKT2_SA_S7_PKT4_PKT5_S5_PT6_21rocsparse_index_base_b
                                        ; -- End function
	.section	.AMDGPU.csdata,"",@progbits
; Kernel info:
; codeLenInByte = 4424
; NumSgprs: 26
; NumVgprs: 120
; NumAgprs: 0
; TotalNumVgprs: 120
; ScratchSize: 0
; MemoryBound: 0
; FloatMode: 240
; IeeeMode: 1
; LDSByteSize: 0 bytes/workgroup (compile time only)
; SGPRBlocks: 3
; VGPRBlocks: 14
; NumSGPRsForWavesPerEU: 26
; NumVGPRsForWavesPerEU: 120
; AccumOffset: 120
; Occupancy: 4
; WaveLimiterHint : 1
; COMPUTE_PGM_RSRC2:SCRATCH_EN: 0
; COMPUTE_PGM_RSRC2:USER_SGPR: 6
; COMPUTE_PGM_RSRC2:TRAP_HANDLER: 0
; COMPUTE_PGM_RSRC2:TGID_X_EN: 1
; COMPUTE_PGM_RSRC2:TGID_Y_EN: 0
; COMPUTE_PGM_RSRC2:TGID_Z_EN: 0
; COMPUTE_PGM_RSRC2:TIDIG_COMP_CNT: 0
; COMPUTE_PGM_RSRC3_GFX90A:ACCUM_OFFSET: 29
; COMPUTE_PGM_RSRC3_GFX90A:TG_SPLIT: 0
	.section	.text._ZN9rocsparseL18bsrxmvn_4x4_kernelILj128ELj4EdlifddEEvT3_20rocsparse_direction_NS_24const_host_device_scalarIT1_EES1_PKS1_PKT2_SA_S7_PKT4_PKT5_S5_PT6_21rocsparse_index_base_b,"axG",@progbits,_ZN9rocsparseL18bsrxmvn_4x4_kernelILj128ELj4EdlifddEEvT3_20rocsparse_direction_NS_24const_host_device_scalarIT1_EES1_PKS1_PKT2_SA_S7_PKT4_PKT5_S5_PT6_21rocsparse_index_base_b,comdat
	.globl	_ZN9rocsparseL18bsrxmvn_4x4_kernelILj128ELj4EdlifddEEvT3_20rocsparse_direction_NS_24const_host_device_scalarIT1_EES1_PKS1_PKT2_SA_S7_PKT4_PKT5_S5_PT6_21rocsparse_index_base_b ; -- Begin function _ZN9rocsparseL18bsrxmvn_4x4_kernelILj128ELj4EdlifddEEvT3_20rocsparse_direction_NS_24const_host_device_scalarIT1_EES1_PKS1_PKT2_SA_S7_PKT4_PKT5_S5_PT6_21rocsparse_index_base_b
	.p2align	8
	.type	_ZN9rocsparseL18bsrxmvn_4x4_kernelILj128ELj4EdlifddEEvT3_20rocsparse_direction_NS_24const_host_device_scalarIT1_EES1_PKS1_PKT2_SA_S7_PKT4_PKT5_S5_PT6_21rocsparse_index_base_b,@function
_ZN9rocsparseL18bsrxmvn_4x4_kernelILj128ELj4EdlifddEEvT3_20rocsparse_direction_NS_24const_host_device_scalarIT1_EES1_PKS1_PKT2_SA_S7_PKT4_PKT5_S5_PT6_21rocsparse_index_base_b: ; @_ZN9rocsparseL18bsrxmvn_4x4_kernelILj128ELj4EdlifddEEvT3_20rocsparse_direction_NS_24const_host_device_scalarIT1_EES1_PKS1_PKT2_SA_S7_PKT4_PKT5_S5_PT6_21rocsparse_index_base_b
; %bb.0:
	s_load_dwordx2 s[16:17], s[4:5], 0x58
	s_load_dwordx2 s[8:9], s[4:5], 0x8
	;; [unrolled: 1-line block ×3, first 2 shown]
	s_waitcnt lgkmcnt(0)
	s_bitcmp1_b32 s17, 0
	s_cselect_b64 s[10:11], -1, 0
	s_xor_b64 s[2:3], s[10:11], -1
	s_and_b64 vcc, exec, s[10:11]
	v_pk_mov_b32 v[2:3], s[8:9], s[8:9] op_sel:[0,1]
	s_cbranch_vccnz .LBB155_2
; %bb.1:
	v_pk_mov_b32 v[2:3], s[8:9], s[8:9] op_sel:[0,1]
	flat_load_dwordx2 v[2:3], v[2:3]
.LBB155_2:
	s_andn2_b64 vcc, exec, s[2:3]
	v_pk_mov_b32 v[8:9], s[0:1], s[0:1] op_sel:[0,1]
	s_cbranch_vccnz .LBB155_4
; %bb.3:
	v_pk_mov_b32 v[4:5], s[0:1], s[0:1] op_sel:[0,1]
	flat_load_dwordx2 v[8:9], v[4:5]
.LBB155_4:
	s_waitcnt vmcnt(0) lgkmcnt(0)
	v_cmp_neq_f64_e32 vcc, 0, v[2:3]
	v_cmp_neq_f64_e64 s[0:1], 1.0, v[8:9]
	s_mov_b64 s[2:3], 0
	s_or_b64 s[0:1], vcc, s[0:1]
	s_and_saveexec_b64 s[8:9], s[0:1]
	s_cbranch_execz .LBB155_10
; %bb.5:
	s_load_dwordx2 s[8:9], s[4:5], 0x18
	s_load_dwordx2 s[0:1], s[4:5], 0x0
	v_lshrrev_b32_e32 v1, 2, v0
	v_lshl_or_b32 v10, s6, 5, v1
	s_mov_b64 s[6:7], 0
	s_waitcnt lgkmcnt(0)
	s_cmp_lg_u64 s[8:9], 0
	s_cbranch_scc0 .LBB155_11
; %bb.6:
	s_load_dword s2, s[4:5], 0x10
                                        ; implicit-def: $vgpr1
	s_waitcnt lgkmcnt(0)
	v_cmp_gt_i32_e32 vcc, s2, v10
	s_and_saveexec_b64 s[2:3], vcc
	s_xor_b64 s[2:3], exec, s[2:3]
	s_cbranch_execz .LBB155_8
; %bb.7:
	v_ashrrev_i32_e32 v11, 31, v10
	v_lshlrev_b64 v[4:5], 2, v[10:11]
	v_mov_b32_e32 v1, s9
	v_add_co_u32_e32 v4, vcc, s8, v4
	v_addc_co_u32_e32 v5, vcc, v1, v5, vcc
	global_load_dword v1, v[4:5], off
	s_mov_b64 s[6:7], exec
	s_waitcnt vmcnt(0)
	v_subrev_u32_e32 v1, s16, v1
.LBB155_8:
	s_or_b64 exec, exec, s[2:3]
	s_mov_b64 s[2:3], s[6:7]
	s_branch .LBB155_12
.LBB155_9:
	v_cmp_gt_i32_e32 vcc, s0, v10
	s_andn2_b64 s[2:3], s[2:3], exec
	s_and_b64 s[6:7], vcc, exec
	s_or_b64 s[2:3], s[2:3], s[6:7]
	s_and_b64 exec, exec, s[2:3]
	s_cbranch_execnz .LBB155_13
.LBB155_10:
	s_endpgm
.LBB155_11:
                                        ; implicit-def: $vgpr1
	s_cbranch_execnz .LBB155_9
.LBB155_12:
	v_mov_b32_e32 v10, v1
	s_and_b64 exec, exec, s[2:3]
	s_cbranch_execz .LBB155_10
.LBB155_13:
	s_load_dwordx8 s[8:15], s[4:5], 0x20
	v_ashrrev_i32_e32 v11, 31, v10
	v_lshlrev_b64 v[4:5], 3, v[10:11]
	v_and_b32_e32 v0, 3, v0
	s_mov_b32 s17, 0
	s_waitcnt lgkmcnt(0)
	v_mov_b32_e32 v1, s9
	v_add_co_u32_e32 v6, vcc, s8, v4
	v_addc_co_u32_e32 v7, vcc, v1, v5, vcc
	v_add_co_u32_e32 v1, vcc, 8, v6
	global_load_dwordx2 v[22:23], v[6:7], off
	v_addc_co_u32_e32 v6, vcc, 0, v7, vcc
	v_mov_b32_e32 v7, s11
	v_add_co_u32_e32 v4, vcc, s10, v4
	s_cmp_eq_u64 s[10:11], 0
	v_addc_co_u32_e32 v5, vcc, v7, v5, vcc
	s_cselect_b64 vcc, -1, 0
	v_cndmask_b32_e32 v5, v5, v6, vcc
	v_cndmask_b32_e32 v4, v4, v1, vcc
	global_load_dwordx2 v[6:7], v[4:5], off
	s_load_dwordx2 s[8:9], s[4:5], 0x40
	v_mov_b32_e32 v1, s15
	s_cmp_eq_u32 s1, 1
	s_waitcnt vmcnt(1)
	v_subrev_co_u32_e32 v4, vcc, s16, v22
	v_subbrev_co_u32_e32 v5, vcc, 0, v23, vcc
	v_add_co_u32_e32 v4, vcc, v4, v0
	v_addc_co_u32_e32 v5, vcc, 0, v5, vcc
	v_lshlrev_b64 v[12:13], 6, v[4:5]
	s_waitcnt vmcnt(0)
	v_subrev_co_u32_e32 v6, vcc, s16, v6
	v_subbrev_co_u32_e32 v7, vcc, 0, v7, vcc
	v_add_co_u32_e32 v12, vcc, s14, v12
	v_addc_co_u32_e32 v13, vcc, v1, v13, vcc
	v_cmp_lt_i64_e64 s[0:1], v[4:5], v[6:7]
	s_cbranch_scc1 .LBB155_25
; %bb.14:
	v_pk_mov_b32 v[14:15], 0, 0
	s_mov_b64 s[10:11], 0
	v_pk_mov_b32 v[16:17], v[14:15], v[14:15] op_sel:[0,1]
	v_pk_mov_b32 v[18:19], v[14:15], v[14:15] op_sel:[0,1]
	v_pk_mov_b32 v[20:21], v[14:15], v[14:15] op_sel:[0,1]
	s_and_saveexec_b64 s[14:15], s[0:1]
	s_cbranch_execz .LBB155_24
; %bb.15:
	v_or_b32_e32 v1, 4, v0
	v_mov_b32_e32 v11, s17
	v_subrev_co_u32_e32 v1, vcc, s16, v1
	v_subb_co_u32_e32 v11, vcc, 0, v11, vcc
	v_add_co_u32_e32 v14, vcc, v1, v22
	v_addc_co_u32_e32 v15, vcc, v11, v23, vcc
	v_cmp_gt_i64_e32 vcc, v[14:15], v[6:7]
	v_cndmask_b32_e32 v1, v7, v15, vcc
	v_cndmask_b32_e32 v11, v6, v14, vcc
	v_mov_b32_e32 v16, s17
	v_sub_co_u32_e32 v17, vcc, s16, v0
	v_not_b32_e32 v15, v22
	v_subbrev_co_u32_e32 v16, vcc, 0, v16, vcc
	v_not_b32_e32 v14, v23
	v_add_co_u32_e32 v15, vcc, v17, v15
	v_addc_co_u32_e32 v14, vcc, v16, v14, vcc
	v_add_co_u32_e32 v28, vcc, v15, v11
	v_addc_co_u32_e32 v29, vcc, v14, v1, vcc
	v_lshrrev_b32_e32 v1, 2, v28
	v_add_u32_e32 v1, 1, v1
	v_and_b32_e32 v1, 3, v1
	v_pk_mov_b32 v[20:21], 0, 0
	v_cmp_ne_u32_e32 vcc, 0, v1
	s_mov_b64 s[18:19], 0
	v_pk_mov_b32 v[18:19], v[20:21], v[20:21] op_sel:[0,1]
	v_pk_mov_b32 v[16:17], v[20:21], v[20:21] op_sel:[0,1]
	;; [unrolled: 1-line block ×5, first 2 shown]
	s_and_saveexec_b64 s[6:7], vcc
	s_cbranch_execz .LBB155_19
; %bb.16:
	v_lshlrev_b64 v[14:15], 2, v[4:5]
	v_mov_b32_e32 v11, s13
	v_add_co_u32_e32 v32, vcc, s12, v14
	v_addc_co_u32_e32 v33, vcc, v11, v15, vcc
	v_pk_mov_b32 v[14:15], 0, 0
	v_mov_b32_e32 v31, 0
	v_lshlrev_b32_e32 v30, 4, v1
	s_movk_i32 s20, 0x100
	s_waitcnt lgkmcnt(0)
	v_mov_b32_e32 v1, s9
	v_pk_mov_b32 v[26:27], v[12:13], v[12:13] op_sel:[0,1]
	v_pk_mov_b32 v[24:25], v[4:5], v[4:5] op_sel:[0,1]
	;; [unrolled: 1-line block ×5, first 2 shown]
.LBB155_17:                             ; =>This Inner Loop Header: Depth=1
	global_load_dword v11, v[32:33], off
	global_load_dwordx4 v[34:37], v[26:27], off
	global_load_dwordx4 v[38:41], v[26:27], off offset:16
	global_load_dwordx4 v[42:45], v[26:27], off offset:48
	;; [unrolled: 1-line block ×3, first 2 shown]
	v_add_co_u32_e64 v24, s[2:3], 4, v24
	v_addc_co_u32_e64 v25, s[2:3], 0, v25, s[2:3]
	v_add_co_u32_e64 v32, s[2:3], 16, v32
	v_addc_co_u32_e64 v33, s[2:3], 0, v33, s[2:3]
	v_add_co_u32_e64 v30, s[2:3], -16, v30
	v_addc_co_u32_e64 v31, s[2:3], -1, v31, s[2:3]
	s_waitcnt vmcnt(4)
	v_subrev_u32_e32 v11, s16, v11
	v_lshlrev_b32_e32 v50, 2, v11
	v_ashrrev_i32_e32 v51, 31, v50
	v_lshlrev_b64 v[50:51], 3, v[50:51]
	v_add_co_u32_e32 v58, vcc, s8, v50
	v_addc_co_u32_e32 v59, vcc, v1, v51, vcc
	global_load_dwordx4 v[50:53], v[58:59], off
	global_load_dwordx4 v[54:57], v[58:59], off offset:16
	s_waitcnt vmcnt(5)
	v_cvt_f64_f32_e32 v[58:59], v34
	s_waitcnt vmcnt(4)
	v_cvt_f64_f32_e32 v[62:63], v38
	;; [unrolled: 2-line block ×3, first 2 shown]
	v_cvt_f64_f32_e32 v[70:71], v42
	v_add_co_u32_e32 v26, vcc, s20, v26
	v_cvt_f64_f32_e32 v[34:35], v35
	v_cvt_f64_f32_e32 v[38:39], v39
	;; [unrolled: 1-line block ×4, first 2 shown]
	v_addc_co_u32_e32 v27, vcc, 0, v27, vcc
	v_cvt_f64_f32_e32 v[60:61], v36
	v_cvt_f64_f32_e32 v[64:65], v40
	;; [unrolled: 1-line block ×4, first 2 shown]
	v_cmp_eq_u64_e32 vcc, 0, v[30:31]
	v_cvt_f64_f32_e32 v[36:37], v37
	v_cvt_f64_f32_e32 v[40:41], v41
	;; [unrolled: 1-line block ×4, first 2 shown]
	s_or_b64 s[18:19], vcc, s[18:19]
	s_waitcnt vmcnt(1)
	v_fmac_f64_e32 v[20:21], v[58:59], v[50:51]
	v_fmac_f64_e32 v[18:19], v[62:63], v[50:51]
	;; [unrolled: 1-line block ×8, first 2 shown]
	s_waitcnt vmcnt(0)
	v_fmac_f64_e32 v[20:21], v[60:61], v[54:55]
	v_fmac_f64_e32 v[18:19], v[64:65], v[54:55]
	;; [unrolled: 1-line block ×8, first 2 shown]
	s_andn2_b64 exec, exec, s[18:19]
	s_cbranch_execnz .LBB155_17
; %bb.18:
	s_or_b64 exec, exec, s[18:19]
.LBB155_19:
	s_or_b64 exec, exec, s[6:7]
	v_cmp_lt_u64_e32 vcc, 11, v[28:29]
	s_and_saveexec_b64 s[18:19], vcc
	s_cbranch_execz .LBB155_23
; %bb.20:
	v_lshlrev_b64 v[28:29], 2, v[24:25]
	v_mov_b32_e32 v1, s13
	v_add_co_u32_e32 v11, vcc, s12, v28
	v_addc_co_u32_e32 v1, vcc, v29, v1, vcc
	v_add_co_u32_e32 v28, vcc, 32, v11
	v_addc_co_u32_e32 v29, vcc, 0, v1, vcc
	s_mov_b64 s[20:21], 0
	s_waitcnt lgkmcnt(0)
	v_mov_b32_e32 v1, s9
	s_movk_i32 s22, 0x400
.LBB155_21:                             ; =>This Inner Loop Header: Depth=1
	global_load_dwordx4 v[30:33], v[26:27], off
	global_load_dwordx4 v[34:37], v[26:27], off offset:16
	global_load_dwordx4 v[38:41], v[26:27], off offset:32
	global_load_dwordx4 v[42:45], v[26:27], off offset:48
	global_load_dwordx4 v[46:49], v[26:27], off offset:256
	global_load_dwordx4 v[78:81], v[26:27], off offset:272
	global_load_dwordx4 v[82:85], v[26:27], off offset:288
	global_load_dwordx4 v[102:105], v[26:27], off offset:304
	global_load_dword v11, v[28:29], off offset:-32
	v_add_co_u32_e64 v24, s[2:3], 16, v24
	v_addc_co_u32_e64 v25, s[2:3], 0, v25, s[2:3]
	s_waitcnt vmcnt(8)
	v_cvt_f64_f32_e32 v[54:55], v30
	s_waitcnt vmcnt(7)
	v_cvt_f64_f32_e32 v[72:73], v36
	;; [unrolled: 2-line block ×3, first 2 shown]
	v_cvt_f64_f32_e32 v[50:51], v41
	s_waitcnt vmcnt(5)
	v_cvt_f64_f32_e32 v[116:117], v42
	v_cvt_f64_f32_e32 v[118:119], v43
	global_load_dwordx4 v[40:43], v[26:27], off offset:512
	v_cvt_f64_f32_e32 v[112:113], v38
	s_waitcnt vmcnt(1)
	v_subrev_u32_e32 v11, s16, v11
	v_cvt_f64_f32_e32 v[114:115], v39
	v_cvt_f64_f32_e32 v[86:87], v44
	;; [unrolled: 1-line block ×5, first 2 shown]
	global_load_dwordx4 v[44:47], v[26:27], off offset:528
	v_cvt_f64_f32_e32 v[66:67], v37
	v_cvt_f64_f32_e32 v[106:107], v31
	;; [unrolled: 1-line block ×14, first 2 shown]
	global_load_dwordx4 v[102:105], v[26:27], off offset:544
	v_cvt_f64_f32_e32 v[60:61], v48
	v_cvt_f64_f32_e32 v[52:53], v49
	v_cvt_f64_f32_e32 v[98:99], v82
	v_cvt_f64_f32_e32 v[96:97], v83
	v_cvt_f64_f32_e32 v[74:75], v84
	v_cvt_f64_f32_e32 v[68:69], v85
	s_waitcnt vmcnt(2)
	v_cvt_f64_f32_e32 v[38:39], v40
	v_lshlrev_b32_e32 v40, 2, v11
	v_cvt_f64_f32_e32 v[36:37], v41
	v_ashrrev_i32_e32 v41, 31, v40
	v_lshlrev_b64 v[40:41], 3, v[40:41]
	v_add_co_u32_e32 v120, vcc, s8, v40
	v_addc_co_u32_e32 v121, vcc, v1, v41, vcc
	v_cvt_f64_f32_e32 v[32:33], v42
	v_cvt_f64_f32_e32 v[30:31], v43
	global_load_dwordx4 v[40:43], v[120:121], off
	s_waitcnt vmcnt(2)
	v_cvt_f64_f32_e32 v[82:83], v44
	global_load_dword v11, v[28:29], off offset:-16
	s_waitcnt vmcnt(2)
	v_cvt_f64_f32_e32 v[84:85], v102
	v_cvt_f64_f32_e32 v[48:49], v103
	s_waitcnt vmcnt(1)
	v_fmac_f64_e32 v[20:21], v[54:55], v[40:41]
	v_fmac_f64_e32 v[18:19], v[108:109], v[40:41]
	;; [unrolled: 1-line block ×8, first 2 shown]
	v_cvt_f64_f32_e32 v[54:55], v45
	v_cvt_f64_f32_e32 v[42:43], v46
	;; [unrolled: 1-line block ×5, first 2 shown]
	global_load_dwordx4 v[102:105], v[120:121], off offset:16
	s_waitcnt vmcnt(1)
	v_subrev_u32_e32 v11, s16, v11
	s_waitcnt vmcnt(0)
	v_fmac_f64_e32 v[20:21], v[64:65], v[102:103]
	v_fmac_f64_e32 v[18:19], v[72:73], v[102:103]
	;; [unrolled: 1-line block ×6, first 2 shown]
	global_load_dwordx4 v[64:67], v[26:27], off offset:560
	v_fmac_f64_e32 v[16:17], v[50:51], v[104:105]
	v_fmac_f64_e32 v[14:15], v[56:57], v[104:105]
	global_load_dwordx4 v[102:105], v[26:27], off offset:768
	s_waitcnt vmcnt(1)
	v_cvt_f64_f32_e32 v[56:57], v66
	v_cvt_f64_f32_e32 v[50:51], v67
	;; [unrolled: 1-line block ×3, first 2 shown]
	s_waitcnt vmcnt(0)
	v_cvt_f64_f32_e32 v[76:77], v102
	v_lshlrev_b32_e32 v102, 2, v11
	v_cvt_f64_f32_e32 v[72:73], v103
	v_ashrrev_i32_e32 v103, 31, v102
	v_lshlrev_b64 v[102:103], 3, v[102:103]
	v_add_co_u32_e32 v106, vcc, s8, v102
	v_addc_co_u32_e32 v107, vcc, v1, v103, vcc
	v_cvt_f64_f32_e32 v[66:67], v104
	v_cvt_f64_f32_e32 v[58:59], v105
	global_load_dwordx4 v[102:105], v[106:107], off
	global_load_dword v11, v[28:29], off
	v_cvt_f64_f32_e32 v[64:65], v65
	s_waitcnt vmcnt(1)
	v_fmac_f64_e32 v[20:21], v[90:91], v[102:103]
	v_fmac_f64_e32 v[18:19], v[94:95], v[102:103]
	;; [unrolled: 1-line block ×7, first 2 shown]
	global_load_dwordx4 v[88:91], v[26:27], off offset:784
	v_fmac_f64_e32 v[14:15], v[80:81], v[104:105]
	global_load_dwordx4 v[102:105], v[26:27], off offset:800
	s_waitcnt vmcnt(2)
	v_subrev_u32_e32 v11, s16, v11
	s_waitcnt vmcnt(1)
	v_cvt_f64_f32_e32 v[96:97], v88
	v_cvt_f64_f32_e32 v[92:93], v89
	;; [unrolled: 1-line block ×4, first 2 shown]
	s_waitcnt vmcnt(0)
	v_cvt_f64_f32_e32 v[100:101], v102
	v_cvt_f64_f32_e32 v[98:99], v103
	;; [unrolled: 1-line block ×4, first 2 shown]
	global_load_dwordx4 v[102:105], v[106:107], off offset:16
	s_waitcnt vmcnt(0)
	v_fmac_f64_e32 v[18:19], v[70:71], v[102:103]
	v_fmac_f64_e32 v[20:21], v[60:61], v[102:103]
	;; [unrolled: 1-line block ×3, first 2 shown]
	global_load_dwordx4 v[60:63], v[26:27], off offset:816
	v_fmac_f64_e32 v[14:15], v[78:79], v[102:103]
	v_fmac_f64_e32 v[14:15], v[34:35], v[104:105]
	v_lshlrev_b32_e32 v34, 2, v11
	global_load_dword v11, v[28:29], off offset:16
	v_ashrrev_i32_e32 v35, 31, v34
	v_lshlrev_b64 v[34:35], 3, v[34:35]
	v_add_co_u32_e32 v34, vcc, s8, v34
	v_fmac_f64_e32 v[16:17], v[74:75], v[102:103]
	v_addc_co_u32_e32 v35, vcc, v1, v35, vcc
	v_fmac_f64_e32 v[20:21], v[52:53], v[104:105]
	v_fmac_f64_e32 v[16:17], v[68:69], v[104:105]
	v_add_co_u32_e64 v28, s[6:7], 64, v28
	v_addc_co_u32_e64 v29, s[2:3], 0, v29, s[6:7]
	global_load_dwordx4 v[68:71], v[34:35], off offset:16
	s_waitcnt vmcnt(2)
	v_cvt_f64_f32_e32 v[74:75], v60
	v_cvt_f64_f32_e32 v[78:79], v61
	;; [unrolled: 1-line block ×4, first 2 shown]
	global_load_dwordx4 v[60:63], v[34:35], off
	s_waitcnt vmcnt(2)
	v_subrev_u32_e32 v11, s16, v11
	v_lshlrev_b32_e32 v52, 2, v11
	v_ashrrev_i32_e32 v53, 31, v52
	v_lshlrev_b64 v[52:53], 3, v[52:53]
	v_add_co_u32_e32 v52, vcc, s8, v52
	v_addc_co_u32_e32 v53, vcc, v1, v53, vcc
	v_add_co_u32_e32 v26, vcc, s22, v26
	v_addc_co_u32_e32 v27, vcc, 0, v27, vcc
	v_cmp_ge_i64_e32 vcc, v[24:25], v[6:7]
	s_or_b64 s[20:21], vcc, s[20:21]
	s_waitcnt vmcnt(0)
	v_fmac_f64_e32 v[20:21], v[38:39], v[60:61]
	v_fmac_f64_e32 v[20:21], v[36:37], v[62:63]
	global_load_dwordx4 v[34:37], v[52:53], off
	v_fmac_f64_e32 v[18:19], v[82:83], v[60:61]
	v_fmac_f64_e32 v[18:19], v[54:55], v[62:63]
	global_load_dwordx4 v[52:55], v[52:53], off offset:16
	v_fmac_f64_e32 v[16:17], v[84:85], v[60:61]
	v_fmac_f64_e32 v[14:15], v[86:87], v[60:61]
	;; [unrolled: 1-line block ×12, first 2 shown]
	s_waitcnt vmcnt(1)
	v_fmac_f64_e32 v[20:21], v[76:77], v[34:35]
	v_fmac_f64_e32 v[18:19], v[96:97], v[34:35]
	v_fmac_f64_e32 v[16:17], v[100:101], v[34:35]
	v_fmac_f64_e32 v[14:15], v[74:75], v[34:35]
	v_fmac_f64_e32 v[20:21], v[72:73], v[36:37]
	v_fmac_f64_e32 v[18:19], v[92:93], v[36:37]
	v_fmac_f64_e32 v[16:17], v[98:99], v[36:37]
	v_fmac_f64_e32 v[14:15], v[78:79], v[36:37]
	s_waitcnt vmcnt(0)
	v_fmac_f64_e32 v[20:21], v[66:67], v[52:53]
	v_fmac_f64_e32 v[18:19], v[88:89], v[52:53]
	;; [unrolled: 1-line block ×8, first 2 shown]
	s_andn2_b64 exec, exec, s[20:21]
	s_cbranch_execnz .LBB155_21
; %bb.22:
	s_or_b64 exec, exec, s[20:21]
.LBB155_23:
	s_or_b64 exec, exec, s[18:19]
.LBB155_24:
	s_or_b64 exec, exec, s[14:15]
	s_andn2_b64 vcc, exec, s[10:11]
	s_cbranch_vccz .LBB155_26
	s_branch .LBB155_37
.LBB155_25:
                                        ; implicit-def: $vgpr14_vgpr15
                                        ; implicit-def: $vgpr16_vgpr17
                                        ; implicit-def: $vgpr18_vgpr19
                                        ; implicit-def: $vgpr20_vgpr21
.LBB155_26:
	v_pk_mov_b32 v[14:15], 0, 0
	v_pk_mov_b32 v[16:17], v[14:15], v[14:15] op_sel:[0,1]
	v_pk_mov_b32 v[18:19], v[14:15], v[14:15] op_sel:[0,1]
	v_pk_mov_b32 v[20:21], v[14:15], v[14:15] op_sel:[0,1]
	s_and_saveexec_b64 s[2:3], s[0:1]
	s_cbranch_execz .LBB155_36
; %bb.27:
	v_or_b32_e32 v1, 4, v0
	v_mov_b32_e32 v11, s17
	v_subrev_co_u32_e32 v1, vcc, s16, v1
	v_subb_co_u32_e32 v11, vcc, 0, v11, vcc
	v_add_co_u32_e32 v14, vcc, v1, v22
	v_addc_co_u32_e32 v15, vcc, v11, v23, vcc
	v_cmp_gt_i64_e32 vcc, v[14:15], v[6:7]
	v_cndmask_b32_e32 v1, v7, v15, vcc
	v_cndmask_b32_e32 v11, v6, v14, vcc
	v_mov_b32_e32 v16, s17
	v_sub_co_u32_e32 v17, vcc, s16, v0
	v_not_b32_e32 v15, v22
	v_subbrev_co_u32_e32 v16, vcc, 0, v16, vcc
	v_not_b32_e32 v14, v23
	v_add_co_u32_e32 v15, vcc, v17, v15
	v_addc_co_u32_e32 v14, vcc, v16, v14, vcc
	v_add_co_u32_e32 v22, vcc, v15, v11
	v_addc_co_u32_e32 v23, vcc, v14, v1, vcc
	v_lshrrev_b32_e32 v1, 2, v22
	v_add_u32_e32 v1, 1, v1
	v_and_b32_e32 v1, 3, v1
	v_pk_mov_b32 v[20:21], 0, 0
	v_cmp_ne_u32_e32 vcc, 0, v1
	s_mov_b64 s[10:11], 0
	v_pk_mov_b32 v[18:19], v[20:21], v[20:21] op_sel:[0,1]
	v_pk_mov_b32 v[16:17], v[20:21], v[20:21] op_sel:[0,1]
	;; [unrolled: 1-line block ×3, first 2 shown]
	s_and_saveexec_b64 s[6:7], vcc
	s_cbranch_execz .LBB155_31
; %bb.28:
	v_lshlrev_b64 v[14:15], 2, v[4:5]
	v_mov_b32_e32 v11, s13
	v_add_co_u32_e32 v26, vcc, s12, v14
	v_addc_co_u32_e32 v27, vcc, v11, v15, vcc
	v_pk_mov_b32 v[14:15], 0, 0
	v_mov_b32_e32 v25, 0
	v_lshlrev_b32_e32 v24, 4, v1
	s_movk_i32 s14, 0x100
	s_waitcnt lgkmcnt(0)
	v_mov_b32_e32 v1, s9
	v_pk_mov_b32 v[16:17], v[14:15], v[14:15] op_sel:[0,1]
	v_pk_mov_b32 v[18:19], v[14:15], v[14:15] op_sel:[0,1]
	;; [unrolled: 1-line block ×3, first 2 shown]
.LBB155_29:                             ; =>This Inner Loop Header: Depth=1
	global_load_dword v11, v[26:27], off
	global_load_dwordx4 v[28:31], v[12:13], off offset:16
	global_load_dwordx4 v[32:35], v[12:13], off
	global_load_dwordx4 v[36:39], v[12:13], off offset:32
	v_add_co_u32_e64 v4, s[0:1], 4, v4
	v_addc_co_u32_e64 v5, s[0:1], 0, v5, s[0:1]
	v_add_co_u32_e64 v26, s[0:1], 16, v26
	v_addc_co_u32_e64 v27, s[0:1], 0, v27, s[0:1]
	v_add_co_u32_e64 v24, s[0:1], -16, v24
	v_addc_co_u32_e64 v25, s[0:1], -1, v25, s[0:1]
	s_waitcnt vmcnt(3)
	v_subrev_u32_e32 v11, s16, v11
	v_lshlrev_b32_e32 v40, 2, v11
	v_ashrrev_i32_e32 v41, 31, v40
	v_lshlrev_b64 v[40:41], 3, v[40:41]
	v_add_co_u32_e32 v52, vcc, s8, v40
	v_addc_co_u32_e32 v53, vcc, v1, v41, vcc
	global_load_dwordx4 v[40:43], v[52:53], off offset:16
	global_load_dwordx4 v[44:47], v[52:53], off
	global_load_dwordx4 v[48:51], v[12:13], off offset:48
	s_waitcnt vmcnt(4)
	v_cvt_f64_f32_e32 v[52:53], v32
	v_cvt_f64_f32_e32 v[32:33], v33
	;; [unrolled: 1-line block ×4, first 2 shown]
	v_add_co_u32_e32 v12, vcc, s14, v12
	v_cvt_f64_f32_e32 v[56:57], v28
	v_cvt_f64_f32_e32 v[28:29], v29
	;; [unrolled: 1-line block ×4, first 2 shown]
	v_addc_co_u32_e32 v13, vcc, 0, v13, vcc
	s_waitcnt vmcnt(3)
	v_cvt_f64_f32_e32 v[60:61], v36
	v_cvt_f64_f32_e32 v[36:37], v37
	;; [unrolled: 1-line block ×4, first 2 shown]
	v_cmp_eq_u64_e32 vcc, 0, v[24:25]
	s_or_b64 s[10:11], vcc, s[10:11]
	s_waitcnt vmcnt(1)
	v_fmac_f64_e32 v[20:21], v[52:53], v[44:45]
	v_fmac_f64_e32 v[18:19], v[32:33], v[44:45]
	v_fmac_f64_e32 v[16:17], v[54:55], v[44:45]
	v_fmac_f64_e32 v[14:15], v[34:35], v[44:45]
	v_fmac_f64_e32 v[20:21], v[56:57], v[46:47]
	v_fmac_f64_e32 v[18:19], v[28:29], v[46:47]
	v_fmac_f64_e32 v[16:17], v[58:59], v[46:47]
	v_fmac_f64_e32 v[14:15], v[30:31], v[46:47]
	s_waitcnt vmcnt(0)
	v_cvt_f64_f32_e32 v[64:65], v48
	v_cvt_f64_f32_e32 v[48:49], v49
	;; [unrolled: 1-line block ×4, first 2 shown]
	v_fmac_f64_e32 v[20:21], v[60:61], v[40:41]
	v_fmac_f64_e32 v[18:19], v[36:37], v[40:41]
	;; [unrolled: 1-line block ×8, first 2 shown]
	s_andn2_b64 exec, exec, s[10:11]
	s_cbranch_execnz .LBB155_29
; %bb.30:
	s_or_b64 exec, exec, s[10:11]
.LBB155_31:
	s_or_b64 exec, exec, s[6:7]
	v_cmp_lt_u64_e32 vcc, 11, v[22:23]
	s_and_saveexec_b64 s[6:7], vcc
	s_cbranch_execz .LBB155_35
; %bb.32:
	v_lshlrev_b64 v[22:23], 2, v[4:5]
	v_mov_b32_e32 v1, s13
	v_add_co_u32_e32 v11, vcc, s12, v22
	v_addc_co_u32_e32 v1, vcc, v23, v1, vcc
	v_add_co_u32_e32 v22, vcc, 32, v11
	v_addc_co_u32_e32 v23, vcc, 0, v1, vcc
	s_mov_b64 s[10:11], 0
	s_waitcnt lgkmcnt(0)
	v_mov_b32_e32 v1, s9
	s_movk_i32 s9, 0x400
.LBB155_33:                             ; =>This Inner Loop Header: Depth=1
	global_load_dwordx4 v[24:27], v[12:13], off
	global_load_dwordx4 v[28:31], v[12:13], off offset:16
	global_load_dwordx4 v[32:35], v[12:13], off offset:32
	;; [unrolled: 1-line block ×6, first 2 shown]
	global_load_dword v11, v[22:23], off offset:-32
	global_load_dword v100, v[22:23], off offset:-16
	global_load_dword v101, v[22:23], off
	global_load_dword v102, v[22:23], off offset:16
	v_add_co_u32_e64 v4, s[0:1], 16, v4
	v_addc_co_u32_e64 v5, s[0:1], 0, v5, s[0:1]
	v_add_co_u32_e64 v22, s[0:1], 64, v22
	v_addc_co_u32_e64 v23, s[0:1], 0, v23, s[0:1]
	s_waitcnt vmcnt(10)
	v_cvt_f64_f32_e32 v[68:69], v24
	v_cvt_f64_f32_e32 v[70:71], v25
	;; [unrolled: 1-line block ×4, first 2 shown]
	s_waitcnt vmcnt(9)
	v_cvt_f64_f32_e32 v[76:77], v28
	s_waitcnt vmcnt(5)
	v_cvt_f64_f32_e32 v[52:53], v46
	v_cvt_f64_f32_e32 v[48:49], v47
	s_waitcnt vmcnt(3)
	v_subrev_u32_e32 v11, s16, v11
	v_lshlrev_b32_e32 v24, 2, v11
	v_ashrrev_i32_e32 v25, 31, v24
	v_lshlrev_b64 v[24:25], 3, v[24:25]
	v_add_co_u32_e32 v46, vcc, s8, v24
	v_addc_co_u32_e32 v47, vcc, v1, v25, vcc
	global_load_dwordx4 v[24:27], v[46:47], off
	v_cvt_f64_f32_e32 v[78:79], v29
	v_cvt_f64_f32_e32 v[80:81], v30
	;; [unrolled: 1-line block ×3, first 2 shown]
	global_load_dwordx4 v[28:31], v[12:13], off offset:304
	s_waitcnt vmcnt(4)
	v_subrev_u32_e32 v11, s16, v100
	v_cvt_f64_f32_e32 v[84:85], v32
	v_cvt_f64_f32_e32 v[86:87], v33
	;; [unrolled: 1-line block ×6, first 2 shown]
	global_load_dwordx4 v[34:37], v[12:13], off offset:512
	v_cvt_f64_f32_e32 v[96:97], v38
	v_cvt_f64_f32_e32 v[98:99], v39
	v_cvt_f64_f32_e32 v[54:55], v40
	v_cvt_f64_f32_e32 v[56:57], v41
	v_cvt_f64_f32_e32 v[58:59], v42
	v_cvt_f64_f32_e32 v[60:61], v43
	v_cvt_f64_f32_e32 v[62:63], v44
	v_cvt_f64_f32_e32 v[50:51], v45
	v_cvt_f64_f32_e32 v[38:39], v64
	v_cvt_f64_f32_e32 v[40:41], v65
	v_cvt_f64_f32_e32 v[42:43], v66
	v_cvt_f64_f32_e32 v[44:45], v67
	s_waitcnt vmcnt(2)
	v_fmac_f64_e32 v[20:21], v[68:69], v[24:25]
	v_fmac_f64_e32 v[18:19], v[70:71], v[24:25]
	;; [unrolled: 1-line block ×4, first 2 shown]
	global_load_dwordx4 v[68:71], v[12:13], off offset:528
	global_load_dwordx4 v[72:75], v[12:13], off offset:544
	v_fmac_f64_e32 v[20:21], v[76:77], v[26:27]
	v_fmac_f64_e32 v[18:19], v[78:79], v[26:27]
	;; [unrolled: 1-line block ×4, first 2 shown]
	global_load_dwordx4 v[24:27], v[46:47], off offset:16
	s_waitcnt vmcnt(4)
	v_cvt_f64_f32_e32 v[76:77], v28
	v_cvt_f64_f32_e32 v[78:79], v29
	;; [unrolled: 1-line block ×4, first 2 shown]
	s_waitcnt vmcnt(3)
	v_cvt_f64_f32_e32 v[30:31], v34
	v_cvt_f64_f32_e32 v[32:33], v35
	;; [unrolled: 1-line block ×4, first 2 shown]
	s_waitcnt vmcnt(2)
	v_cvt_f64_f32_e32 v[64:65], v68
	s_waitcnt vmcnt(1)
	v_cvt_f64_f32_e32 v[46:47], v72
	v_lshlrev_b32_e32 v72, 2, v11
	v_cvt_f64_f32_e32 v[28:29], v75
	v_subrev_u32_e32 v11, s16, v101
	v_cvt_f64_f32_e32 v[66:67], v69
	s_waitcnt vmcnt(0)
	v_fmac_f64_e32 v[20:21], v[84:85], v[24:25]
	v_fmac_f64_e32 v[18:19], v[86:87], v[24:25]
	;; [unrolled: 1-line block ×4, first 2 shown]
	v_cvt_f64_f32_e32 v[24:25], v73
	v_ashrrev_i32_e32 v73, 31, v72
	v_lshlrev_b64 v[72:73], 3, v[72:73]
	v_add_co_u32_e32 v84, vcc, s8, v72
	v_addc_co_u32_e32 v85, vcc, v1, v73, vcc
	v_fmac_f64_e32 v[20:21], v[92:93], v[26:27]
	v_fmac_f64_e32 v[18:19], v[94:95], v[26:27]
	;; [unrolled: 1-line block ×4, first 2 shown]
	v_cvt_f64_f32_e32 v[26:27], v74
	global_load_dwordx4 v[72:75], v[84:85], off
	v_cvt_f64_f32_e32 v[68:69], v70
	v_cvt_f64_f32_e32 v[70:71], v71
	s_waitcnt vmcnt(0)
	v_fmac_f64_e32 v[20:21], v[54:55], v[72:73]
	v_fmac_f64_e32 v[18:19], v[56:57], v[72:73]
	;; [unrolled: 1-line block ×8, first 2 shown]
	global_load_dwordx4 v[72:75], v[84:85], off offset:16
	global_load_dwordx4 v[54:57], v[12:13], off offset:560
	;; [unrolled: 1-line block ×3, first 2 shown]
	s_waitcnt vmcnt(2)
	v_fmac_f64_e32 v[20:21], v[38:39], v[72:73]
	v_fmac_f64_e32 v[18:19], v[40:41], v[72:73]
	global_load_dwordx4 v[38:41], v[12:13], off offset:784
	v_fmac_f64_e32 v[16:17], v[42:43], v[72:73]
	v_fmac_f64_e32 v[14:15], v[44:45], v[72:73]
	global_load_dwordx4 v[42:45], v[12:13], off offset:800
	v_fmac_f64_e32 v[20:21], v[76:77], v[74:75]
	v_fmac_f64_e32 v[18:19], v[78:79], v[74:75]
	;; [unrolled: 1-line block ×4, first 2 shown]
	s_waitcnt vmcnt(3)
	v_cvt_f64_f32_e32 v[48:49], v54
	v_cvt_f64_f32_e32 v[50:51], v55
	v_cvt_f64_f32_e32 v[52:53], v56
	v_cvt_f64_f32_e32 v[54:55], v57
	s_waitcnt vmcnt(2)
	v_cvt_f64_f32_e32 v[56:57], v60
	v_cvt_f64_f32_e32 v[58:59], v61
	v_cvt_f64_f32_e32 v[60:61], v62
	v_cvt_f64_f32_e32 v[62:63], v63
	;; [unrolled: 5-line block ×3, first 2 shown]
	global_load_dwordx4 v[38:41], v[12:13], off offset:816
	s_waitcnt vmcnt(1)
	v_cvt_f64_f32_e32 v[80:81], v42
	v_cvt_f64_f32_e32 v[42:43], v43
	;; [unrolled: 1-line block ×4, first 2 shown]
	s_waitcnt vmcnt(0)
	v_cvt_f64_f32_e32 v[84:85], v38
	v_lshlrev_b32_e32 v38, 2, v11
	v_cvt_f64_f32_e32 v[86:87], v39
	v_ashrrev_i32_e32 v39, 31, v38
	v_lshlrev_b64 v[38:39], 3, v[38:39]
	v_subrev_u32_e32 v11, s16, v102
	v_add_co_u32_e32 v92, vcc, s8, v38
	v_lshlrev_b32_e32 v38, 2, v11
	v_addc_co_u32_e32 v93, vcc, v1, v39, vcc
	v_ashrrev_i32_e32 v39, 31, v38
	v_lshlrev_b64 v[38:39], 3, v[38:39]
	v_add_co_u32_e32 v94, vcc, s8, v38
	v_cvt_f64_f32_e32 v[88:89], v40
	v_cvt_f64_f32_e32 v[90:91], v41
	v_addc_co_u32_e32 v95, vcc, v1, v39, vcc
	global_load_dwordx4 v[38:41], v[92:93], off
	v_add_co_u32_e32 v12, vcc, s9, v12
	v_addc_co_u32_e32 v13, vcc, 0, v13, vcc
	v_cmp_ge_i64_e32 vcc, v[4:5], v[6:7]
	s_or_b64 s[10:11], vcc, s[10:11]
	s_waitcnt vmcnt(0)
	v_fmac_f64_e32 v[20:21], v[30:31], v[38:39]
	v_fmac_f64_e32 v[18:19], v[32:33], v[38:39]
	;; [unrolled: 1-line block ×4, first 2 shown]
	global_load_dwordx4 v[30:33], v[92:93], off offset:16
	global_load_dwordx4 v[34:37], v[94:95], off
	v_fmac_f64_e32 v[20:21], v[64:65], v[40:41]
	v_fmac_f64_e32 v[18:19], v[66:67], v[40:41]
	;; [unrolled: 1-line block ×4, first 2 shown]
	global_load_dwordx4 v[38:41], v[94:95], off offset:16
	s_waitcnt vmcnt(2)
	v_fmac_f64_e32 v[20:21], v[46:47], v[30:31]
	v_fmac_f64_e32 v[18:19], v[24:25], v[30:31]
	v_fmac_f64_e32 v[16:17], v[26:27], v[30:31]
	v_fmac_f64_e32 v[14:15], v[28:29], v[30:31]
	v_fmac_f64_e32 v[20:21], v[48:49], v[32:33]
	v_fmac_f64_e32 v[18:19], v[50:51], v[32:33]
	v_fmac_f64_e32 v[16:17], v[52:53], v[32:33]
	v_fmac_f64_e32 v[14:15], v[54:55], v[32:33]
	s_waitcnt vmcnt(1)
	v_fmac_f64_e32 v[20:21], v[56:57], v[34:35]
	v_fmac_f64_e32 v[18:19], v[58:59], v[34:35]
	v_fmac_f64_e32 v[16:17], v[60:61], v[34:35]
	v_fmac_f64_e32 v[14:15], v[62:63], v[34:35]
	v_fmac_f64_e32 v[20:21], v[72:73], v[36:37]
	v_fmac_f64_e32 v[18:19], v[74:75], v[36:37]
	v_fmac_f64_e32 v[16:17], v[76:77], v[36:37]
	v_fmac_f64_e32 v[14:15], v[78:79], v[36:37]
	;; [unrolled: 9-line block ×3, first 2 shown]
	s_andn2_b64 exec, exec, s[10:11]
	s_cbranch_execnz .LBB155_33
; %bb.34:
	s_or_b64 exec, exec, s[10:11]
.LBB155_35:
	s_or_b64 exec, exec, s[6:7]
.LBB155_36:
	s_or_b64 exec, exec, s[2:3]
.LBB155_37:
	v_mov_b32_dpp v4, v20 row_shr:1 row_mask:0xf bank_mask:0xf
	v_mov_b32_dpp v5, v21 row_shr:1 row_mask:0xf bank_mask:0xf
	v_add_f64 v[4:5], v[20:21], v[4:5]
	v_mov_b32_dpp v12, v18 row_shr:1 row_mask:0xf bank_mask:0xf
	v_mov_b32_dpp v13, v19 row_shr:1 row_mask:0xf bank_mask:0xf
	;; [unrolled: 1-line block ×6, first 2 shown]
	v_add_f64 v[12:13], v[18:19], v[12:13]
	v_add_f64 v[16:17], v[16:17], v[20:21]
	;; [unrolled: 1-line block ×3, first 2 shown]
	v_mov_b32_dpp v6, v4 row_shr:2 row_mask:0xf bank_mask:0xf
	v_mov_b32_dpp v7, v5 row_shr:2 row_mask:0xf bank_mask:0xf
	;; [unrolled: 1-line block ×8, first 2 shown]
	v_cmp_eq_u32_e32 vcc, 3, v0
	s_and_b64 exec, exec, vcc
	s_cbranch_execz .LBB155_10
; %bb.38:
	s_load_dwordx2 s[0:1], s[4:5], 0x50
	v_add_f64 v[0:1], v[4:5], v[6:7]
	v_add_f64 v[6:7], v[12:13], v[18:19]
	;; [unrolled: 1-line block ×4, first 2 shown]
	v_cmp_eq_f64_e32 vcc, 0, v[8:9]
	v_mul_f64 v[4:5], v[2:3], v[0:1]
	v_mul_f64 v[6:7], v[2:3], v[6:7]
	;; [unrolled: 1-line block ×4, first 2 shown]
	v_lshlrev_b32_e32 v10, 2, v10
	s_and_saveexec_b64 s[2:3], vcc
	s_xor_b64 s[2:3], exec, s[2:3]
	s_cbranch_execz .LBB155_40
; %bb.39:
	v_ashrrev_i32_e32 v11, 31, v10
	v_lshlrev_b64 v[8:9], 3, v[10:11]
	s_waitcnt lgkmcnt(0)
	v_mov_b32_e32 v10, s1
	v_add_co_u32_e32 v8, vcc, s0, v8
	v_addc_co_u32_e32 v9, vcc, v10, v9, vcc
	global_store_dwordx4 v[8:9], v[4:7], off
	global_store_dwordx4 v[8:9], v[0:3], off offset:16
                                        ; implicit-def: $vgpr10
                                        ; implicit-def: $vgpr8_vgpr9
                                        ; implicit-def: $vgpr4_vgpr5
                                        ; implicit-def: $vgpr0_vgpr1
.LBB155_40:
	s_andn2_saveexec_b64 s[2:3], s[2:3]
	s_cbranch_execz .LBB155_10
; %bb.41:
	v_ashrrev_i32_e32 v11, 31, v10
	v_lshlrev_b64 v[10:11], 3, v[10:11]
	s_waitcnt lgkmcnt(0)
	v_mov_b32_e32 v12, s1
	v_add_co_u32_e32 v18, vcc, s0, v10
	v_addc_co_u32_e32 v19, vcc, v12, v11, vcc
	global_load_dwordx4 v[10:13], v[18:19], off
	global_load_dwordx4 v[14:17], v[18:19], off offset:16
	s_waitcnt vmcnt(1)
	v_fmac_f64_e32 v[4:5], v[8:9], v[10:11]
	v_fmac_f64_e32 v[6:7], v[8:9], v[12:13]
	s_waitcnt vmcnt(0)
	v_fmac_f64_e32 v[0:1], v[8:9], v[14:15]
	v_fmac_f64_e32 v[2:3], v[8:9], v[16:17]
	global_store_dwordx4 v[18:19], v[4:7], off
	global_store_dwordx4 v[18:19], v[0:3], off offset:16
	s_endpgm
	.section	.rodata,"a",@progbits
	.p2align	6, 0x0
	.amdhsa_kernel _ZN9rocsparseL18bsrxmvn_4x4_kernelILj128ELj4EdlifddEEvT3_20rocsparse_direction_NS_24const_host_device_scalarIT1_EES1_PKS1_PKT2_SA_S7_PKT4_PKT5_S5_PT6_21rocsparse_index_base_b
		.amdhsa_group_segment_fixed_size 0
		.amdhsa_private_segment_fixed_size 0
		.amdhsa_kernarg_size 96
		.amdhsa_user_sgpr_count 6
		.amdhsa_user_sgpr_private_segment_buffer 1
		.amdhsa_user_sgpr_dispatch_ptr 0
		.amdhsa_user_sgpr_queue_ptr 0
		.amdhsa_user_sgpr_kernarg_segment_ptr 1
		.amdhsa_user_sgpr_dispatch_id 0
		.amdhsa_user_sgpr_flat_scratch_init 0
		.amdhsa_user_sgpr_kernarg_preload_length 0
		.amdhsa_user_sgpr_kernarg_preload_offset 0
		.amdhsa_user_sgpr_private_segment_size 0
		.amdhsa_uses_dynamic_stack 0
		.amdhsa_system_sgpr_private_segment_wavefront_offset 0
		.amdhsa_system_sgpr_workgroup_id_x 1
		.amdhsa_system_sgpr_workgroup_id_y 0
		.amdhsa_system_sgpr_workgroup_id_z 0
		.amdhsa_system_sgpr_workgroup_info 0
		.amdhsa_system_vgpr_workitem_id 0
		.amdhsa_next_free_vgpr 122
		.amdhsa_next_free_sgpr 23
		.amdhsa_accum_offset 124
		.amdhsa_reserve_vcc 1
		.amdhsa_reserve_flat_scratch 0
		.amdhsa_float_round_mode_32 0
		.amdhsa_float_round_mode_16_64 0
		.amdhsa_float_denorm_mode_32 3
		.amdhsa_float_denorm_mode_16_64 3
		.amdhsa_dx10_clamp 1
		.amdhsa_ieee_mode 1
		.amdhsa_fp16_overflow 0
		.amdhsa_tg_split 0
		.amdhsa_exception_fp_ieee_invalid_op 0
		.amdhsa_exception_fp_denorm_src 0
		.amdhsa_exception_fp_ieee_div_zero 0
		.amdhsa_exception_fp_ieee_overflow 0
		.amdhsa_exception_fp_ieee_underflow 0
		.amdhsa_exception_fp_ieee_inexact 0
		.amdhsa_exception_int_div_zero 0
	.end_amdhsa_kernel
	.section	.text._ZN9rocsparseL18bsrxmvn_4x4_kernelILj128ELj4EdlifddEEvT3_20rocsparse_direction_NS_24const_host_device_scalarIT1_EES1_PKS1_PKT2_SA_S7_PKT4_PKT5_S5_PT6_21rocsparse_index_base_b,"axG",@progbits,_ZN9rocsparseL18bsrxmvn_4x4_kernelILj128ELj4EdlifddEEvT3_20rocsparse_direction_NS_24const_host_device_scalarIT1_EES1_PKS1_PKT2_SA_S7_PKT4_PKT5_S5_PT6_21rocsparse_index_base_b,comdat
.Lfunc_end155:
	.size	_ZN9rocsparseL18bsrxmvn_4x4_kernelILj128ELj4EdlifddEEvT3_20rocsparse_direction_NS_24const_host_device_scalarIT1_EES1_PKS1_PKT2_SA_S7_PKT4_PKT5_S5_PT6_21rocsparse_index_base_b, .Lfunc_end155-_ZN9rocsparseL18bsrxmvn_4x4_kernelILj128ELj4EdlifddEEvT3_20rocsparse_direction_NS_24const_host_device_scalarIT1_EES1_PKS1_PKT2_SA_S7_PKT4_PKT5_S5_PT6_21rocsparse_index_base_b
                                        ; -- End function
	.section	.AMDGPU.csdata,"",@progbits
; Kernel info:
; codeLenInByte = 4172
; NumSgprs: 27
; NumVgprs: 122
; NumAgprs: 0
; TotalNumVgprs: 122
; ScratchSize: 0
; MemoryBound: 0
; FloatMode: 240
; IeeeMode: 1
; LDSByteSize: 0 bytes/workgroup (compile time only)
; SGPRBlocks: 3
; VGPRBlocks: 15
; NumSGPRsForWavesPerEU: 27
; NumVGPRsForWavesPerEU: 122
; AccumOffset: 124
; Occupancy: 4
; WaveLimiterHint : 1
; COMPUTE_PGM_RSRC2:SCRATCH_EN: 0
; COMPUTE_PGM_RSRC2:USER_SGPR: 6
; COMPUTE_PGM_RSRC2:TRAP_HANDLER: 0
; COMPUTE_PGM_RSRC2:TGID_X_EN: 1
; COMPUTE_PGM_RSRC2:TGID_Y_EN: 0
; COMPUTE_PGM_RSRC2:TGID_Z_EN: 0
; COMPUTE_PGM_RSRC2:TIDIG_COMP_CNT: 0
; COMPUTE_PGM_RSRC3_GFX90A:ACCUM_OFFSET: 30
; COMPUTE_PGM_RSRC3_GFX90A:TG_SPLIT: 0
	.section	.text._ZN9rocsparseL18bsrxmvn_4x4_kernelILj128ELj8EdlifddEEvT3_20rocsparse_direction_NS_24const_host_device_scalarIT1_EES1_PKS1_PKT2_SA_S7_PKT4_PKT5_S5_PT6_21rocsparse_index_base_b,"axG",@progbits,_ZN9rocsparseL18bsrxmvn_4x4_kernelILj128ELj8EdlifddEEvT3_20rocsparse_direction_NS_24const_host_device_scalarIT1_EES1_PKS1_PKT2_SA_S7_PKT4_PKT5_S5_PT6_21rocsparse_index_base_b,comdat
	.globl	_ZN9rocsparseL18bsrxmvn_4x4_kernelILj128ELj8EdlifddEEvT3_20rocsparse_direction_NS_24const_host_device_scalarIT1_EES1_PKS1_PKT2_SA_S7_PKT4_PKT5_S5_PT6_21rocsparse_index_base_b ; -- Begin function _ZN9rocsparseL18bsrxmvn_4x4_kernelILj128ELj8EdlifddEEvT3_20rocsparse_direction_NS_24const_host_device_scalarIT1_EES1_PKS1_PKT2_SA_S7_PKT4_PKT5_S5_PT6_21rocsparse_index_base_b
	.p2align	8
	.type	_ZN9rocsparseL18bsrxmvn_4x4_kernelILj128ELj8EdlifddEEvT3_20rocsparse_direction_NS_24const_host_device_scalarIT1_EES1_PKS1_PKT2_SA_S7_PKT4_PKT5_S5_PT6_21rocsparse_index_base_b,@function
_ZN9rocsparseL18bsrxmvn_4x4_kernelILj128ELj8EdlifddEEvT3_20rocsparse_direction_NS_24const_host_device_scalarIT1_EES1_PKS1_PKT2_SA_S7_PKT4_PKT5_S5_PT6_21rocsparse_index_base_b: ; @_ZN9rocsparseL18bsrxmvn_4x4_kernelILj128ELj8EdlifddEEvT3_20rocsparse_direction_NS_24const_host_device_scalarIT1_EES1_PKS1_PKT2_SA_S7_PKT4_PKT5_S5_PT6_21rocsparse_index_base_b
; %bb.0:
	s_load_dwordx2 s[16:17], s[4:5], 0x58
	s_load_dwordx2 s[8:9], s[4:5], 0x8
	;; [unrolled: 1-line block ×3, first 2 shown]
	s_waitcnt lgkmcnt(0)
	s_bitcmp1_b32 s17, 0
	s_cselect_b64 s[10:11], -1, 0
	s_xor_b64 s[2:3], s[10:11], -1
	s_and_b64 vcc, exec, s[10:11]
	v_pk_mov_b32 v[2:3], s[8:9], s[8:9] op_sel:[0,1]
	s_cbranch_vccnz .LBB156_2
; %bb.1:
	v_pk_mov_b32 v[2:3], s[8:9], s[8:9] op_sel:[0,1]
	flat_load_dwordx2 v[2:3], v[2:3]
.LBB156_2:
	s_andn2_b64 vcc, exec, s[2:3]
	v_pk_mov_b32 v[8:9], s[0:1], s[0:1] op_sel:[0,1]
	s_cbranch_vccnz .LBB156_4
; %bb.3:
	v_pk_mov_b32 v[4:5], s[0:1], s[0:1] op_sel:[0,1]
	flat_load_dwordx2 v[8:9], v[4:5]
.LBB156_4:
	s_waitcnt vmcnt(0) lgkmcnt(0)
	v_cmp_neq_f64_e32 vcc, 0, v[2:3]
	v_cmp_neq_f64_e64 s[0:1], 1.0, v[8:9]
	s_mov_b64 s[2:3], 0
	s_or_b64 s[0:1], vcc, s[0:1]
	s_and_saveexec_b64 s[8:9], s[0:1]
	s_cbranch_execz .LBB156_10
; %bb.5:
	s_load_dwordx2 s[8:9], s[4:5], 0x18
	s_load_dwordx2 s[0:1], s[4:5], 0x0
	v_lshrrev_b32_e32 v1, 3, v0
	v_lshl_or_b32 v10, s6, 4, v1
	s_mov_b64 s[6:7], 0
	s_waitcnt lgkmcnt(0)
	s_cmp_lg_u64 s[8:9], 0
	s_cbranch_scc0 .LBB156_11
; %bb.6:
	s_load_dword s2, s[4:5], 0x10
                                        ; implicit-def: $vgpr1
	s_waitcnt lgkmcnt(0)
	v_cmp_gt_i32_e32 vcc, s2, v10
	s_and_saveexec_b64 s[2:3], vcc
	s_xor_b64 s[2:3], exec, s[2:3]
	s_cbranch_execz .LBB156_8
; %bb.7:
	v_ashrrev_i32_e32 v11, 31, v10
	v_lshlrev_b64 v[4:5], 2, v[10:11]
	v_mov_b32_e32 v1, s9
	v_add_co_u32_e32 v4, vcc, s8, v4
	v_addc_co_u32_e32 v5, vcc, v1, v5, vcc
	global_load_dword v1, v[4:5], off
	s_mov_b64 s[6:7], exec
	s_waitcnt vmcnt(0)
	v_subrev_u32_e32 v1, s16, v1
.LBB156_8:
	s_or_b64 exec, exec, s[2:3]
	s_mov_b64 s[2:3], s[6:7]
	s_branch .LBB156_12
.LBB156_9:
	v_cmp_gt_i32_e32 vcc, s0, v10
	s_andn2_b64 s[2:3], s[2:3], exec
	s_and_b64 s[6:7], vcc, exec
	s_or_b64 s[2:3], s[2:3], s[6:7]
	s_and_b64 exec, exec, s[2:3]
	s_cbranch_execnz .LBB156_13
.LBB156_10:
	s_endpgm
.LBB156_11:
                                        ; implicit-def: $vgpr1
	s_cbranch_execnz .LBB156_9
.LBB156_12:
	v_mov_b32_e32 v10, v1
	s_and_b64 exec, exec, s[2:3]
	s_cbranch_execz .LBB156_10
.LBB156_13:
	s_load_dwordx8 s[8:15], s[4:5], 0x20
	v_ashrrev_i32_e32 v11, 31, v10
	v_lshlrev_b64 v[4:5], 3, v[10:11]
	v_and_b32_e32 v0, 7, v0
	s_load_dwordx2 s[6:7], s[4:5], 0x40
	s_waitcnt lgkmcnt(0)
	v_mov_b32_e32 v1, s9
	v_add_co_u32_e32 v6, vcc, s8, v4
	v_addc_co_u32_e32 v7, vcc, v1, v5, vcc
	v_add_co_u32_e32 v1, vcc, 8, v6
	global_load_dwordx2 v[22:23], v[6:7], off
	v_addc_co_u32_e32 v6, vcc, 0, v7, vcc
	v_mov_b32_e32 v7, s11
	v_add_co_u32_e32 v4, vcc, s10, v4
	s_cmp_eq_u64 s[10:11], 0
	v_addc_co_u32_e32 v5, vcc, v7, v5, vcc
	s_cselect_b64 vcc, -1, 0
	v_cndmask_b32_e32 v5, v5, v6, vcc
	v_cndmask_b32_e32 v4, v4, v1, vcc
	global_load_dwordx2 v[6:7], v[4:5], off
	v_mov_b32_e32 v1, s15
	s_mov_b32 s17, 0
	s_cmp_eq_u32 s1, 1
	s_waitcnt vmcnt(1)
	v_subrev_co_u32_e32 v4, vcc, s16, v22
	v_subbrev_co_u32_e32 v5, vcc, 0, v23, vcc
	v_add_co_u32_e32 v4, vcc, v4, v0
	v_addc_co_u32_e32 v5, vcc, 0, v5, vcc
	v_lshlrev_b64 v[12:13], 6, v[4:5]
	s_waitcnt vmcnt(0)
	v_subrev_co_u32_e32 v6, vcc, s16, v6
	v_subbrev_co_u32_e32 v7, vcc, 0, v7, vcc
	v_add_co_u32_e32 v12, vcc, s14, v12
	v_addc_co_u32_e32 v13, vcc, v1, v13, vcc
	v_cmp_lt_i64_e64 s[0:1], v[4:5], v[6:7]
	s_cbranch_scc1 .LBB156_25
; %bb.14:
	v_pk_mov_b32 v[14:15], 0, 0
	s_mov_b64 s[8:9], 0
	v_pk_mov_b32 v[16:17], v[14:15], v[14:15] op_sel:[0,1]
	v_pk_mov_b32 v[18:19], v[14:15], v[14:15] op_sel:[0,1]
	;; [unrolled: 1-line block ×3, first 2 shown]
	s_and_saveexec_b64 s[10:11], s[0:1]
	s_cbranch_execz .LBB156_24
; %bb.15:
	v_or_b32_e32 v1, 8, v0
	v_mov_b32_e32 v11, s17
	v_subrev_co_u32_e32 v1, vcc, s16, v1
	v_subb_co_u32_e32 v11, vcc, 0, v11, vcc
	v_add_co_u32_e32 v14, vcc, v1, v22
	v_addc_co_u32_e32 v15, vcc, v11, v23, vcc
	v_cmp_gt_i64_e32 vcc, v[14:15], v[6:7]
	v_cndmask_b32_e32 v1, v7, v15, vcc
	v_cndmask_b32_e32 v11, v6, v14, vcc
	v_mov_b32_e32 v16, s17
	v_sub_co_u32_e32 v17, vcc, s16, v0
	v_not_b32_e32 v15, v22
	v_subbrev_co_u32_e32 v16, vcc, 0, v16, vcc
	v_not_b32_e32 v14, v23
	v_add_co_u32_e32 v15, vcc, v17, v15
	v_addc_co_u32_e32 v14, vcc, v16, v14, vcc
	v_add_co_u32_e32 v28, vcc, v15, v11
	v_addc_co_u32_e32 v29, vcc, v14, v1, vcc
	v_lshrrev_b32_e32 v1, 3, v28
	v_add_u32_e32 v1, 1, v1
	v_and_b32_e32 v1, 3, v1
	v_pk_mov_b32 v[20:21], 0, 0
	v_cmp_ne_u32_e32 vcc, 0, v1
	s_mov_b64 s[18:19], 0
	v_pk_mov_b32 v[18:19], v[20:21], v[20:21] op_sel:[0,1]
	v_pk_mov_b32 v[16:17], v[20:21], v[20:21] op_sel:[0,1]
	;; [unrolled: 1-line block ×5, first 2 shown]
	s_and_saveexec_b64 s[14:15], vcc
	s_cbranch_execz .LBB156_19
; %bb.16:
	v_lshlrev_b64 v[14:15], 2, v[4:5]
	v_mov_b32_e32 v11, s13
	v_add_co_u32_e32 v32, vcc, s12, v14
	v_addc_co_u32_e32 v33, vcc, v11, v15, vcc
	v_pk_mov_b32 v[14:15], 0, 0
	v_mov_b32_e32 v31, 0
	v_lshlrev_b32_e32 v30, 4, v1
	s_movk_i32 s20, 0x200
	v_mov_b32_e32 v1, s7
	v_pk_mov_b32 v[26:27], v[12:13], v[12:13] op_sel:[0,1]
	v_pk_mov_b32 v[24:25], v[4:5], v[4:5] op_sel:[0,1]
	;; [unrolled: 1-line block ×5, first 2 shown]
.LBB156_17:                             ; =>This Inner Loop Header: Depth=1
	global_load_dword v11, v[32:33], off
	global_load_dwordx4 v[34:37], v[26:27], off
	global_load_dwordx4 v[38:41], v[26:27], off offset:16
	global_load_dwordx4 v[42:45], v[26:27], off offset:48
	;; [unrolled: 1-line block ×3, first 2 shown]
	v_add_co_u32_e64 v24, s[2:3], 8, v24
	v_addc_co_u32_e64 v25, s[2:3], 0, v25, s[2:3]
	v_add_co_u32_e64 v32, s[2:3], 32, v32
	v_addc_co_u32_e64 v33, s[2:3], 0, v33, s[2:3]
	v_add_co_u32_e64 v30, s[2:3], -16, v30
	v_addc_co_u32_e64 v31, s[2:3], -1, v31, s[2:3]
	s_waitcnt vmcnt(4)
	v_subrev_u32_e32 v11, s16, v11
	v_lshlrev_b32_e32 v50, 2, v11
	v_ashrrev_i32_e32 v51, 31, v50
	v_lshlrev_b64 v[50:51], 3, v[50:51]
	v_add_co_u32_e32 v58, vcc, s6, v50
	v_addc_co_u32_e32 v59, vcc, v1, v51, vcc
	global_load_dwordx4 v[50:53], v[58:59], off
	global_load_dwordx4 v[54:57], v[58:59], off offset:16
	s_waitcnt vmcnt(5)
	v_cvt_f64_f32_e32 v[58:59], v34
	s_waitcnt vmcnt(4)
	v_cvt_f64_f32_e32 v[62:63], v38
	;; [unrolled: 2-line block ×3, first 2 shown]
	v_cvt_f64_f32_e32 v[70:71], v42
	v_add_co_u32_e32 v26, vcc, s20, v26
	v_cvt_f64_f32_e32 v[34:35], v35
	v_cvt_f64_f32_e32 v[38:39], v39
	;; [unrolled: 1-line block ×4, first 2 shown]
	v_addc_co_u32_e32 v27, vcc, 0, v27, vcc
	v_cvt_f64_f32_e32 v[60:61], v36
	v_cvt_f64_f32_e32 v[64:65], v40
	;; [unrolled: 1-line block ×4, first 2 shown]
	v_cmp_eq_u64_e32 vcc, 0, v[30:31]
	v_cvt_f64_f32_e32 v[36:37], v37
	v_cvt_f64_f32_e32 v[40:41], v41
	;; [unrolled: 1-line block ×4, first 2 shown]
	s_or_b64 s[18:19], vcc, s[18:19]
	s_waitcnt vmcnt(1)
	v_fmac_f64_e32 v[20:21], v[58:59], v[50:51]
	v_fmac_f64_e32 v[18:19], v[62:63], v[50:51]
	;; [unrolled: 1-line block ×8, first 2 shown]
	s_waitcnt vmcnt(0)
	v_fmac_f64_e32 v[20:21], v[60:61], v[54:55]
	v_fmac_f64_e32 v[18:19], v[64:65], v[54:55]
	;; [unrolled: 1-line block ×8, first 2 shown]
	s_andn2_b64 exec, exec, s[18:19]
	s_cbranch_execnz .LBB156_17
; %bb.18:
	s_or_b64 exec, exec, s[18:19]
.LBB156_19:
	s_or_b64 exec, exec, s[14:15]
	v_cmp_lt_u64_e32 vcc, 23, v[28:29]
	s_and_saveexec_b64 s[14:15], vcc
	s_cbranch_execz .LBB156_23
; %bb.20:
	v_lshlrev_b64 v[28:29], 2, v[24:25]
	v_mov_b32_e32 v1, s13
	v_add_co_u32_e32 v11, vcc, s12, v28
	v_addc_co_u32_e32 v1, vcc, v29, v1, vcc
	v_add_co_u32_e32 v28, vcc, 64, v11
	v_addc_co_u32_e32 v29, vcc, 0, v1, vcc
	s_mov_b64 s[18:19], 0
	v_mov_b32_e32 v1, s7
	s_movk_i32 s20, 0x800
.LBB156_21:                             ; =>This Inner Loop Header: Depth=1
	global_load_dwordx4 v[30:33], v[26:27], off
	global_load_dwordx4 v[34:37], v[26:27], off offset:16
	global_load_dwordx4 v[38:41], v[26:27], off offset:32
	;; [unrolled: 1-line block ×7, first 2 shown]
	global_load_dword v11, v[28:29], off offset:-64
	s_waitcnt vmcnt(8)
	v_cvt_f64_f32_e32 v[56:57], v30
	s_waitcnt vmcnt(7)
	v_cvt_f64_f32_e32 v[64:65], v36
	;; [unrolled: 2-line block ×3, first 2 shown]
	v_cvt_f64_f32_e32 v[50:51], v41
	s_waitcnt vmcnt(5)
	v_cvt_f64_f32_e32 v[112:113], v42
	v_cvt_f64_f32_e32 v[114:115], v43
	global_load_dwordx4 v[40:43], v[26:27], off offset:1024
	v_cvt_f64_f32_e32 v[108:109], v38
	s_waitcnt vmcnt(1)
	v_subrev_u32_e32 v11, s16, v11
	v_cvt_f64_f32_e32 v[110:111], v39
	v_cvt_f64_f32_e32 v[86:87], v44
	;; [unrolled: 1-line block ×5, first 2 shown]
	global_load_dwordx4 v[44:47], v[26:27], off offset:1040
	v_cvt_f64_f32_e32 v[60:61], v37
	v_cvt_f64_f32_e32 v[102:103], v31
	;; [unrolled: 1-line block ×20, first 2 shown]
	s_waitcnt vmcnt(1)
	v_cvt_f64_f32_e32 v[38:39], v40
	v_lshlrev_b32_e32 v40, 2, v11
	v_cvt_f64_f32_e32 v[36:37], v41
	v_ashrrev_i32_e32 v41, 31, v40
	v_lshlrev_b64 v[40:41], 3, v[40:41]
	v_add_co_u32_e32 v116, vcc, s6, v40
	v_addc_co_u32_e32 v117, vcc, v1, v41, vcc
	v_cvt_f64_f32_e32 v[32:33], v42
	v_cvt_f64_f32_e32 v[30:31], v43
	global_load_dwordx4 v[40:43], v[116:117], off
	s_waitcnt vmcnt(1)
	v_cvt_f64_f32_e32 v[82:83], v44
	global_load_dword v11, v[28:29], off offset:-32
	s_waitcnt vmcnt(1)
	v_fmac_f64_e32 v[20:21], v[56:57], v[40:41]
	v_fmac_f64_e32 v[18:19], v[104:105], v[40:41]
	v_fmac_f64_e32 v[20:21], v[102:103], v[42:43]
	global_load_dwordx4 v[102:105], v[26:27], off offset:1056
	v_fmac_f64_e32 v[16:17], v[108:109], v[40:41]
	v_fmac_f64_e32 v[14:15], v[112:113], v[40:41]
	;; [unrolled: 1-line block ×5, first 2 shown]
	v_cvt_f64_f32_e32 v[56:57], v45
	v_cvt_f64_f32_e32 v[42:43], v46
	;; [unrolled: 1-line block ×3, first 2 shown]
	s_waitcnt vmcnt(1)
	v_subrev_u32_e32 v11, s16, v11
	s_waitcnt vmcnt(0)
	v_cvt_f64_f32_e32 v[84:85], v102
	v_cvt_f64_f32_e32 v[48:49], v103
	;; [unrolled: 1-line block ×4, first 2 shown]
	global_load_dwordx4 v[102:105], v[116:117], off offset:16
	s_waitcnt vmcnt(0)
	v_fmac_f64_e32 v[20:21], v[58:59], v[102:103]
	v_fmac_f64_e32 v[18:19], v[64:65], v[102:103]
	;; [unrolled: 1-line block ×6, first 2 shown]
	global_load_dwordx4 v[58:61], v[26:27], off offset:1072
	v_fmac_f64_e32 v[16:17], v[50:51], v[104:105]
	v_fmac_f64_e32 v[14:15], v[52:53], v[104:105]
	global_load_dwordx4 v[102:105], v[26:27], off offset:1536
	s_waitcnt vmcnt(1)
	v_cvt_f64_f32_e32 v[52:53], v60
	v_cvt_f64_f32_e32 v[50:51], v61
	;; [unrolled: 1-line block ×3, first 2 shown]
	s_waitcnt vmcnt(0)
	v_cvt_f64_f32_e32 v[70:71], v102
	v_lshlrev_b32_e32 v102, 2, v11
	v_cvt_f64_f32_e32 v[64:65], v103
	v_ashrrev_i32_e32 v103, 31, v102
	v_lshlrev_b64 v[102:103], 3, v[102:103]
	v_add_co_u32_e32 v106, vcc, s6, v102
	v_addc_co_u32_e32 v107, vcc, v1, v103, vcc
	v_cvt_f64_f32_e32 v[60:61], v104
	v_cvt_f64_f32_e32 v[54:55], v105
	global_load_dwordx4 v[102:105], v[106:107], off
	global_load_dword v11, v[28:29], off
	v_cvt_f64_f32_e32 v[58:59], v59
	s_waitcnt vmcnt(1)
	v_fmac_f64_e32 v[20:21], v[90:91], v[102:103]
	v_fmac_f64_e32 v[18:19], v[94:95], v[102:103]
	v_fmac_f64_e32 v[16:17], v[98:99], v[102:103]
	v_fmac_f64_e32 v[14:15], v[100:101], v[102:103]
	v_fmac_f64_e32 v[20:21], v[88:89], v[104:105]
	v_fmac_f64_e32 v[18:19], v[92:93], v[104:105]
	v_fmac_f64_e32 v[16:17], v[96:97], v[104:105]
	global_load_dwordx4 v[88:91], v[26:27], off offset:1552
	v_fmac_f64_e32 v[14:15], v[80:81], v[104:105]
	global_load_dwordx4 v[102:105], v[26:27], off offset:1568
	s_waitcnt vmcnt(2)
	v_subrev_u32_e32 v11, s16, v11
	s_waitcnt vmcnt(1)
	v_cvt_f64_f32_e32 v[96:97], v88
	v_cvt_f64_f32_e32 v[92:93], v89
	;; [unrolled: 1-line block ×4, first 2 shown]
	s_waitcnt vmcnt(0)
	v_cvt_f64_f32_e32 v[100:101], v102
	v_cvt_f64_f32_e32 v[98:99], v103
	;; [unrolled: 1-line block ×4, first 2 shown]
	global_load_dwordx4 v[102:105], v[106:107], off offset:16
	s_waitcnt vmcnt(0)
	v_fmac_f64_e32 v[14:15], v[78:79], v[102:103]
	v_fmac_f64_e32 v[18:19], v[74:75], v[102:103]
	;; [unrolled: 1-line block ×3, first 2 shown]
	v_lshlrev_b32_e32 v34, 2, v11
	global_load_dword v11, v[28:29], off offset:32
	v_fmac_f64_e32 v[20:21], v[66:67], v[102:103]
	v_fmac_f64_e32 v[18:19], v[68:69], v[104:105]
	global_load_dwordx4 v[66:69], v[26:27], off offset:1584
	v_ashrrev_i32_e32 v35, 31, v34
	v_fmac_f64_e32 v[20:21], v[62:63], v[104:105]
	v_lshlrev_b64 v[34:35], 3, v[34:35]
	v_fmac_f64_e32 v[16:17], v[76:77], v[102:103]
	v_add_co_u32_e32 v34, vcc, s6, v34
	v_addc_co_u32_e32 v35, vcc, v1, v35, vcc
	v_fmac_f64_e32 v[16:17], v[72:73], v[104:105]
	global_load_dwordx4 v[72:75], v[34:35], off offset:16
	s_waitcnt vmcnt(2)
	v_subrev_u32_e32 v11, s16, v11
	s_waitcnt vmcnt(1)
	v_cvt_f64_f32_e32 v[62:63], v66
	v_lshlrev_b32_e32 v66, 2, v11
	v_cvt_f64_f32_e32 v[102:103], v67
	v_ashrrev_i32_e32 v67, 31, v66
	v_lshlrev_b64 v[66:67], 3, v[66:67]
	v_add_co_u32_e32 v76, vcc, s6, v66
	v_cvt_f64_f32_e32 v[104:105], v68
	v_cvt_f64_f32_e32 v[106:107], v69
	v_addc_co_u32_e32 v77, vcc, v1, v67, vcc
	global_load_dwordx4 v[66:69], v[34:35], off
	v_add_co_u32_e32 v26, vcc, s20, v26
	s_mov_b64 s[2:3], vcc
	v_add_co_u32_e32 v24, vcc, 32, v24
	v_addc_co_u32_e32 v25, vcc, 0, v25, vcc
	v_addc_co_u32_e64 v27, s[2:3], 0, v27, s[2:3]
	v_add_co_u32_e32 v28, vcc, 0x80, v28
	v_cmp_ge_i64_e64 s[2:3], v[24:25], v[6:7]
	v_addc_co_u32_e32 v29, vcc, 0, v29, vcc
	s_or_b64 s[18:19], s[2:3], s[18:19]
	s_waitcnt vmcnt(0)
	v_fmac_f64_e32 v[20:21], v[38:39], v[66:67]
	v_fmac_f64_e32 v[20:21], v[36:37], v[68:69]
	global_load_dwordx4 v[34:37], v[76:77], off
	v_fmac_f64_e32 v[18:19], v[82:83], v[66:67]
	global_load_dwordx4 v[76:79], v[76:77], off offset:16
	v_fmac_f64_e32 v[16:17], v[84:85], v[66:67]
	v_fmac_f64_e32 v[14:15], v[86:87], v[66:67]
	;; [unrolled: 1-line block ×13, first 2 shown]
	s_waitcnt vmcnt(1)
	v_fmac_f64_e32 v[20:21], v[70:71], v[34:35]
	v_fmac_f64_e32 v[18:19], v[96:97], v[34:35]
	;; [unrolled: 1-line block ×8, first 2 shown]
	s_waitcnt vmcnt(0)
	v_fmac_f64_e32 v[20:21], v[60:61], v[76:77]
	v_fmac_f64_e32 v[18:19], v[88:89], v[76:77]
	;; [unrolled: 1-line block ×8, first 2 shown]
	s_andn2_b64 exec, exec, s[18:19]
	s_cbranch_execnz .LBB156_21
; %bb.22:
	s_or_b64 exec, exec, s[18:19]
.LBB156_23:
	s_or_b64 exec, exec, s[14:15]
.LBB156_24:
	s_or_b64 exec, exec, s[10:11]
	s_andn2_b64 vcc, exec, s[8:9]
	s_cbranch_vccz .LBB156_26
	s_branch .LBB156_37
.LBB156_25:
                                        ; implicit-def: $vgpr14_vgpr15
                                        ; implicit-def: $vgpr16_vgpr17
                                        ; implicit-def: $vgpr18_vgpr19
                                        ; implicit-def: $vgpr20_vgpr21
.LBB156_26:
	v_pk_mov_b32 v[14:15], 0, 0
	v_pk_mov_b32 v[16:17], v[14:15], v[14:15] op_sel:[0,1]
	v_pk_mov_b32 v[18:19], v[14:15], v[14:15] op_sel:[0,1]
	;; [unrolled: 1-line block ×3, first 2 shown]
	s_and_saveexec_b64 s[2:3], s[0:1]
	s_cbranch_execz .LBB156_36
; %bb.27:
	v_or_b32_e32 v1, 8, v0
	v_mov_b32_e32 v11, s17
	v_subrev_co_u32_e32 v1, vcc, s16, v1
	v_subb_co_u32_e32 v11, vcc, 0, v11, vcc
	v_add_co_u32_e32 v14, vcc, v1, v22
	v_addc_co_u32_e32 v15, vcc, v11, v23, vcc
	v_cmp_gt_i64_e32 vcc, v[14:15], v[6:7]
	v_cndmask_b32_e32 v1, v7, v15, vcc
	v_cndmask_b32_e32 v11, v6, v14, vcc
	v_mov_b32_e32 v16, s17
	v_sub_co_u32_e32 v17, vcc, s16, v0
	v_not_b32_e32 v15, v22
	v_subbrev_co_u32_e32 v16, vcc, 0, v16, vcc
	v_not_b32_e32 v14, v23
	v_add_co_u32_e32 v15, vcc, v17, v15
	v_addc_co_u32_e32 v14, vcc, v16, v14, vcc
	v_add_co_u32_e32 v22, vcc, v15, v11
	v_addc_co_u32_e32 v23, vcc, v14, v1, vcc
	v_lshrrev_b32_e32 v1, 3, v22
	v_add_u32_e32 v1, 1, v1
	v_and_b32_e32 v1, 3, v1
	v_pk_mov_b32 v[20:21], 0, 0
	v_cmp_ne_u32_e32 vcc, 0, v1
	s_mov_b64 s[10:11], 0
	v_pk_mov_b32 v[18:19], v[20:21], v[20:21] op_sel:[0,1]
	v_pk_mov_b32 v[16:17], v[20:21], v[20:21] op_sel:[0,1]
	;; [unrolled: 1-line block ×3, first 2 shown]
	s_and_saveexec_b64 s[8:9], vcc
	s_cbranch_execz .LBB156_31
; %bb.28:
	v_lshlrev_b64 v[14:15], 2, v[4:5]
	v_mov_b32_e32 v11, s13
	v_add_co_u32_e32 v26, vcc, s12, v14
	v_addc_co_u32_e32 v27, vcc, v11, v15, vcc
	v_pk_mov_b32 v[14:15], 0, 0
	v_mov_b32_e32 v25, 0
	v_lshlrev_b32_e32 v24, 4, v1
	s_movk_i32 s14, 0x200
	v_mov_b32_e32 v1, s7
	v_pk_mov_b32 v[16:17], v[14:15], v[14:15] op_sel:[0,1]
	v_pk_mov_b32 v[18:19], v[14:15], v[14:15] op_sel:[0,1]
	;; [unrolled: 1-line block ×3, first 2 shown]
.LBB156_29:                             ; =>This Inner Loop Header: Depth=1
	global_load_dword v11, v[26:27], off
	global_load_dwordx4 v[28:31], v[12:13], off offset:16
	global_load_dwordx4 v[32:35], v[12:13], off
	global_load_dwordx4 v[36:39], v[12:13], off offset:32
	v_add_co_u32_e64 v4, s[0:1], 8, v4
	v_addc_co_u32_e64 v5, s[0:1], 0, v5, s[0:1]
	v_add_co_u32_e64 v26, s[0:1], 32, v26
	v_addc_co_u32_e64 v27, s[0:1], 0, v27, s[0:1]
	v_add_co_u32_e64 v24, s[0:1], -16, v24
	v_addc_co_u32_e64 v25, s[0:1], -1, v25, s[0:1]
	s_waitcnt vmcnt(3)
	v_subrev_u32_e32 v11, s16, v11
	v_lshlrev_b32_e32 v40, 2, v11
	v_ashrrev_i32_e32 v41, 31, v40
	v_lshlrev_b64 v[40:41], 3, v[40:41]
	v_add_co_u32_e32 v52, vcc, s6, v40
	v_addc_co_u32_e32 v53, vcc, v1, v41, vcc
	global_load_dwordx4 v[40:43], v[52:53], off offset:16
	global_load_dwordx4 v[44:47], v[52:53], off
	global_load_dwordx4 v[48:51], v[12:13], off offset:48
	s_waitcnt vmcnt(4)
	v_cvt_f64_f32_e32 v[52:53], v32
	v_cvt_f64_f32_e32 v[32:33], v33
	;; [unrolled: 1-line block ×4, first 2 shown]
	v_add_co_u32_e32 v12, vcc, s14, v12
	v_cvt_f64_f32_e32 v[56:57], v28
	v_cvt_f64_f32_e32 v[28:29], v29
	;; [unrolled: 1-line block ×4, first 2 shown]
	v_addc_co_u32_e32 v13, vcc, 0, v13, vcc
	s_waitcnt vmcnt(3)
	v_cvt_f64_f32_e32 v[60:61], v36
	v_cvt_f64_f32_e32 v[36:37], v37
	;; [unrolled: 1-line block ×4, first 2 shown]
	v_cmp_eq_u64_e32 vcc, 0, v[24:25]
	s_or_b64 s[10:11], vcc, s[10:11]
	s_waitcnt vmcnt(1)
	v_fmac_f64_e32 v[20:21], v[52:53], v[44:45]
	v_fmac_f64_e32 v[18:19], v[32:33], v[44:45]
	;; [unrolled: 1-line block ×8, first 2 shown]
	s_waitcnt vmcnt(0)
	v_cvt_f64_f32_e32 v[64:65], v48
	v_cvt_f64_f32_e32 v[48:49], v49
	;; [unrolled: 1-line block ×4, first 2 shown]
	v_fmac_f64_e32 v[20:21], v[60:61], v[40:41]
	v_fmac_f64_e32 v[18:19], v[36:37], v[40:41]
	;; [unrolled: 1-line block ×8, first 2 shown]
	s_andn2_b64 exec, exec, s[10:11]
	s_cbranch_execnz .LBB156_29
; %bb.30:
	s_or_b64 exec, exec, s[10:11]
.LBB156_31:
	s_or_b64 exec, exec, s[8:9]
	v_cmp_lt_u64_e32 vcc, 23, v[22:23]
	s_and_saveexec_b64 s[8:9], vcc
	s_cbranch_execz .LBB156_35
; %bb.32:
	v_lshlrev_b64 v[22:23], 2, v[4:5]
	v_mov_b32_e32 v1, s13
	v_add_co_u32_e32 v11, vcc, s12, v22
	v_addc_co_u32_e32 v1, vcc, v23, v1, vcc
	v_add_co_u32_e32 v22, vcc, 64, v11
	v_addc_co_u32_e32 v23, vcc, 0, v1, vcc
	s_mov_b64 s[10:11], 0
	v_mov_b32_e32 v1, s7
	s_movk_i32 s7, 0x800
.LBB156_33:                             ; =>This Inner Loop Header: Depth=1
	global_load_dwordx4 v[24:27], v[12:13], off
	global_load_dwordx4 v[28:31], v[12:13], off offset:16
	global_load_dwordx4 v[32:35], v[12:13], off offset:32
	;; [unrolled: 1-line block ×6, first 2 shown]
	global_load_dword v11, v[22:23], off offset:-64
	global_load_dword v100, v[22:23], off offset:-32
	global_load_dword v101, v[22:23], off
	global_load_dword v102, v[22:23], off offset:32
	v_add_co_u32_e64 v4, s[0:1], 32, v4
	v_addc_co_u32_e64 v5, s[0:1], 0, v5, s[0:1]
	v_cmp_ge_i64_e64 s[0:1], v[4:5], v[6:7]
	s_or_b64 s[10:11], s[0:1], s[10:11]
	s_waitcnt vmcnt(10)
	v_cvt_f64_f32_e32 v[66:67], v24
	v_cvt_f64_f32_e32 v[68:69], v25
	;; [unrolled: 1-line block ×3, first 2 shown]
	s_waitcnt vmcnt(7)
	v_cvt_f64_f32_e32 v[94:95], v38
	v_cvt_f64_f32_e32 v[96:97], v39
	s_waitcnt vmcnt(6)
	v_cvt_f64_f32_e32 v[52:53], v40
	s_waitcnt vmcnt(4)
	;; [unrolled: 2-line block ×3, first 2 shown]
	v_subrev_u32_e32 v11, s16, v11
	v_lshlrev_b32_e32 v24, 2, v11
	v_ashrrev_i32_e32 v25, 31, v24
	v_lshlrev_b64 v[24:25], 3, v[24:25]
	v_add_co_u32_e32 v62, vcc, s6, v24
	v_cvt_f64_f32_e32 v[54:55], v41
	v_cvt_f64_f32_e32 v[40:41], v63
	v_addc_co_u32_e32 v63, vcc, v1, v25, vcc
	v_cvt_f64_f32_e32 v[72:73], v27
	global_load_dwordx4 v[24:27], v[62:63], off
	v_cvt_f64_f32_e32 v[74:75], v28
	v_cvt_f64_f32_e32 v[76:77], v29
	;; [unrolled: 1-line block ×4, first 2 shown]
	global_load_dwordx4 v[28:31], v[12:13], off offset:560
	s_waitcnt vmcnt(4)
	v_subrev_u32_e32 v11, s16, v100
	v_cvt_f64_f32_e32 v[82:83], v32
	v_cvt_f64_f32_e32 v[84:85], v33
	;; [unrolled: 1-line block ×6, first 2 shown]
	global_load_dwordx4 v[34:37], v[12:13], off offset:1024
	v_cvt_f64_f32_e32 v[56:57], v42
	v_cvt_f64_f32_e32 v[58:59], v43
	;; [unrolled: 1-line block ×8, first 2 shown]
	s_waitcnt vmcnt(2)
	v_fmac_f64_e32 v[20:21], v[66:67], v[24:25]
	v_fmac_f64_e32 v[18:19], v[68:69], v[24:25]
	;; [unrolled: 1-line block ×5, first 2 shown]
	global_load_dwordx4 v[68:71], v[12:13], off offset:1040
	global_load_dwordx4 v[72:75], v[12:13], off offset:1056
	v_fmac_f64_e32 v[18:19], v[76:77], v[26:27]
	v_fmac_f64_e32 v[16:17], v[78:79], v[26:27]
	v_fmac_f64_e32 v[14:15], v[80:81], v[26:27]
	global_load_dwordx4 v[24:27], v[62:63], off offset:16
	s_waitcnt vmcnt(4)
	v_cvt_f64_f32_e32 v[76:77], v28
	v_cvt_f64_f32_e32 v[78:79], v29
	;; [unrolled: 1-line block ×4, first 2 shown]
	s_waitcnt vmcnt(3)
	v_cvt_f64_f32_e32 v[30:31], v34
	v_cvt_f64_f32_e32 v[32:33], v35
	;; [unrolled: 1-line block ×4, first 2 shown]
	s_waitcnt vmcnt(2)
	v_cvt_f64_f32_e32 v[64:65], v68
	s_waitcnt vmcnt(1)
	v_cvt_f64_f32_e32 v[62:63], v72
	v_lshlrev_b32_e32 v72, 2, v11
	v_cvt_f64_f32_e32 v[28:29], v75
	v_subrev_u32_e32 v11, s16, v101
	s_waitcnt vmcnt(0)
	v_fmac_f64_e32 v[20:21], v[82:83], v[24:25]
	v_fmac_f64_e32 v[18:19], v[84:85], v[24:25]
	;; [unrolled: 1-line block ×4, first 2 shown]
	v_cvt_f64_f32_e32 v[24:25], v73
	v_ashrrev_i32_e32 v73, 31, v72
	v_lshlrev_b64 v[72:73], 3, v[72:73]
	v_add_co_u32_e32 v82, vcc, s6, v72
	v_addc_co_u32_e32 v83, vcc, v1, v73, vcc
	v_fmac_f64_e32 v[20:21], v[90:91], v[26:27]
	v_fmac_f64_e32 v[18:19], v[92:93], v[26:27]
	;; [unrolled: 1-line block ×4, first 2 shown]
	v_cvt_f64_f32_e32 v[26:27], v74
	global_load_dwordx4 v[72:75], v[82:83], off
	v_cvt_f64_f32_e32 v[66:67], v69
	v_cvt_f64_f32_e32 v[68:69], v70
	;; [unrolled: 1-line block ×3, first 2 shown]
	s_waitcnt vmcnt(0)
	v_fmac_f64_e32 v[20:21], v[52:53], v[72:73]
	v_fmac_f64_e32 v[18:19], v[54:55], v[72:73]
	;; [unrolled: 1-line block ×8, first 2 shown]
	global_load_dwordx4 v[72:75], v[82:83], off offset:16
	global_load_dwordx4 v[52:55], v[12:13], off offset:1072
	;; [unrolled: 1-line block ×3, first 2 shown]
	s_waitcnt vmcnt(2)
	v_fmac_f64_e32 v[20:21], v[38:39], v[72:73]
	v_fmac_f64_e32 v[18:19], v[40:41], v[72:73]
	global_load_dwordx4 v[38:41], v[12:13], off offset:1552
	v_fmac_f64_e32 v[16:17], v[42:43], v[72:73]
	v_fmac_f64_e32 v[14:15], v[44:45], v[72:73]
	global_load_dwordx4 v[42:45], v[12:13], off offset:1568
	v_fmac_f64_e32 v[20:21], v[76:77], v[74:75]
	v_fmac_f64_e32 v[18:19], v[78:79], v[74:75]
	;; [unrolled: 1-line block ×4, first 2 shown]
	s_waitcnt vmcnt(3)
	v_cvt_f64_f32_e32 v[46:47], v52
	v_cvt_f64_f32_e32 v[48:49], v53
	v_cvt_f64_f32_e32 v[50:51], v54
	v_cvt_f64_f32_e32 v[52:53], v55
	s_waitcnt vmcnt(2)
	v_cvt_f64_f32_e32 v[54:55], v58
	v_cvt_f64_f32_e32 v[56:57], v59
	v_cvt_f64_f32_e32 v[58:59], v60
	v_cvt_f64_f32_e32 v[60:61], v61
	;; [unrolled: 5-line block ×3, first 2 shown]
	global_load_dwordx4 v[38:41], v[12:13], off offset:1584
	s_waitcnt vmcnt(1)
	v_cvt_f64_f32_e32 v[80:81], v42
	v_cvt_f64_f32_e32 v[42:43], v43
	;; [unrolled: 1-line block ×4, first 2 shown]
	s_waitcnt vmcnt(0)
	v_cvt_f64_f32_e32 v[84:85], v38
	v_lshlrev_b32_e32 v38, 2, v11
	v_cvt_f64_f32_e32 v[86:87], v39
	v_ashrrev_i32_e32 v39, 31, v38
	v_lshlrev_b64 v[38:39], 3, v[38:39]
	v_subrev_u32_e32 v11, s16, v102
	v_add_co_u32_e32 v92, vcc, s6, v38
	v_lshlrev_b32_e32 v38, 2, v11
	v_addc_co_u32_e32 v93, vcc, v1, v39, vcc
	v_ashrrev_i32_e32 v39, 31, v38
	v_lshlrev_b64 v[38:39], 3, v[38:39]
	v_add_co_u32_e32 v94, vcc, s6, v38
	v_cvt_f64_f32_e32 v[88:89], v40
	v_cvt_f64_f32_e32 v[90:91], v41
	v_addc_co_u32_e32 v95, vcc, v1, v39, vcc
	global_load_dwordx4 v[38:41], v[92:93], off
	v_add_co_u32_e32 v12, vcc, s7, v12
	v_addc_co_u32_e32 v13, vcc, 0, v13, vcc
	v_add_co_u32_e32 v22, vcc, 0x80, v22
	v_addc_co_u32_e32 v23, vcc, 0, v23, vcc
	s_waitcnt vmcnt(0)
	v_fmac_f64_e32 v[20:21], v[30:31], v[38:39]
	v_fmac_f64_e32 v[18:19], v[32:33], v[38:39]
	;; [unrolled: 1-line block ×4, first 2 shown]
	global_load_dwordx4 v[30:33], v[92:93], off offset:16
	global_load_dwordx4 v[34:37], v[94:95], off
	v_fmac_f64_e32 v[20:21], v[64:65], v[40:41]
	v_fmac_f64_e32 v[18:19], v[66:67], v[40:41]
	;; [unrolled: 1-line block ×4, first 2 shown]
	global_load_dwordx4 v[38:41], v[94:95], off offset:16
	s_waitcnt vmcnt(2)
	v_fmac_f64_e32 v[20:21], v[62:63], v[30:31]
	v_fmac_f64_e32 v[18:19], v[24:25], v[30:31]
	v_fmac_f64_e32 v[16:17], v[26:27], v[30:31]
	v_fmac_f64_e32 v[14:15], v[28:29], v[30:31]
	v_fmac_f64_e32 v[20:21], v[46:47], v[32:33]
	v_fmac_f64_e32 v[18:19], v[48:49], v[32:33]
	v_fmac_f64_e32 v[16:17], v[50:51], v[32:33]
	v_fmac_f64_e32 v[14:15], v[52:53], v[32:33]
	s_waitcnt vmcnt(1)
	v_fmac_f64_e32 v[20:21], v[54:55], v[34:35]
	v_fmac_f64_e32 v[18:19], v[56:57], v[34:35]
	v_fmac_f64_e32 v[16:17], v[58:59], v[34:35]
	v_fmac_f64_e32 v[14:15], v[60:61], v[34:35]
	v_fmac_f64_e32 v[20:21], v[72:73], v[36:37]
	v_fmac_f64_e32 v[18:19], v[74:75], v[36:37]
	v_fmac_f64_e32 v[16:17], v[76:77], v[36:37]
	v_fmac_f64_e32 v[14:15], v[78:79], v[36:37]
	;; [unrolled: 9-line block ×3, first 2 shown]
	s_andn2_b64 exec, exec, s[10:11]
	s_cbranch_execnz .LBB156_33
; %bb.34:
	s_or_b64 exec, exec, s[10:11]
.LBB156_35:
	s_or_b64 exec, exec, s[8:9]
.LBB156_36:
	s_or_b64 exec, exec, s[2:3]
.LBB156_37:
	v_mov_b32_dpp v4, v20 row_shr:1 row_mask:0xf bank_mask:0xf
	v_mov_b32_dpp v5, v21 row_shr:1 row_mask:0xf bank_mask:0xf
	v_add_f64 v[4:5], v[20:21], v[4:5]
	v_mov_b32_dpp v12, v18 row_shr:1 row_mask:0xf bank_mask:0xf
	v_mov_b32_dpp v13, v19 row_shr:1 row_mask:0xf bank_mask:0xf
	;; [unrolled: 1-line block ×6, first 2 shown]
	v_add_f64 v[12:13], v[18:19], v[12:13]
	v_add_f64 v[16:17], v[16:17], v[20:21]
	;; [unrolled: 1-line block ×3, first 2 shown]
	v_mov_b32_dpp v6, v4 row_shr:2 row_mask:0xf bank_mask:0xf
	v_mov_b32_dpp v7, v5 row_shr:2 row_mask:0xf bank_mask:0xf
	;; [unrolled: 1-line block ×8, first 2 shown]
	v_add_f64 v[4:5], v[4:5], v[6:7]
	v_add_f64 v[12:13], v[12:13], v[18:19]
	v_add_f64 v[16:17], v[16:17], v[20:21]
	v_add_f64 v[14:15], v[14:15], v[22:23]
	v_mov_b32_dpp v6, v4 row_shr:4 row_mask:0xf bank_mask:0xe
	v_mov_b32_dpp v7, v5 row_shr:4 row_mask:0xf bank_mask:0xe
	;; [unrolled: 1-line block ×8, first 2 shown]
	v_cmp_eq_u32_e32 vcc, 7, v0
	s_and_b64 exec, exec, vcc
	s_cbranch_execz .LBB156_10
; %bb.38:
	s_load_dwordx2 s[0:1], s[4:5], 0x50
	v_add_f64 v[0:1], v[4:5], v[6:7]
	v_add_f64 v[6:7], v[12:13], v[18:19]
	v_add_f64 v[12:13], v[16:17], v[20:21]
	v_add_f64 v[14:15], v[14:15], v[22:23]
	v_cmp_eq_f64_e32 vcc, 0, v[8:9]
	v_mul_f64 v[4:5], v[2:3], v[0:1]
	v_mul_f64 v[6:7], v[2:3], v[6:7]
	v_mul_f64 v[0:1], v[2:3], v[12:13]
	v_mul_f64 v[2:3], v[2:3], v[14:15]
	v_lshlrev_b32_e32 v10, 2, v10
	s_and_saveexec_b64 s[2:3], vcc
	s_xor_b64 s[2:3], exec, s[2:3]
	s_cbranch_execz .LBB156_40
; %bb.39:
	v_ashrrev_i32_e32 v11, 31, v10
	v_lshlrev_b64 v[8:9], 3, v[10:11]
	s_waitcnt lgkmcnt(0)
	v_mov_b32_e32 v10, s1
	v_add_co_u32_e32 v8, vcc, s0, v8
	v_addc_co_u32_e32 v9, vcc, v10, v9, vcc
	global_store_dwordx4 v[8:9], v[4:7], off
	global_store_dwordx4 v[8:9], v[0:3], off offset:16
                                        ; implicit-def: $vgpr10
                                        ; implicit-def: $vgpr8_vgpr9
                                        ; implicit-def: $vgpr4_vgpr5
                                        ; implicit-def: $vgpr0_vgpr1
.LBB156_40:
	s_andn2_saveexec_b64 s[2:3], s[2:3]
	s_cbranch_execz .LBB156_10
; %bb.41:
	v_ashrrev_i32_e32 v11, 31, v10
	v_lshlrev_b64 v[10:11], 3, v[10:11]
	s_waitcnt lgkmcnt(0)
	v_mov_b32_e32 v12, s1
	v_add_co_u32_e32 v18, vcc, s0, v10
	v_addc_co_u32_e32 v19, vcc, v12, v11, vcc
	global_load_dwordx4 v[10:13], v[18:19], off
	global_load_dwordx4 v[14:17], v[18:19], off offset:16
	s_waitcnt vmcnt(1)
	v_fmac_f64_e32 v[4:5], v[8:9], v[10:11]
	v_fmac_f64_e32 v[6:7], v[8:9], v[12:13]
	s_waitcnt vmcnt(0)
	v_fmac_f64_e32 v[0:1], v[8:9], v[14:15]
	v_fmac_f64_e32 v[2:3], v[8:9], v[16:17]
	global_store_dwordx4 v[18:19], v[4:7], off
	global_store_dwordx4 v[18:19], v[0:3], off offset:16
	s_endpgm
	.section	.rodata,"a",@progbits
	.p2align	6, 0x0
	.amdhsa_kernel _ZN9rocsparseL18bsrxmvn_4x4_kernelILj128ELj8EdlifddEEvT3_20rocsparse_direction_NS_24const_host_device_scalarIT1_EES1_PKS1_PKT2_SA_S7_PKT4_PKT5_S5_PT6_21rocsparse_index_base_b
		.amdhsa_group_segment_fixed_size 0
		.amdhsa_private_segment_fixed_size 0
		.amdhsa_kernarg_size 96
		.amdhsa_user_sgpr_count 6
		.amdhsa_user_sgpr_private_segment_buffer 1
		.amdhsa_user_sgpr_dispatch_ptr 0
		.amdhsa_user_sgpr_queue_ptr 0
		.amdhsa_user_sgpr_kernarg_segment_ptr 1
		.amdhsa_user_sgpr_dispatch_id 0
		.amdhsa_user_sgpr_flat_scratch_init 0
		.amdhsa_user_sgpr_kernarg_preload_length 0
		.amdhsa_user_sgpr_kernarg_preload_offset 0
		.amdhsa_user_sgpr_private_segment_size 0
		.amdhsa_uses_dynamic_stack 0
		.amdhsa_system_sgpr_private_segment_wavefront_offset 0
		.amdhsa_system_sgpr_workgroup_id_x 1
		.amdhsa_system_sgpr_workgroup_id_y 0
		.amdhsa_system_sgpr_workgroup_id_z 0
		.amdhsa_system_sgpr_workgroup_info 0
		.amdhsa_system_vgpr_workitem_id 0
		.amdhsa_next_free_vgpr 118
		.amdhsa_next_free_sgpr 21
		.amdhsa_accum_offset 120
		.amdhsa_reserve_vcc 1
		.amdhsa_reserve_flat_scratch 0
		.amdhsa_float_round_mode_32 0
		.amdhsa_float_round_mode_16_64 0
		.amdhsa_float_denorm_mode_32 3
		.amdhsa_float_denorm_mode_16_64 3
		.amdhsa_dx10_clamp 1
		.amdhsa_ieee_mode 1
		.amdhsa_fp16_overflow 0
		.amdhsa_tg_split 0
		.amdhsa_exception_fp_ieee_invalid_op 0
		.amdhsa_exception_fp_denorm_src 0
		.amdhsa_exception_fp_ieee_div_zero 0
		.amdhsa_exception_fp_ieee_overflow 0
		.amdhsa_exception_fp_ieee_underflow 0
		.amdhsa_exception_fp_ieee_inexact 0
		.amdhsa_exception_int_div_zero 0
	.end_amdhsa_kernel
	.section	.text._ZN9rocsparseL18bsrxmvn_4x4_kernelILj128ELj8EdlifddEEvT3_20rocsparse_direction_NS_24const_host_device_scalarIT1_EES1_PKS1_PKT2_SA_S7_PKT4_PKT5_S5_PT6_21rocsparse_index_base_b,"axG",@progbits,_ZN9rocsparseL18bsrxmvn_4x4_kernelILj128ELj8EdlifddEEvT3_20rocsparse_direction_NS_24const_host_device_scalarIT1_EES1_PKS1_PKT2_SA_S7_PKT4_PKT5_S5_PT6_21rocsparse_index_base_b,comdat
.Lfunc_end156:
	.size	_ZN9rocsparseL18bsrxmvn_4x4_kernelILj128ELj8EdlifddEEvT3_20rocsparse_direction_NS_24const_host_device_scalarIT1_EES1_PKS1_PKT2_SA_S7_PKT4_PKT5_S5_PT6_21rocsparse_index_base_b, .Lfunc_end156-_ZN9rocsparseL18bsrxmvn_4x4_kernelILj128ELj8EdlifddEEvT3_20rocsparse_direction_NS_24const_host_device_scalarIT1_EES1_PKS1_PKT2_SA_S7_PKT4_PKT5_S5_PT6_21rocsparse_index_base_b
                                        ; -- End function
	.section	.AMDGPU.csdata,"",@progbits
; Kernel info:
; codeLenInByte = 4256
; NumSgprs: 25
; NumVgprs: 118
; NumAgprs: 0
; TotalNumVgprs: 118
; ScratchSize: 0
; MemoryBound: 0
; FloatMode: 240
; IeeeMode: 1
; LDSByteSize: 0 bytes/workgroup (compile time only)
; SGPRBlocks: 3
; VGPRBlocks: 14
; NumSGPRsForWavesPerEU: 25
; NumVGPRsForWavesPerEU: 118
; AccumOffset: 120
; Occupancy: 4
; WaveLimiterHint : 1
; COMPUTE_PGM_RSRC2:SCRATCH_EN: 0
; COMPUTE_PGM_RSRC2:USER_SGPR: 6
; COMPUTE_PGM_RSRC2:TRAP_HANDLER: 0
; COMPUTE_PGM_RSRC2:TGID_X_EN: 1
; COMPUTE_PGM_RSRC2:TGID_Y_EN: 0
; COMPUTE_PGM_RSRC2:TGID_Z_EN: 0
; COMPUTE_PGM_RSRC2:TIDIG_COMP_CNT: 0
; COMPUTE_PGM_RSRC3_GFX90A:ACCUM_OFFSET: 29
; COMPUTE_PGM_RSRC3_GFX90A:TG_SPLIT: 0
	.section	.text._ZN9rocsparseL18bsrxmvn_4x4_kernelILj128ELj16EdlifddEEvT3_20rocsparse_direction_NS_24const_host_device_scalarIT1_EES1_PKS1_PKT2_SA_S7_PKT4_PKT5_S5_PT6_21rocsparse_index_base_b,"axG",@progbits,_ZN9rocsparseL18bsrxmvn_4x4_kernelILj128ELj16EdlifddEEvT3_20rocsparse_direction_NS_24const_host_device_scalarIT1_EES1_PKS1_PKT2_SA_S7_PKT4_PKT5_S5_PT6_21rocsparse_index_base_b,comdat
	.globl	_ZN9rocsparseL18bsrxmvn_4x4_kernelILj128ELj16EdlifddEEvT3_20rocsparse_direction_NS_24const_host_device_scalarIT1_EES1_PKS1_PKT2_SA_S7_PKT4_PKT5_S5_PT6_21rocsparse_index_base_b ; -- Begin function _ZN9rocsparseL18bsrxmvn_4x4_kernelILj128ELj16EdlifddEEvT3_20rocsparse_direction_NS_24const_host_device_scalarIT1_EES1_PKS1_PKT2_SA_S7_PKT4_PKT5_S5_PT6_21rocsparse_index_base_b
	.p2align	8
	.type	_ZN9rocsparseL18bsrxmvn_4x4_kernelILj128ELj16EdlifddEEvT3_20rocsparse_direction_NS_24const_host_device_scalarIT1_EES1_PKS1_PKT2_SA_S7_PKT4_PKT5_S5_PT6_21rocsparse_index_base_b,@function
_ZN9rocsparseL18bsrxmvn_4x4_kernelILj128ELj16EdlifddEEvT3_20rocsparse_direction_NS_24const_host_device_scalarIT1_EES1_PKS1_PKT2_SA_S7_PKT4_PKT5_S5_PT6_21rocsparse_index_base_b: ; @_ZN9rocsparseL18bsrxmvn_4x4_kernelILj128ELj16EdlifddEEvT3_20rocsparse_direction_NS_24const_host_device_scalarIT1_EES1_PKS1_PKT2_SA_S7_PKT4_PKT5_S5_PT6_21rocsparse_index_base_b
; %bb.0:
	s_load_dwordx2 s[16:17], s[4:5], 0x58
	s_load_dwordx2 s[8:9], s[4:5], 0x8
	;; [unrolled: 1-line block ×3, first 2 shown]
	s_waitcnt lgkmcnt(0)
	s_bitcmp1_b32 s17, 0
	s_cselect_b64 s[10:11], -1, 0
	s_xor_b64 s[2:3], s[10:11], -1
	s_and_b64 vcc, exec, s[10:11]
	v_pk_mov_b32 v[2:3], s[8:9], s[8:9] op_sel:[0,1]
	s_cbranch_vccnz .LBB157_2
; %bb.1:
	v_pk_mov_b32 v[2:3], s[8:9], s[8:9] op_sel:[0,1]
	flat_load_dwordx2 v[2:3], v[2:3]
.LBB157_2:
	s_andn2_b64 vcc, exec, s[2:3]
	v_pk_mov_b32 v[8:9], s[0:1], s[0:1] op_sel:[0,1]
	s_cbranch_vccnz .LBB157_4
; %bb.3:
	v_pk_mov_b32 v[4:5], s[0:1], s[0:1] op_sel:[0,1]
	flat_load_dwordx2 v[8:9], v[4:5]
.LBB157_4:
	s_waitcnt vmcnt(0) lgkmcnt(0)
	v_cmp_neq_f64_e32 vcc, 0, v[2:3]
	v_cmp_neq_f64_e64 s[0:1], 1.0, v[8:9]
	s_mov_b64 s[2:3], 0
	s_or_b64 s[0:1], vcc, s[0:1]
	s_and_saveexec_b64 s[8:9], s[0:1]
	s_cbranch_execz .LBB157_10
; %bb.5:
	s_load_dwordx2 s[8:9], s[4:5], 0x18
	s_load_dwordx2 s[0:1], s[4:5], 0x0
	v_lshrrev_b32_e32 v1, 4, v0
	v_lshl_or_b32 v10, s6, 3, v1
	s_mov_b64 s[6:7], 0
	s_waitcnt lgkmcnt(0)
	s_cmp_lg_u64 s[8:9], 0
	s_cbranch_scc0 .LBB157_11
; %bb.6:
	s_load_dword s2, s[4:5], 0x10
                                        ; implicit-def: $vgpr1
	s_waitcnt lgkmcnt(0)
	v_cmp_gt_i32_e32 vcc, s2, v10
	s_and_saveexec_b64 s[2:3], vcc
	s_xor_b64 s[2:3], exec, s[2:3]
	s_cbranch_execz .LBB157_8
; %bb.7:
	v_ashrrev_i32_e32 v11, 31, v10
	v_lshlrev_b64 v[4:5], 2, v[10:11]
	v_mov_b32_e32 v1, s9
	v_add_co_u32_e32 v4, vcc, s8, v4
	v_addc_co_u32_e32 v5, vcc, v1, v5, vcc
	global_load_dword v1, v[4:5], off
	s_mov_b64 s[6:7], exec
	s_waitcnt vmcnt(0)
	v_subrev_u32_e32 v1, s16, v1
.LBB157_8:
	s_or_b64 exec, exec, s[2:3]
	s_mov_b64 s[2:3], s[6:7]
	s_branch .LBB157_12
.LBB157_9:
	v_cmp_gt_i32_e32 vcc, s0, v10
	s_andn2_b64 s[2:3], s[2:3], exec
	s_and_b64 s[6:7], vcc, exec
	s_or_b64 s[2:3], s[2:3], s[6:7]
	s_and_b64 exec, exec, s[2:3]
	s_cbranch_execnz .LBB157_13
.LBB157_10:
	s_endpgm
.LBB157_11:
                                        ; implicit-def: $vgpr1
	s_cbranch_execnz .LBB157_9
.LBB157_12:
	v_mov_b32_e32 v10, v1
	s_and_b64 exec, exec, s[2:3]
	s_cbranch_execz .LBB157_10
.LBB157_13:
	s_load_dwordx8 s[8:15], s[4:5], 0x20
	v_ashrrev_i32_e32 v11, 31, v10
	v_lshlrev_b64 v[4:5], 3, v[10:11]
	v_and_b32_e32 v0, 15, v0
	s_load_dwordx2 s[6:7], s[4:5], 0x40
	s_waitcnt lgkmcnt(0)
	v_mov_b32_e32 v1, s9
	v_add_co_u32_e32 v6, vcc, s8, v4
	v_addc_co_u32_e32 v7, vcc, v1, v5, vcc
	v_add_co_u32_e32 v1, vcc, 8, v6
	global_load_dwordx2 v[22:23], v[6:7], off
	v_addc_co_u32_e32 v6, vcc, 0, v7, vcc
	v_mov_b32_e32 v7, s11
	v_add_co_u32_e32 v4, vcc, s10, v4
	s_cmp_eq_u64 s[10:11], 0
	v_addc_co_u32_e32 v5, vcc, v7, v5, vcc
	s_cselect_b64 vcc, -1, 0
	v_cndmask_b32_e32 v5, v5, v6, vcc
	v_cndmask_b32_e32 v4, v4, v1, vcc
	global_load_dwordx2 v[6:7], v[4:5], off
	v_mov_b32_e32 v1, s15
	s_mov_b32 s17, 0
	s_cmp_eq_u32 s1, 1
	s_waitcnt vmcnt(1)
	v_subrev_co_u32_e32 v4, vcc, s16, v22
	v_subbrev_co_u32_e32 v5, vcc, 0, v23, vcc
	v_add_co_u32_e32 v4, vcc, v4, v0
	v_addc_co_u32_e32 v5, vcc, 0, v5, vcc
	v_lshlrev_b64 v[12:13], 6, v[4:5]
	s_waitcnt vmcnt(0)
	v_subrev_co_u32_e32 v6, vcc, s16, v6
	v_subbrev_co_u32_e32 v7, vcc, 0, v7, vcc
	v_add_co_u32_e32 v12, vcc, s14, v12
	v_addc_co_u32_e32 v13, vcc, v1, v13, vcc
	v_cmp_lt_i64_e64 s[0:1], v[4:5], v[6:7]
	s_cbranch_scc1 .LBB157_25
; %bb.14:
	v_pk_mov_b32 v[14:15], 0, 0
	s_mov_b64 s[8:9], 0
	v_pk_mov_b32 v[16:17], v[14:15], v[14:15] op_sel:[0,1]
	v_pk_mov_b32 v[18:19], v[14:15], v[14:15] op_sel:[0,1]
	;; [unrolled: 1-line block ×3, first 2 shown]
	s_and_saveexec_b64 s[10:11], s[0:1]
	s_cbranch_execz .LBB157_24
; %bb.15:
	v_or_b32_e32 v1, 16, v0
	v_mov_b32_e32 v11, s17
	v_subrev_co_u32_e32 v1, vcc, s16, v1
	v_subb_co_u32_e32 v11, vcc, 0, v11, vcc
	v_add_co_u32_e32 v14, vcc, v1, v22
	v_addc_co_u32_e32 v15, vcc, v11, v23, vcc
	v_cmp_gt_i64_e32 vcc, v[14:15], v[6:7]
	v_cndmask_b32_e32 v1, v7, v15, vcc
	v_cndmask_b32_e32 v11, v6, v14, vcc
	v_mov_b32_e32 v16, s17
	v_sub_co_u32_e32 v17, vcc, s16, v0
	v_not_b32_e32 v15, v22
	v_subbrev_co_u32_e32 v16, vcc, 0, v16, vcc
	v_not_b32_e32 v14, v23
	v_add_co_u32_e32 v15, vcc, v17, v15
	v_addc_co_u32_e32 v14, vcc, v16, v14, vcc
	v_add_co_u32_e32 v28, vcc, v15, v11
	v_addc_co_u32_e32 v29, vcc, v14, v1, vcc
	v_lshrrev_b32_e32 v1, 4, v28
	v_add_u32_e32 v1, 1, v1
	v_and_b32_e32 v1, 3, v1
	v_pk_mov_b32 v[20:21], 0, 0
	v_cmp_ne_u32_e32 vcc, 0, v1
	s_mov_b64 s[18:19], 0
	v_pk_mov_b32 v[18:19], v[20:21], v[20:21] op_sel:[0,1]
	v_pk_mov_b32 v[16:17], v[20:21], v[20:21] op_sel:[0,1]
	;; [unrolled: 1-line block ×5, first 2 shown]
	s_and_saveexec_b64 s[14:15], vcc
	s_cbranch_execz .LBB157_19
; %bb.16:
	v_lshlrev_b64 v[14:15], 2, v[4:5]
	v_mov_b32_e32 v11, s13
	v_add_co_u32_e32 v32, vcc, s12, v14
	v_addc_co_u32_e32 v33, vcc, v11, v15, vcc
	v_pk_mov_b32 v[14:15], 0, 0
	v_mov_b32_e32 v31, 0
	v_lshlrev_b32_e32 v30, 4, v1
	s_movk_i32 s20, 0x400
	v_mov_b32_e32 v1, s7
	v_pk_mov_b32 v[26:27], v[12:13], v[12:13] op_sel:[0,1]
	v_pk_mov_b32 v[24:25], v[4:5], v[4:5] op_sel:[0,1]
	;; [unrolled: 1-line block ×5, first 2 shown]
.LBB157_17:                             ; =>This Inner Loop Header: Depth=1
	global_load_dword v11, v[32:33], off
	global_load_dwordx4 v[34:37], v[26:27], off
	global_load_dwordx4 v[38:41], v[26:27], off offset:16
	global_load_dwordx4 v[42:45], v[26:27], off offset:48
	;; [unrolled: 1-line block ×3, first 2 shown]
	v_add_co_u32_e64 v24, s[2:3], 16, v24
	v_addc_co_u32_e64 v25, s[2:3], 0, v25, s[2:3]
	v_add_co_u32_e64 v32, s[2:3], 64, v32
	v_addc_co_u32_e64 v33, s[2:3], 0, v33, s[2:3]
	v_add_co_u32_e64 v30, s[2:3], -16, v30
	v_addc_co_u32_e64 v31, s[2:3], -1, v31, s[2:3]
	s_waitcnt vmcnt(4)
	v_subrev_u32_e32 v11, s16, v11
	v_lshlrev_b32_e32 v50, 2, v11
	v_ashrrev_i32_e32 v51, 31, v50
	v_lshlrev_b64 v[50:51], 3, v[50:51]
	v_add_co_u32_e32 v58, vcc, s6, v50
	v_addc_co_u32_e32 v59, vcc, v1, v51, vcc
	global_load_dwordx4 v[50:53], v[58:59], off
	global_load_dwordx4 v[54:57], v[58:59], off offset:16
	s_waitcnt vmcnt(5)
	v_cvt_f64_f32_e32 v[58:59], v34
	s_waitcnt vmcnt(4)
	v_cvt_f64_f32_e32 v[62:63], v38
	;; [unrolled: 2-line block ×3, first 2 shown]
	v_cvt_f64_f32_e32 v[70:71], v42
	v_add_co_u32_e32 v26, vcc, s20, v26
	v_cvt_f64_f32_e32 v[34:35], v35
	v_cvt_f64_f32_e32 v[38:39], v39
	;; [unrolled: 1-line block ×4, first 2 shown]
	v_addc_co_u32_e32 v27, vcc, 0, v27, vcc
	v_cvt_f64_f32_e32 v[60:61], v36
	v_cvt_f64_f32_e32 v[64:65], v40
	;; [unrolled: 1-line block ×4, first 2 shown]
	v_cmp_eq_u64_e32 vcc, 0, v[30:31]
	v_cvt_f64_f32_e32 v[36:37], v37
	v_cvt_f64_f32_e32 v[40:41], v41
	;; [unrolled: 1-line block ×4, first 2 shown]
	s_or_b64 s[18:19], vcc, s[18:19]
	s_waitcnt vmcnt(1)
	v_fmac_f64_e32 v[20:21], v[58:59], v[50:51]
	v_fmac_f64_e32 v[18:19], v[62:63], v[50:51]
	;; [unrolled: 1-line block ×8, first 2 shown]
	s_waitcnt vmcnt(0)
	v_fmac_f64_e32 v[20:21], v[60:61], v[54:55]
	v_fmac_f64_e32 v[18:19], v[64:65], v[54:55]
	;; [unrolled: 1-line block ×8, first 2 shown]
	s_andn2_b64 exec, exec, s[18:19]
	s_cbranch_execnz .LBB157_17
; %bb.18:
	s_or_b64 exec, exec, s[18:19]
.LBB157_19:
	s_or_b64 exec, exec, s[14:15]
	v_cmp_lt_u64_e32 vcc, 47, v[28:29]
	s_and_saveexec_b64 s[14:15], vcc
	s_cbranch_execz .LBB157_23
; %bb.20:
	v_lshlrev_b64 v[28:29], 2, v[24:25]
	v_mov_b32_e32 v1, s13
	v_add_co_u32_e32 v11, vcc, s12, v28
	v_addc_co_u32_e32 v1, vcc, v29, v1, vcc
	v_add_co_u32_e32 v28, vcc, 0x80, v11
	v_addc_co_u32_e32 v29, vcc, 0, v1, vcc
	s_mov_b64 s[18:19], 0
	v_mov_b32_e32 v1, s7
	s_movk_i32 s20, 0x1000
.LBB157_21:                             ; =>This Inner Loop Header: Depth=1
	global_load_dwordx4 v[30:33], v[26:27], off
	global_load_dwordx4 v[34:37], v[26:27], off offset:16
	global_load_dwordx4 v[38:41], v[26:27], off offset:32
	;; [unrolled: 1-line block ×7, first 2 shown]
	global_load_dword v11, v[28:29], off offset:-128
	s_waitcnt vmcnt(8)
	v_cvt_f64_f32_e32 v[56:57], v30
	s_waitcnt vmcnt(7)
	v_cvt_f64_f32_e32 v[64:65], v36
	;; [unrolled: 2-line block ×3, first 2 shown]
	v_cvt_f64_f32_e32 v[50:51], v41
	s_waitcnt vmcnt(5)
	v_cvt_f64_f32_e32 v[112:113], v42
	v_cvt_f64_f32_e32 v[114:115], v43
	global_load_dwordx4 v[40:43], v[26:27], off offset:2048
	v_cvt_f64_f32_e32 v[108:109], v38
	s_waitcnt vmcnt(1)
	v_subrev_u32_e32 v11, s16, v11
	v_cvt_f64_f32_e32 v[110:111], v39
	v_cvt_f64_f32_e32 v[86:87], v44
	;; [unrolled: 1-line block ×5, first 2 shown]
	global_load_dwordx4 v[44:47], v[26:27], off offset:2064
	v_cvt_f64_f32_e32 v[60:61], v37
	v_cvt_f64_f32_e32 v[102:103], v31
	;; [unrolled: 1-line block ×20, first 2 shown]
	s_waitcnt vmcnt(1)
	v_cvt_f64_f32_e32 v[38:39], v40
	v_lshlrev_b32_e32 v40, 2, v11
	v_cvt_f64_f32_e32 v[36:37], v41
	v_ashrrev_i32_e32 v41, 31, v40
	v_lshlrev_b64 v[40:41], 3, v[40:41]
	v_add_co_u32_e32 v116, vcc, s6, v40
	v_addc_co_u32_e32 v117, vcc, v1, v41, vcc
	v_cvt_f64_f32_e32 v[32:33], v42
	v_cvt_f64_f32_e32 v[30:31], v43
	global_load_dwordx4 v[40:43], v[116:117], off
	s_waitcnt vmcnt(1)
	v_cvt_f64_f32_e32 v[82:83], v44
	global_load_dword v11, v[28:29], off offset:-64
	s_waitcnt vmcnt(1)
	v_fmac_f64_e32 v[20:21], v[56:57], v[40:41]
	v_fmac_f64_e32 v[18:19], v[104:105], v[40:41]
	;; [unrolled: 1-line block ×3, first 2 shown]
	global_load_dwordx4 v[102:105], v[26:27], off offset:2080
	v_fmac_f64_e32 v[16:17], v[108:109], v[40:41]
	v_fmac_f64_e32 v[14:15], v[112:113], v[40:41]
	;; [unrolled: 1-line block ×5, first 2 shown]
	v_cvt_f64_f32_e32 v[56:57], v45
	v_cvt_f64_f32_e32 v[42:43], v46
	;; [unrolled: 1-line block ×3, first 2 shown]
	s_waitcnt vmcnt(1)
	v_subrev_u32_e32 v11, s16, v11
	s_waitcnt vmcnt(0)
	v_cvt_f64_f32_e32 v[84:85], v102
	v_cvt_f64_f32_e32 v[48:49], v103
	v_cvt_f64_f32_e32 v[46:47], v104
	v_cvt_f64_f32_e32 v[44:45], v105
	global_load_dwordx4 v[102:105], v[116:117], off offset:16
	s_waitcnt vmcnt(0)
	v_fmac_f64_e32 v[20:21], v[58:59], v[102:103]
	v_fmac_f64_e32 v[18:19], v[64:65], v[102:103]
	;; [unrolled: 1-line block ×6, first 2 shown]
	global_load_dwordx4 v[58:61], v[26:27], off offset:2096
	v_fmac_f64_e32 v[16:17], v[50:51], v[104:105]
	v_fmac_f64_e32 v[14:15], v[52:53], v[104:105]
	global_load_dwordx4 v[102:105], v[26:27], off offset:3072
	s_waitcnt vmcnt(1)
	v_cvt_f64_f32_e32 v[52:53], v60
	v_cvt_f64_f32_e32 v[50:51], v61
	;; [unrolled: 1-line block ×3, first 2 shown]
	s_waitcnt vmcnt(0)
	v_cvt_f64_f32_e32 v[70:71], v102
	v_lshlrev_b32_e32 v102, 2, v11
	v_cvt_f64_f32_e32 v[64:65], v103
	v_ashrrev_i32_e32 v103, 31, v102
	v_lshlrev_b64 v[102:103], 3, v[102:103]
	v_add_co_u32_e32 v106, vcc, s6, v102
	v_addc_co_u32_e32 v107, vcc, v1, v103, vcc
	v_cvt_f64_f32_e32 v[60:61], v104
	v_cvt_f64_f32_e32 v[54:55], v105
	global_load_dwordx4 v[102:105], v[106:107], off
	global_load_dword v11, v[28:29], off
	v_cvt_f64_f32_e32 v[58:59], v59
	s_waitcnt vmcnt(1)
	v_fmac_f64_e32 v[20:21], v[90:91], v[102:103]
	v_fmac_f64_e32 v[18:19], v[94:95], v[102:103]
	;; [unrolled: 1-line block ×7, first 2 shown]
	global_load_dwordx4 v[88:91], v[26:27], off offset:3088
	v_fmac_f64_e32 v[14:15], v[80:81], v[104:105]
	global_load_dwordx4 v[102:105], v[26:27], off offset:3104
	s_waitcnt vmcnt(2)
	v_subrev_u32_e32 v11, s16, v11
	s_waitcnt vmcnt(1)
	v_cvt_f64_f32_e32 v[96:97], v88
	v_cvt_f64_f32_e32 v[92:93], v89
	;; [unrolled: 1-line block ×4, first 2 shown]
	s_waitcnt vmcnt(0)
	v_cvt_f64_f32_e32 v[100:101], v102
	v_cvt_f64_f32_e32 v[98:99], v103
	v_cvt_f64_f32_e32 v[94:95], v104
	v_cvt_f64_f32_e32 v[90:91], v105
	global_load_dwordx4 v[102:105], v[106:107], off offset:16
	s_waitcnt vmcnt(0)
	v_fmac_f64_e32 v[14:15], v[78:79], v[102:103]
	v_fmac_f64_e32 v[18:19], v[74:75], v[102:103]
	;; [unrolled: 1-line block ×3, first 2 shown]
	v_lshlrev_b32_e32 v34, 2, v11
	global_load_dword v11, v[28:29], off offset:64
	v_fmac_f64_e32 v[20:21], v[66:67], v[102:103]
	v_fmac_f64_e32 v[18:19], v[68:69], v[104:105]
	global_load_dwordx4 v[66:69], v[26:27], off offset:3120
	v_ashrrev_i32_e32 v35, 31, v34
	v_fmac_f64_e32 v[20:21], v[62:63], v[104:105]
	v_lshlrev_b64 v[34:35], 3, v[34:35]
	v_fmac_f64_e32 v[16:17], v[76:77], v[102:103]
	v_add_co_u32_e32 v34, vcc, s6, v34
	v_addc_co_u32_e32 v35, vcc, v1, v35, vcc
	v_fmac_f64_e32 v[16:17], v[72:73], v[104:105]
	global_load_dwordx4 v[72:75], v[34:35], off offset:16
	s_waitcnt vmcnt(2)
	v_subrev_u32_e32 v11, s16, v11
	s_waitcnt vmcnt(1)
	v_cvt_f64_f32_e32 v[62:63], v66
	v_lshlrev_b32_e32 v66, 2, v11
	v_cvt_f64_f32_e32 v[102:103], v67
	v_ashrrev_i32_e32 v67, 31, v66
	v_lshlrev_b64 v[66:67], 3, v[66:67]
	v_add_co_u32_e32 v76, vcc, s6, v66
	v_cvt_f64_f32_e32 v[104:105], v68
	v_cvt_f64_f32_e32 v[106:107], v69
	v_addc_co_u32_e32 v77, vcc, v1, v67, vcc
	global_load_dwordx4 v[66:69], v[34:35], off
	v_add_co_u32_e32 v26, vcc, s20, v26
	s_mov_b64 s[2:3], vcc
	v_add_co_u32_e32 v24, vcc, 64, v24
	v_addc_co_u32_e32 v25, vcc, 0, v25, vcc
	v_addc_co_u32_e64 v27, s[2:3], 0, v27, s[2:3]
	v_add_co_u32_e32 v28, vcc, 0x100, v28
	v_cmp_ge_i64_e64 s[2:3], v[24:25], v[6:7]
	v_addc_co_u32_e32 v29, vcc, 0, v29, vcc
	s_or_b64 s[18:19], s[2:3], s[18:19]
	s_waitcnt vmcnt(0)
	v_fmac_f64_e32 v[20:21], v[38:39], v[66:67]
	v_fmac_f64_e32 v[20:21], v[36:37], v[68:69]
	global_load_dwordx4 v[34:37], v[76:77], off
	v_fmac_f64_e32 v[18:19], v[82:83], v[66:67]
	global_load_dwordx4 v[76:79], v[76:77], off offset:16
	v_fmac_f64_e32 v[16:17], v[84:85], v[66:67]
	v_fmac_f64_e32 v[14:15], v[86:87], v[66:67]
	;; [unrolled: 1-line block ×13, first 2 shown]
	s_waitcnt vmcnt(1)
	v_fmac_f64_e32 v[20:21], v[70:71], v[34:35]
	v_fmac_f64_e32 v[18:19], v[96:97], v[34:35]
	;; [unrolled: 1-line block ×8, first 2 shown]
	s_waitcnt vmcnt(0)
	v_fmac_f64_e32 v[20:21], v[60:61], v[76:77]
	v_fmac_f64_e32 v[18:19], v[88:89], v[76:77]
	;; [unrolled: 1-line block ×8, first 2 shown]
	s_andn2_b64 exec, exec, s[18:19]
	s_cbranch_execnz .LBB157_21
; %bb.22:
	s_or_b64 exec, exec, s[18:19]
.LBB157_23:
	s_or_b64 exec, exec, s[14:15]
.LBB157_24:
	s_or_b64 exec, exec, s[10:11]
	s_andn2_b64 vcc, exec, s[8:9]
	s_cbranch_vccz .LBB157_26
	s_branch .LBB157_37
.LBB157_25:
                                        ; implicit-def: $vgpr14_vgpr15
                                        ; implicit-def: $vgpr16_vgpr17
                                        ; implicit-def: $vgpr18_vgpr19
                                        ; implicit-def: $vgpr20_vgpr21
.LBB157_26:
	v_pk_mov_b32 v[14:15], 0, 0
	v_pk_mov_b32 v[16:17], v[14:15], v[14:15] op_sel:[0,1]
	v_pk_mov_b32 v[18:19], v[14:15], v[14:15] op_sel:[0,1]
	;; [unrolled: 1-line block ×3, first 2 shown]
	s_and_saveexec_b64 s[2:3], s[0:1]
	s_cbranch_execz .LBB157_36
; %bb.27:
	v_or_b32_e32 v1, 16, v0
	v_mov_b32_e32 v11, s17
	v_subrev_co_u32_e32 v1, vcc, s16, v1
	v_subb_co_u32_e32 v11, vcc, 0, v11, vcc
	v_add_co_u32_e32 v14, vcc, v1, v22
	v_addc_co_u32_e32 v15, vcc, v11, v23, vcc
	v_cmp_gt_i64_e32 vcc, v[14:15], v[6:7]
	v_cndmask_b32_e32 v1, v7, v15, vcc
	v_cndmask_b32_e32 v11, v6, v14, vcc
	v_mov_b32_e32 v16, s17
	v_sub_co_u32_e32 v17, vcc, s16, v0
	v_not_b32_e32 v15, v22
	v_subbrev_co_u32_e32 v16, vcc, 0, v16, vcc
	v_not_b32_e32 v14, v23
	v_add_co_u32_e32 v15, vcc, v17, v15
	v_addc_co_u32_e32 v14, vcc, v16, v14, vcc
	v_add_co_u32_e32 v22, vcc, v15, v11
	v_addc_co_u32_e32 v23, vcc, v14, v1, vcc
	v_lshrrev_b32_e32 v1, 4, v22
	v_add_u32_e32 v1, 1, v1
	v_and_b32_e32 v1, 3, v1
	v_pk_mov_b32 v[20:21], 0, 0
	v_cmp_ne_u32_e32 vcc, 0, v1
	s_mov_b64 s[10:11], 0
	v_pk_mov_b32 v[18:19], v[20:21], v[20:21] op_sel:[0,1]
	v_pk_mov_b32 v[16:17], v[20:21], v[20:21] op_sel:[0,1]
	;; [unrolled: 1-line block ×3, first 2 shown]
	s_and_saveexec_b64 s[8:9], vcc
	s_cbranch_execz .LBB157_31
; %bb.28:
	v_lshlrev_b64 v[14:15], 2, v[4:5]
	v_mov_b32_e32 v11, s13
	v_add_co_u32_e32 v26, vcc, s12, v14
	v_addc_co_u32_e32 v27, vcc, v11, v15, vcc
	v_pk_mov_b32 v[14:15], 0, 0
	v_mov_b32_e32 v25, 0
	v_lshlrev_b32_e32 v24, 4, v1
	s_movk_i32 s14, 0x400
	v_mov_b32_e32 v1, s7
	v_pk_mov_b32 v[16:17], v[14:15], v[14:15] op_sel:[0,1]
	v_pk_mov_b32 v[18:19], v[14:15], v[14:15] op_sel:[0,1]
	;; [unrolled: 1-line block ×3, first 2 shown]
.LBB157_29:                             ; =>This Inner Loop Header: Depth=1
	global_load_dword v11, v[26:27], off
	global_load_dwordx4 v[28:31], v[12:13], off offset:16
	global_load_dwordx4 v[32:35], v[12:13], off
	global_load_dwordx4 v[36:39], v[12:13], off offset:32
	v_add_co_u32_e64 v4, s[0:1], 16, v4
	v_addc_co_u32_e64 v5, s[0:1], 0, v5, s[0:1]
	v_add_co_u32_e64 v26, s[0:1], 64, v26
	v_addc_co_u32_e64 v27, s[0:1], 0, v27, s[0:1]
	v_add_co_u32_e64 v24, s[0:1], -16, v24
	v_addc_co_u32_e64 v25, s[0:1], -1, v25, s[0:1]
	s_waitcnt vmcnt(3)
	v_subrev_u32_e32 v11, s16, v11
	v_lshlrev_b32_e32 v40, 2, v11
	v_ashrrev_i32_e32 v41, 31, v40
	v_lshlrev_b64 v[40:41], 3, v[40:41]
	v_add_co_u32_e32 v52, vcc, s6, v40
	v_addc_co_u32_e32 v53, vcc, v1, v41, vcc
	global_load_dwordx4 v[40:43], v[52:53], off offset:16
	global_load_dwordx4 v[44:47], v[52:53], off
	global_load_dwordx4 v[48:51], v[12:13], off offset:48
	s_waitcnt vmcnt(4)
	v_cvt_f64_f32_e32 v[52:53], v32
	v_cvt_f64_f32_e32 v[32:33], v33
	;; [unrolled: 1-line block ×4, first 2 shown]
	v_add_co_u32_e32 v12, vcc, s14, v12
	v_cvt_f64_f32_e32 v[56:57], v28
	v_cvt_f64_f32_e32 v[28:29], v29
	;; [unrolled: 1-line block ×4, first 2 shown]
	v_addc_co_u32_e32 v13, vcc, 0, v13, vcc
	s_waitcnt vmcnt(3)
	v_cvt_f64_f32_e32 v[60:61], v36
	v_cvt_f64_f32_e32 v[36:37], v37
	;; [unrolled: 1-line block ×4, first 2 shown]
	v_cmp_eq_u64_e32 vcc, 0, v[24:25]
	s_or_b64 s[10:11], vcc, s[10:11]
	s_waitcnt vmcnt(1)
	v_fmac_f64_e32 v[20:21], v[52:53], v[44:45]
	v_fmac_f64_e32 v[18:19], v[32:33], v[44:45]
	;; [unrolled: 1-line block ×8, first 2 shown]
	s_waitcnt vmcnt(0)
	v_cvt_f64_f32_e32 v[64:65], v48
	v_cvt_f64_f32_e32 v[48:49], v49
	;; [unrolled: 1-line block ×4, first 2 shown]
	v_fmac_f64_e32 v[20:21], v[60:61], v[40:41]
	v_fmac_f64_e32 v[18:19], v[36:37], v[40:41]
	;; [unrolled: 1-line block ×8, first 2 shown]
	s_andn2_b64 exec, exec, s[10:11]
	s_cbranch_execnz .LBB157_29
; %bb.30:
	s_or_b64 exec, exec, s[10:11]
.LBB157_31:
	s_or_b64 exec, exec, s[8:9]
	v_cmp_lt_u64_e32 vcc, 47, v[22:23]
	s_and_saveexec_b64 s[8:9], vcc
	s_cbranch_execz .LBB157_35
; %bb.32:
	v_lshlrev_b64 v[22:23], 2, v[4:5]
	v_mov_b32_e32 v1, s13
	v_add_co_u32_e32 v11, vcc, s12, v22
	v_addc_co_u32_e32 v1, vcc, v23, v1, vcc
	v_add_co_u32_e32 v22, vcc, 0x80, v11
	v_addc_co_u32_e32 v23, vcc, 0, v1, vcc
	s_mov_b64 s[10:11], 0
	v_mov_b32_e32 v1, s7
	s_movk_i32 s7, 0x1000
.LBB157_33:                             ; =>This Inner Loop Header: Depth=1
	global_load_dwordx4 v[24:27], v[12:13], off
	global_load_dwordx4 v[28:31], v[12:13], off offset:16
	global_load_dwordx4 v[32:35], v[12:13], off offset:32
	;; [unrolled: 1-line block ×6, first 2 shown]
	global_load_dword v11, v[22:23], off offset:-128
	global_load_dword v100, v[22:23], off offset:-64
	global_load_dword v101, v[22:23], off
	global_load_dword v102, v[22:23], off offset:64
	v_add_co_u32_e64 v4, s[0:1], 64, v4
	v_addc_co_u32_e64 v5, s[0:1], 0, v5, s[0:1]
	v_cmp_ge_i64_e64 s[0:1], v[4:5], v[6:7]
	s_or_b64 s[10:11], s[0:1], s[10:11]
	s_waitcnt vmcnt(10)
	v_cvt_f64_f32_e32 v[66:67], v24
	v_cvt_f64_f32_e32 v[68:69], v25
	;; [unrolled: 1-line block ×3, first 2 shown]
	s_waitcnt vmcnt(7)
	v_cvt_f64_f32_e32 v[94:95], v38
	v_cvt_f64_f32_e32 v[96:97], v39
	s_waitcnt vmcnt(6)
	v_cvt_f64_f32_e32 v[52:53], v40
	s_waitcnt vmcnt(4)
	;; [unrolled: 2-line block ×3, first 2 shown]
	v_subrev_u32_e32 v11, s16, v11
	v_lshlrev_b32_e32 v24, 2, v11
	v_ashrrev_i32_e32 v25, 31, v24
	v_lshlrev_b64 v[24:25], 3, v[24:25]
	v_add_co_u32_e32 v62, vcc, s6, v24
	v_cvt_f64_f32_e32 v[54:55], v41
	v_cvt_f64_f32_e32 v[40:41], v63
	v_addc_co_u32_e32 v63, vcc, v1, v25, vcc
	v_cvt_f64_f32_e32 v[72:73], v27
	global_load_dwordx4 v[24:27], v[62:63], off
	v_cvt_f64_f32_e32 v[74:75], v28
	v_cvt_f64_f32_e32 v[76:77], v29
	;; [unrolled: 1-line block ×4, first 2 shown]
	global_load_dwordx4 v[28:31], v[12:13], off offset:1072
	s_waitcnt vmcnt(4)
	v_subrev_u32_e32 v11, s16, v100
	v_cvt_f64_f32_e32 v[82:83], v32
	v_cvt_f64_f32_e32 v[84:85], v33
	v_cvt_f64_f32_e32 v[86:87], v34
	v_cvt_f64_f32_e32 v[88:89], v35
	v_cvt_f64_f32_e32 v[90:91], v36
	v_cvt_f64_f32_e32 v[92:93], v37
	global_load_dwordx4 v[34:37], v[12:13], off offset:2048
	v_cvt_f64_f32_e32 v[56:57], v42
	v_cvt_f64_f32_e32 v[58:59], v43
	;; [unrolled: 1-line block ×8, first 2 shown]
	s_waitcnt vmcnt(2)
	v_fmac_f64_e32 v[20:21], v[66:67], v[24:25]
	v_fmac_f64_e32 v[18:19], v[68:69], v[24:25]
	;; [unrolled: 1-line block ×5, first 2 shown]
	global_load_dwordx4 v[68:71], v[12:13], off offset:2064
	global_load_dwordx4 v[72:75], v[12:13], off offset:2080
	v_fmac_f64_e32 v[18:19], v[76:77], v[26:27]
	v_fmac_f64_e32 v[16:17], v[78:79], v[26:27]
	;; [unrolled: 1-line block ×3, first 2 shown]
	global_load_dwordx4 v[24:27], v[62:63], off offset:16
	s_waitcnt vmcnt(4)
	v_cvt_f64_f32_e32 v[76:77], v28
	v_cvt_f64_f32_e32 v[78:79], v29
	;; [unrolled: 1-line block ×4, first 2 shown]
	s_waitcnt vmcnt(3)
	v_cvt_f64_f32_e32 v[30:31], v34
	v_cvt_f64_f32_e32 v[32:33], v35
	;; [unrolled: 1-line block ×4, first 2 shown]
	s_waitcnt vmcnt(2)
	v_cvt_f64_f32_e32 v[64:65], v68
	s_waitcnt vmcnt(1)
	v_cvt_f64_f32_e32 v[62:63], v72
	v_lshlrev_b32_e32 v72, 2, v11
	v_cvt_f64_f32_e32 v[28:29], v75
	v_subrev_u32_e32 v11, s16, v101
	s_waitcnt vmcnt(0)
	v_fmac_f64_e32 v[20:21], v[82:83], v[24:25]
	v_fmac_f64_e32 v[18:19], v[84:85], v[24:25]
	;; [unrolled: 1-line block ×4, first 2 shown]
	v_cvt_f64_f32_e32 v[24:25], v73
	v_ashrrev_i32_e32 v73, 31, v72
	v_lshlrev_b64 v[72:73], 3, v[72:73]
	v_add_co_u32_e32 v82, vcc, s6, v72
	v_addc_co_u32_e32 v83, vcc, v1, v73, vcc
	v_fmac_f64_e32 v[20:21], v[90:91], v[26:27]
	v_fmac_f64_e32 v[18:19], v[92:93], v[26:27]
	;; [unrolled: 1-line block ×4, first 2 shown]
	v_cvt_f64_f32_e32 v[26:27], v74
	global_load_dwordx4 v[72:75], v[82:83], off
	v_cvt_f64_f32_e32 v[66:67], v69
	v_cvt_f64_f32_e32 v[68:69], v70
	;; [unrolled: 1-line block ×3, first 2 shown]
	s_waitcnt vmcnt(0)
	v_fmac_f64_e32 v[20:21], v[52:53], v[72:73]
	v_fmac_f64_e32 v[18:19], v[54:55], v[72:73]
	;; [unrolled: 1-line block ×8, first 2 shown]
	global_load_dwordx4 v[72:75], v[82:83], off offset:16
	global_load_dwordx4 v[52:55], v[12:13], off offset:2096
	;; [unrolled: 1-line block ×3, first 2 shown]
	s_waitcnt vmcnt(2)
	v_fmac_f64_e32 v[20:21], v[38:39], v[72:73]
	v_fmac_f64_e32 v[18:19], v[40:41], v[72:73]
	global_load_dwordx4 v[38:41], v[12:13], off offset:3088
	v_fmac_f64_e32 v[16:17], v[42:43], v[72:73]
	v_fmac_f64_e32 v[14:15], v[44:45], v[72:73]
	global_load_dwordx4 v[42:45], v[12:13], off offset:3104
	v_fmac_f64_e32 v[20:21], v[76:77], v[74:75]
	v_fmac_f64_e32 v[18:19], v[78:79], v[74:75]
	;; [unrolled: 1-line block ×4, first 2 shown]
	s_waitcnt vmcnt(3)
	v_cvt_f64_f32_e32 v[46:47], v52
	v_cvt_f64_f32_e32 v[48:49], v53
	v_cvt_f64_f32_e32 v[50:51], v54
	v_cvt_f64_f32_e32 v[52:53], v55
	s_waitcnt vmcnt(2)
	v_cvt_f64_f32_e32 v[54:55], v58
	v_cvt_f64_f32_e32 v[56:57], v59
	v_cvt_f64_f32_e32 v[58:59], v60
	v_cvt_f64_f32_e32 v[60:61], v61
	;; [unrolled: 5-line block ×3, first 2 shown]
	global_load_dwordx4 v[38:41], v[12:13], off offset:3120
	s_waitcnt vmcnt(1)
	v_cvt_f64_f32_e32 v[80:81], v42
	v_cvt_f64_f32_e32 v[42:43], v43
	;; [unrolled: 1-line block ×4, first 2 shown]
	s_waitcnt vmcnt(0)
	v_cvt_f64_f32_e32 v[84:85], v38
	v_lshlrev_b32_e32 v38, 2, v11
	v_cvt_f64_f32_e32 v[86:87], v39
	v_ashrrev_i32_e32 v39, 31, v38
	v_lshlrev_b64 v[38:39], 3, v[38:39]
	v_subrev_u32_e32 v11, s16, v102
	v_add_co_u32_e32 v92, vcc, s6, v38
	v_lshlrev_b32_e32 v38, 2, v11
	v_addc_co_u32_e32 v93, vcc, v1, v39, vcc
	v_ashrrev_i32_e32 v39, 31, v38
	v_lshlrev_b64 v[38:39], 3, v[38:39]
	v_add_co_u32_e32 v94, vcc, s6, v38
	v_cvt_f64_f32_e32 v[88:89], v40
	v_cvt_f64_f32_e32 v[90:91], v41
	v_addc_co_u32_e32 v95, vcc, v1, v39, vcc
	global_load_dwordx4 v[38:41], v[92:93], off
	v_add_co_u32_e32 v12, vcc, s7, v12
	v_addc_co_u32_e32 v13, vcc, 0, v13, vcc
	v_add_co_u32_e32 v22, vcc, 0x100, v22
	v_addc_co_u32_e32 v23, vcc, 0, v23, vcc
	s_waitcnt vmcnt(0)
	v_fmac_f64_e32 v[20:21], v[30:31], v[38:39]
	v_fmac_f64_e32 v[18:19], v[32:33], v[38:39]
	v_fmac_f64_e32 v[16:17], v[34:35], v[38:39]
	v_fmac_f64_e32 v[14:15], v[36:37], v[38:39]
	global_load_dwordx4 v[30:33], v[92:93], off offset:16
	global_load_dwordx4 v[34:37], v[94:95], off
	v_fmac_f64_e32 v[20:21], v[64:65], v[40:41]
	v_fmac_f64_e32 v[18:19], v[66:67], v[40:41]
	v_fmac_f64_e32 v[16:17], v[68:69], v[40:41]
	v_fmac_f64_e32 v[14:15], v[70:71], v[40:41]
	global_load_dwordx4 v[38:41], v[94:95], off offset:16
	s_waitcnt vmcnt(2)
	v_fmac_f64_e32 v[20:21], v[62:63], v[30:31]
	v_fmac_f64_e32 v[18:19], v[24:25], v[30:31]
	v_fmac_f64_e32 v[16:17], v[26:27], v[30:31]
	v_fmac_f64_e32 v[14:15], v[28:29], v[30:31]
	v_fmac_f64_e32 v[20:21], v[46:47], v[32:33]
	v_fmac_f64_e32 v[18:19], v[48:49], v[32:33]
	v_fmac_f64_e32 v[16:17], v[50:51], v[32:33]
	v_fmac_f64_e32 v[14:15], v[52:53], v[32:33]
	s_waitcnt vmcnt(1)
	v_fmac_f64_e32 v[20:21], v[54:55], v[34:35]
	v_fmac_f64_e32 v[18:19], v[56:57], v[34:35]
	v_fmac_f64_e32 v[16:17], v[58:59], v[34:35]
	v_fmac_f64_e32 v[14:15], v[60:61], v[34:35]
	v_fmac_f64_e32 v[20:21], v[72:73], v[36:37]
	v_fmac_f64_e32 v[18:19], v[74:75], v[36:37]
	v_fmac_f64_e32 v[16:17], v[76:77], v[36:37]
	v_fmac_f64_e32 v[14:15], v[78:79], v[36:37]
	;; [unrolled: 9-line block ×3, first 2 shown]
	s_andn2_b64 exec, exec, s[10:11]
	s_cbranch_execnz .LBB157_33
; %bb.34:
	s_or_b64 exec, exec, s[10:11]
.LBB157_35:
	s_or_b64 exec, exec, s[8:9]
.LBB157_36:
	s_or_b64 exec, exec, s[2:3]
.LBB157_37:
	v_mov_b32_dpp v4, v20 row_shr:1 row_mask:0xf bank_mask:0xf
	v_mov_b32_dpp v5, v21 row_shr:1 row_mask:0xf bank_mask:0xf
	v_add_f64 v[4:5], v[20:21], v[4:5]
	v_mov_b32_dpp v12, v18 row_shr:1 row_mask:0xf bank_mask:0xf
	v_mov_b32_dpp v13, v19 row_shr:1 row_mask:0xf bank_mask:0xf
	;; [unrolled: 1-line block ×6, first 2 shown]
	v_add_f64 v[12:13], v[18:19], v[12:13]
	v_add_f64 v[16:17], v[16:17], v[20:21]
	;; [unrolled: 1-line block ×3, first 2 shown]
	v_mov_b32_dpp v6, v4 row_shr:2 row_mask:0xf bank_mask:0xf
	v_mov_b32_dpp v7, v5 row_shr:2 row_mask:0xf bank_mask:0xf
	;; [unrolled: 1-line block ×8, first 2 shown]
	v_add_f64 v[4:5], v[4:5], v[6:7]
	v_add_f64 v[12:13], v[12:13], v[18:19]
	;; [unrolled: 1-line block ×4, first 2 shown]
	v_mov_b32_dpp v6, v4 row_shr:4 row_mask:0xf bank_mask:0xe
	v_mov_b32_dpp v7, v5 row_shr:4 row_mask:0xf bank_mask:0xe
	;; [unrolled: 1-line block ×8, first 2 shown]
	v_add_f64 v[4:5], v[4:5], v[6:7]
	v_add_f64 v[12:13], v[12:13], v[18:19]
	;; [unrolled: 1-line block ×4, first 2 shown]
	v_mov_b32_dpp v6, v4 row_shr:8 row_mask:0xf bank_mask:0xc
	v_mov_b32_dpp v7, v5 row_shr:8 row_mask:0xf bank_mask:0xc
	v_mov_b32_dpp v18, v12 row_shr:8 row_mask:0xf bank_mask:0xc
	v_mov_b32_dpp v19, v13 row_shr:8 row_mask:0xf bank_mask:0xc
	v_mov_b32_dpp v20, v16 row_shr:8 row_mask:0xf bank_mask:0xc
	v_mov_b32_dpp v21, v17 row_shr:8 row_mask:0xf bank_mask:0xc
	v_mov_b32_dpp v22, v14 row_shr:8 row_mask:0xf bank_mask:0xc
	v_mov_b32_dpp v23, v15 row_shr:8 row_mask:0xf bank_mask:0xc
	v_cmp_eq_u32_e32 vcc, 15, v0
	s_and_b64 exec, exec, vcc
	s_cbranch_execz .LBB157_10
; %bb.38:
	s_load_dwordx2 s[0:1], s[4:5], 0x50
	v_add_f64 v[0:1], v[4:5], v[6:7]
	v_add_f64 v[6:7], v[12:13], v[18:19]
	v_add_f64 v[12:13], v[16:17], v[20:21]
	v_add_f64 v[14:15], v[14:15], v[22:23]
	v_cmp_eq_f64_e32 vcc, 0, v[8:9]
	v_mul_f64 v[4:5], v[2:3], v[0:1]
	v_mul_f64 v[6:7], v[2:3], v[6:7]
	v_mul_f64 v[0:1], v[2:3], v[12:13]
	v_mul_f64 v[2:3], v[2:3], v[14:15]
	v_lshlrev_b32_e32 v10, 2, v10
	s_and_saveexec_b64 s[2:3], vcc
	s_xor_b64 s[2:3], exec, s[2:3]
	s_cbranch_execz .LBB157_40
; %bb.39:
	v_ashrrev_i32_e32 v11, 31, v10
	v_lshlrev_b64 v[8:9], 3, v[10:11]
	s_waitcnt lgkmcnt(0)
	v_mov_b32_e32 v10, s1
	v_add_co_u32_e32 v8, vcc, s0, v8
	v_addc_co_u32_e32 v9, vcc, v10, v9, vcc
	global_store_dwordx4 v[8:9], v[4:7], off
	global_store_dwordx4 v[8:9], v[0:3], off offset:16
                                        ; implicit-def: $vgpr10
                                        ; implicit-def: $vgpr8_vgpr9
                                        ; implicit-def: $vgpr4_vgpr5
                                        ; implicit-def: $vgpr0_vgpr1
.LBB157_40:
	s_andn2_saveexec_b64 s[2:3], s[2:3]
	s_cbranch_execz .LBB157_10
; %bb.41:
	v_ashrrev_i32_e32 v11, 31, v10
	v_lshlrev_b64 v[10:11], 3, v[10:11]
	s_waitcnt lgkmcnt(0)
	v_mov_b32_e32 v12, s1
	v_add_co_u32_e32 v18, vcc, s0, v10
	v_addc_co_u32_e32 v19, vcc, v12, v11, vcc
	global_load_dwordx4 v[10:13], v[18:19], off
	global_load_dwordx4 v[14:17], v[18:19], off offset:16
	s_waitcnt vmcnt(1)
	v_fmac_f64_e32 v[4:5], v[8:9], v[10:11]
	v_fmac_f64_e32 v[6:7], v[8:9], v[12:13]
	s_waitcnt vmcnt(0)
	v_fmac_f64_e32 v[0:1], v[8:9], v[14:15]
	v_fmac_f64_e32 v[2:3], v[8:9], v[16:17]
	global_store_dwordx4 v[18:19], v[4:7], off
	global_store_dwordx4 v[18:19], v[0:3], off offset:16
	s_endpgm
	.section	.rodata,"a",@progbits
	.p2align	6, 0x0
	.amdhsa_kernel _ZN9rocsparseL18bsrxmvn_4x4_kernelILj128ELj16EdlifddEEvT3_20rocsparse_direction_NS_24const_host_device_scalarIT1_EES1_PKS1_PKT2_SA_S7_PKT4_PKT5_S5_PT6_21rocsparse_index_base_b
		.amdhsa_group_segment_fixed_size 0
		.amdhsa_private_segment_fixed_size 0
		.amdhsa_kernarg_size 96
		.amdhsa_user_sgpr_count 6
		.amdhsa_user_sgpr_private_segment_buffer 1
		.amdhsa_user_sgpr_dispatch_ptr 0
		.amdhsa_user_sgpr_queue_ptr 0
		.amdhsa_user_sgpr_kernarg_segment_ptr 1
		.amdhsa_user_sgpr_dispatch_id 0
		.amdhsa_user_sgpr_flat_scratch_init 0
		.amdhsa_user_sgpr_kernarg_preload_length 0
		.amdhsa_user_sgpr_kernarg_preload_offset 0
		.amdhsa_user_sgpr_private_segment_size 0
		.amdhsa_uses_dynamic_stack 0
		.amdhsa_system_sgpr_private_segment_wavefront_offset 0
		.amdhsa_system_sgpr_workgroup_id_x 1
		.amdhsa_system_sgpr_workgroup_id_y 0
		.amdhsa_system_sgpr_workgroup_id_z 0
		.amdhsa_system_sgpr_workgroup_info 0
		.amdhsa_system_vgpr_workitem_id 0
		.amdhsa_next_free_vgpr 118
		.amdhsa_next_free_sgpr 21
		.amdhsa_accum_offset 120
		.amdhsa_reserve_vcc 1
		.amdhsa_reserve_flat_scratch 0
		.amdhsa_float_round_mode_32 0
		.amdhsa_float_round_mode_16_64 0
		.amdhsa_float_denorm_mode_32 3
		.amdhsa_float_denorm_mode_16_64 3
		.amdhsa_dx10_clamp 1
		.amdhsa_ieee_mode 1
		.amdhsa_fp16_overflow 0
		.amdhsa_tg_split 0
		.amdhsa_exception_fp_ieee_invalid_op 0
		.amdhsa_exception_fp_denorm_src 0
		.amdhsa_exception_fp_ieee_div_zero 0
		.amdhsa_exception_fp_ieee_overflow 0
		.amdhsa_exception_fp_ieee_underflow 0
		.amdhsa_exception_fp_ieee_inexact 0
		.amdhsa_exception_int_div_zero 0
	.end_amdhsa_kernel
	.section	.text._ZN9rocsparseL18bsrxmvn_4x4_kernelILj128ELj16EdlifddEEvT3_20rocsparse_direction_NS_24const_host_device_scalarIT1_EES1_PKS1_PKT2_SA_S7_PKT4_PKT5_S5_PT6_21rocsparse_index_base_b,"axG",@progbits,_ZN9rocsparseL18bsrxmvn_4x4_kernelILj128ELj16EdlifddEEvT3_20rocsparse_direction_NS_24const_host_device_scalarIT1_EES1_PKS1_PKT2_SA_S7_PKT4_PKT5_S5_PT6_21rocsparse_index_base_b,comdat
.Lfunc_end157:
	.size	_ZN9rocsparseL18bsrxmvn_4x4_kernelILj128ELj16EdlifddEEvT3_20rocsparse_direction_NS_24const_host_device_scalarIT1_EES1_PKS1_PKT2_SA_S7_PKT4_PKT5_S5_PT6_21rocsparse_index_base_b, .Lfunc_end157-_ZN9rocsparseL18bsrxmvn_4x4_kernelILj128ELj16EdlifddEEvT3_20rocsparse_direction_NS_24const_host_device_scalarIT1_EES1_PKS1_PKT2_SA_S7_PKT4_PKT5_S5_PT6_21rocsparse_index_base_b
                                        ; -- End function
	.section	.AMDGPU.csdata,"",@progbits
; Kernel info:
; codeLenInByte = 4360
; NumSgprs: 25
; NumVgprs: 118
; NumAgprs: 0
; TotalNumVgprs: 118
; ScratchSize: 0
; MemoryBound: 0
; FloatMode: 240
; IeeeMode: 1
; LDSByteSize: 0 bytes/workgroup (compile time only)
; SGPRBlocks: 3
; VGPRBlocks: 14
; NumSGPRsForWavesPerEU: 25
; NumVGPRsForWavesPerEU: 118
; AccumOffset: 120
; Occupancy: 4
; WaveLimiterHint : 1
; COMPUTE_PGM_RSRC2:SCRATCH_EN: 0
; COMPUTE_PGM_RSRC2:USER_SGPR: 6
; COMPUTE_PGM_RSRC2:TRAP_HANDLER: 0
; COMPUTE_PGM_RSRC2:TGID_X_EN: 1
; COMPUTE_PGM_RSRC2:TGID_Y_EN: 0
; COMPUTE_PGM_RSRC2:TGID_Z_EN: 0
; COMPUTE_PGM_RSRC2:TIDIG_COMP_CNT: 0
; COMPUTE_PGM_RSRC3_GFX90A:ACCUM_OFFSET: 29
; COMPUTE_PGM_RSRC3_GFX90A:TG_SPLIT: 0
	.section	.text._ZN9rocsparseL18bsrxmvn_4x4_kernelILj128ELj32EdlifddEEvT3_20rocsparse_direction_NS_24const_host_device_scalarIT1_EES1_PKS1_PKT2_SA_S7_PKT4_PKT5_S5_PT6_21rocsparse_index_base_b,"axG",@progbits,_ZN9rocsparseL18bsrxmvn_4x4_kernelILj128ELj32EdlifddEEvT3_20rocsparse_direction_NS_24const_host_device_scalarIT1_EES1_PKS1_PKT2_SA_S7_PKT4_PKT5_S5_PT6_21rocsparse_index_base_b,comdat
	.globl	_ZN9rocsparseL18bsrxmvn_4x4_kernelILj128ELj32EdlifddEEvT3_20rocsparse_direction_NS_24const_host_device_scalarIT1_EES1_PKS1_PKT2_SA_S7_PKT4_PKT5_S5_PT6_21rocsparse_index_base_b ; -- Begin function _ZN9rocsparseL18bsrxmvn_4x4_kernelILj128ELj32EdlifddEEvT3_20rocsparse_direction_NS_24const_host_device_scalarIT1_EES1_PKS1_PKT2_SA_S7_PKT4_PKT5_S5_PT6_21rocsparse_index_base_b
	.p2align	8
	.type	_ZN9rocsparseL18bsrxmvn_4x4_kernelILj128ELj32EdlifddEEvT3_20rocsparse_direction_NS_24const_host_device_scalarIT1_EES1_PKS1_PKT2_SA_S7_PKT4_PKT5_S5_PT6_21rocsparse_index_base_b,@function
_ZN9rocsparseL18bsrxmvn_4x4_kernelILj128ELj32EdlifddEEvT3_20rocsparse_direction_NS_24const_host_device_scalarIT1_EES1_PKS1_PKT2_SA_S7_PKT4_PKT5_S5_PT6_21rocsparse_index_base_b: ; @_ZN9rocsparseL18bsrxmvn_4x4_kernelILj128ELj32EdlifddEEvT3_20rocsparse_direction_NS_24const_host_device_scalarIT1_EES1_PKS1_PKT2_SA_S7_PKT4_PKT5_S5_PT6_21rocsparse_index_base_b
; %bb.0:
	s_load_dwordx2 s[16:17], s[4:5], 0x58
	s_load_dwordx2 s[8:9], s[4:5], 0x8
	;; [unrolled: 1-line block ×3, first 2 shown]
	s_waitcnt lgkmcnt(0)
	s_bitcmp1_b32 s17, 0
	s_cselect_b64 s[10:11], -1, 0
	s_xor_b64 s[2:3], s[10:11], -1
	s_and_b64 vcc, exec, s[10:11]
	v_pk_mov_b32 v[2:3], s[8:9], s[8:9] op_sel:[0,1]
	s_cbranch_vccnz .LBB158_2
; %bb.1:
	v_pk_mov_b32 v[2:3], s[8:9], s[8:9] op_sel:[0,1]
	flat_load_dwordx2 v[2:3], v[2:3]
.LBB158_2:
	s_andn2_b64 vcc, exec, s[2:3]
	v_pk_mov_b32 v[8:9], s[0:1], s[0:1] op_sel:[0,1]
	s_cbranch_vccnz .LBB158_4
; %bb.3:
	v_pk_mov_b32 v[4:5], s[0:1], s[0:1] op_sel:[0,1]
	flat_load_dwordx2 v[8:9], v[4:5]
.LBB158_4:
	s_waitcnt vmcnt(0) lgkmcnt(0)
	v_cmp_neq_f64_e32 vcc, 0, v[2:3]
	v_cmp_neq_f64_e64 s[0:1], 1.0, v[8:9]
	s_mov_b64 s[2:3], 0
	s_or_b64 s[0:1], vcc, s[0:1]
	s_and_saveexec_b64 s[8:9], s[0:1]
	s_cbranch_execz .LBB158_10
; %bb.5:
	s_load_dwordx2 s[8:9], s[4:5], 0x18
	s_load_dwordx2 s[0:1], s[4:5], 0x0
	v_lshrrev_b32_e32 v1, 5, v0
	v_lshl_or_b32 v10, s6, 2, v1
	s_mov_b64 s[6:7], 0
	s_waitcnt lgkmcnt(0)
	s_cmp_lg_u64 s[8:9], 0
	s_cbranch_scc0 .LBB158_11
; %bb.6:
	s_load_dword s2, s[4:5], 0x10
                                        ; implicit-def: $vgpr1
	s_waitcnt lgkmcnt(0)
	v_cmp_gt_i32_e32 vcc, s2, v10
	s_and_saveexec_b64 s[2:3], vcc
	s_xor_b64 s[2:3], exec, s[2:3]
	s_cbranch_execz .LBB158_8
; %bb.7:
	v_ashrrev_i32_e32 v11, 31, v10
	v_lshlrev_b64 v[4:5], 2, v[10:11]
	v_mov_b32_e32 v1, s9
	v_add_co_u32_e32 v4, vcc, s8, v4
	v_addc_co_u32_e32 v5, vcc, v1, v5, vcc
	global_load_dword v1, v[4:5], off
	s_mov_b64 s[6:7], exec
	s_waitcnt vmcnt(0)
	v_subrev_u32_e32 v1, s16, v1
.LBB158_8:
	s_or_b64 exec, exec, s[2:3]
	s_mov_b64 s[2:3], s[6:7]
	s_branch .LBB158_12
.LBB158_9:
	v_cmp_gt_i32_e32 vcc, s0, v10
	s_andn2_b64 s[2:3], s[2:3], exec
	s_and_b64 s[6:7], vcc, exec
	s_or_b64 s[2:3], s[2:3], s[6:7]
	s_and_b64 exec, exec, s[2:3]
	s_cbranch_execnz .LBB158_13
.LBB158_10:
	s_endpgm
.LBB158_11:
                                        ; implicit-def: $vgpr1
	s_cbranch_execnz .LBB158_9
.LBB158_12:
	v_mov_b32_e32 v10, v1
	s_and_b64 exec, exec, s[2:3]
	s_cbranch_execz .LBB158_10
.LBB158_13:
	s_load_dwordx8 s[8:15], s[4:5], 0x20
	v_ashrrev_i32_e32 v11, 31, v10
	v_lshlrev_b64 v[4:5], 3, v[10:11]
	v_and_b32_e32 v0, 31, v0
	s_mov_b32 s17, 0
	s_waitcnt lgkmcnt(0)
	v_mov_b32_e32 v1, s9
	v_add_co_u32_e32 v6, vcc, s8, v4
	v_addc_co_u32_e32 v7, vcc, v1, v5, vcc
	v_add_co_u32_e32 v1, vcc, 8, v6
	global_load_dwordx2 v[22:23], v[6:7], off
	v_addc_co_u32_e32 v6, vcc, 0, v7, vcc
	v_mov_b32_e32 v7, s11
	v_add_co_u32_e32 v4, vcc, s10, v4
	s_cmp_eq_u64 s[10:11], 0
	v_addc_co_u32_e32 v5, vcc, v7, v5, vcc
	s_cselect_b64 vcc, -1, 0
	v_cndmask_b32_e32 v5, v5, v6, vcc
	v_cndmask_b32_e32 v4, v4, v1, vcc
	global_load_dwordx2 v[6:7], v[4:5], off
	s_load_dwordx2 s[8:9], s[4:5], 0x40
	v_mov_b32_e32 v1, s15
	s_cmp_eq_u32 s1, 1
	s_waitcnt vmcnt(1)
	v_subrev_co_u32_e32 v4, vcc, s16, v22
	v_subbrev_co_u32_e32 v5, vcc, 0, v23, vcc
	v_add_co_u32_e32 v4, vcc, v4, v0
	v_addc_co_u32_e32 v5, vcc, 0, v5, vcc
	v_lshlrev_b64 v[12:13], 6, v[4:5]
	s_waitcnt vmcnt(0)
	v_subrev_co_u32_e32 v6, vcc, s16, v6
	v_subbrev_co_u32_e32 v7, vcc, 0, v7, vcc
	v_add_co_u32_e32 v12, vcc, s14, v12
	v_addc_co_u32_e32 v13, vcc, v1, v13, vcc
	v_cmp_lt_i64_e64 s[0:1], v[4:5], v[6:7]
	s_cbranch_scc1 .LBB158_25
; %bb.14:
	v_pk_mov_b32 v[14:15], 0, 0
	s_mov_b64 s[10:11], 0
	v_pk_mov_b32 v[16:17], v[14:15], v[14:15] op_sel:[0,1]
	v_pk_mov_b32 v[18:19], v[14:15], v[14:15] op_sel:[0,1]
	;; [unrolled: 1-line block ×3, first 2 shown]
	s_and_saveexec_b64 s[14:15], s[0:1]
	s_cbranch_execz .LBB158_24
; %bb.15:
	v_or_b32_e32 v1, 32, v0
	v_mov_b32_e32 v11, s17
	v_subrev_co_u32_e32 v1, vcc, s16, v1
	v_subb_co_u32_e32 v11, vcc, 0, v11, vcc
	v_add_co_u32_e32 v14, vcc, v1, v22
	v_addc_co_u32_e32 v15, vcc, v11, v23, vcc
	v_cmp_gt_i64_e32 vcc, v[14:15], v[6:7]
	v_cndmask_b32_e32 v1, v7, v15, vcc
	v_cndmask_b32_e32 v11, v6, v14, vcc
	v_mov_b32_e32 v16, s17
	v_sub_co_u32_e32 v17, vcc, s16, v0
	v_not_b32_e32 v15, v22
	v_subbrev_co_u32_e32 v16, vcc, 0, v16, vcc
	v_not_b32_e32 v14, v23
	v_add_co_u32_e32 v15, vcc, v17, v15
	v_addc_co_u32_e32 v14, vcc, v16, v14, vcc
	v_add_co_u32_e32 v28, vcc, v15, v11
	v_addc_co_u32_e32 v29, vcc, v14, v1, vcc
	v_lshrrev_b32_e32 v1, 5, v28
	v_add_u32_e32 v1, 1, v1
	v_and_b32_e32 v1, 3, v1
	v_pk_mov_b32 v[20:21], 0, 0
	v_cmp_ne_u32_e32 vcc, 0, v1
	s_mov_b64 s[18:19], 0
	v_pk_mov_b32 v[18:19], v[20:21], v[20:21] op_sel:[0,1]
	v_pk_mov_b32 v[16:17], v[20:21], v[20:21] op_sel:[0,1]
	;; [unrolled: 1-line block ×5, first 2 shown]
	s_and_saveexec_b64 s[6:7], vcc
	s_cbranch_execz .LBB158_19
; %bb.16:
	v_lshlrev_b64 v[14:15], 2, v[4:5]
	v_mov_b32_e32 v11, s13
	v_add_co_u32_e32 v32, vcc, s12, v14
	v_addc_co_u32_e32 v33, vcc, v11, v15, vcc
	v_pk_mov_b32 v[14:15], 0, 0
	v_mov_b32_e32 v31, 0
	v_lshlrev_b32_e32 v30, 4, v1
	s_movk_i32 s20, 0x800
	s_waitcnt lgkmcnt(0)
	v_mov_b32_e32 v1, s9
	v_pk_mov_b32 v[26:27], v[12:13], v[12:13] op_sel:[0,1]
	v_pk_mov_b32 v[24:25], v[4:5], v[4:5] op_sel:[0,1]
	;; [unrolled: 1-line block ×5, first 2 shown]
.LBB158_17:                             ; =>This Inner Loop Header: Depth=1
	global_load_dword v11, v[32:33], off
	global_load_dwordx4 v[34:37], v[26:27], off
	global_load_dwordx4 v[38:41], v[26:27], off offset:16
	global_load_dwordx4 v[42:45], v[26:27], off offset:48
	;; [unrolled: 1-line block ×3, first 2 shown]
	v_add_co_u32_e64 v24, s[2:3], 32, v24
	v_addc_co_u32_e64 v25, s[2:3], 0, v25, s[2:3]
	v_add_co_u32_e64 v30, s[2:3], -16, v30
	v_addc_co_u32_e64 v31, s[2:3], -1, v31, s[2:3]
	v_cmp_eq_u64_e64 s[2:3], 0, v[30:31]
	s_or_b64 s[18:19], s[2:3], s[18:19]
	s_waitcnt vmcnt(4)
	v_subrev_u32_e32 v11, s16, v11
	v_lshlrev_b32_e32 v50, 2, v11
	v_ashrrev_i32_e32 v51, 31, v50
	v_lshlrev_b64 v[50:51], 3, v[50:51]
	v_add_co_u32_e32 v58, vcc, s8, v50
	v_addc_co_u32_e32 v59, vcc, v1, v51, vcc
	global_load_dwordx4 v[50:53], v[58:59], off
	global_load_dwordx4 v[54:57], v[58:59], off offset:16
	s_waitcnt vmcnt(5)
	v_cvt_f64_f32_e32 v[58:59], v34
	s_waitcnt vmcnt(4)
	v_cvt_f64_f32_e32 v[62:63], v38
	;; [unrolled: 2-line block ×3, first 2 shown]
	v_cvt_f64_f32_e32 v[70:71], v42
	v_add_co_u32_e32 v26, vcc, s20, v26
	v_cvt_f64_f32_e32 v[34:35], v35
	v_cvt_f64_f32_e32 v[38:39], v39
	;; [unrolled: 1-line block ×4, first 2 shown]
	v_addc_co_u32_e32 v27, vcc, 0, v27, vcc
	v_cvt_f64_f32_e32 v[60:61], v36
	v_cvt_f64_f32_e32 v[64:65], v40
	;; [unrolled: 1-line block ×4, first 2 shown]
	v_add_co_u32_e32 v32, vcc, 0x80, v32
	v_cvt_f64_f32_e32 v[36:37], v37
	v_cvt_f64_f32_e32 v[40:41], v41
	;; [unrolled: 1-line block ×4, first 2 shown]
	v_addc_co_u32_e32 v33, vcc, 0, v33, vcc
	s_waitcnt vmcnt(1)
	v_fmac_f64_e32 v[20:21], v[58:59], v[50:51]
	v_fmac_f64_e32 v[18:19], v[62:63], v[50:51]
	;; [unrolled: 1-line block ×8, first 2 shown]
	s_waitcnt vmcnt(0)
	v_fmac_f64_e32 v[20:21], v[60:61], v[54:55]
	v_fmac_f64_e32 v[18:19], v[64:65], v[54:55]
	;; [unrolled: 1-line block ×8, first 2 shown]
	s_andn2_b64 exec, exec, s[18:19]
	s_cbranch_execnz .LBB158_17
; %bb.18:
	s_or_b64 exec, exec, s[18:19]
.LBB158_19:
	s_or_b64 exec, exec, s[6:7]
	s_mov_b64 s[2:3], 0x5f
	v_cmp_lt_u64_e32 vcc, s[2:3], v[28:29]
	s_and_saveexec_b64 s[18:19], vcc
	s_cbranch_execz .LBB158_23
; %bb.20:
	v_lshlrev_b64 v[28:29], 2, v[24:25]
	v_mov_b32_e32 v1, s13
	v_add_co_u32_e32 v11, vcc, s12, v28
	v_addc_co_u32_e32 v1, vcc, v29, v1, vcc
	v_add_co_u32_e32 v28, vcc, 0x100, v11
	v_addc_co_u32_e32 v29, vcc, 0, v1, vcc
	s_mov_b64 s[20:21], 0
	s_waitcnt lgkmcnt(0)
	v_mov_b32_e32 v1, s9
	s_movk_i32 s22, 0x1000
.LBB158_21:                             ; =>This Inner Loop Header: Depth=1
	global_load_dwordx4 v[30:33], v[26:27], off
	global_load_dwordx4 v[34:37], v[26:27], off offset:16
	global_load_dwordx4 v[38:41], v[26:27], off offset:32
	;; [unrolled: 1-line block ×7, first 2 shown]
	global_load_dword v11, v[28:29], off offset:-256
	s_waitcnt vmcnt(8)
	v_cvt_f64_f32_e32 v[62:63], v30
	v_cvt_f64_f32_e32 v[50:51], v31
	s_waitcnt vmcnt(6)
	v_cvt_f64_f32_e32 v[58:59], v38
	v_cvt_f64_f32_e32 v[54:55], v39
	s_waitcnt vmcnt(4)
	v_cvt_f64_f32_e32 v[82:83], v46
	s_waitcnt vmcnt(3)
	v_cvt_f64_f32_e32 v[86:87], v76
	v_cvt_f64_f32_e32 v[66:67], v77
	s_waitcnt vmcnt(2)
	v_cvt_f64_f32_e32 v[88:89], v102
	s_waitcnt vmcnt(0)
	v_subrev_u32_e32 v11, s16, v11
	v_lshlrev_b32_e32 v76, 2, v11
	v_ashrrev_i32_e32 v77, 31, v76
	v_lshlrev_b64 v[76:77], 3, v[76:77]
	v_add_co_u32_e32 v102, vcc, s8, v76
	v_cvt_f64_f32_e32 v[64:65], v47
	v_cvt_f64_f32_e32 v[46:47], v103
	v_addc_co_u32_e32 v103, vcc, v1, v77, vcc
	v_cvt_f64_f32_e32 v[98:99], v40
	v_cvt_f64_f32_e32 v[96:97], v41
	;; [unrolled: 1-line block ×4, first 2 shown]
	global_load_dwordx4 v[78:81], v[102:103], off
	v_cvt_f64_f32_e32 v[60:61], v42
	v_cvt_f64_f32_e32 v[56:57], v43
	;; [unrolled: 1-line block ×3, first 2 shown]
	v_add_co_u32_e32 v104, vcc, s22, v26
	v_cvt_f64_f32_e32 v[30:31], v105
	v_addc_co_u32_e32 v105, vcc, 0, v27, vcc
	v_cvt_f64_f32_e32 v[74:75], v32
	v_cvt_f64_f32_e32 v[72:73], v33
	;; [unrolled: 1-line block ×14, first 2 shown]
	global_load_dword v11, v[28:29], off offset:-128
	global_load_dwordx4 v[106:109], v[104:105], off offset:16
	s_waitcnt vmcnt(2)
	v_fmac_f64_e32 v[16:17], v[58:59], v[78:79]
	v_fmac_f64_e32 v[14:15], v[60:61], v[78:79]
	global_load_dwordx4 v[58:61], v[104:105], off
	v_fmac_f64_e32 v[20:21], v[62:63], v[78:79]
	v_fmac_f64_e32 v[18:19], v[70:71], v[78:79]
	;; [unrolled: 1-line block ×6, first 2 shown]
	s_waitcnt vmcnt(2)
	v_subrev_u32_e32 v11, s16, v11
	s_waitcnt vmcnt(1)
	v_cvt_f64_f32_e32 v[80:81], v106
	v_cvt_f64_f32_e32 v[70:71], v107
	;; [unrolled: 1-line block ×4, first 2 shown]
	global_load_dwordx4 v[106:109], v[104:105], off offset:32
	s_waitcnt vmcnt(1)
	v_cvt_f64_f32_e32 v[78:79], v58
	v_cvt_f64_f32_e32 v[76:77], v59
	;; [unrolled: 1-line block ×4, first 2 shown]
	s_waitcnt vmcnt(0)
	v_cvt_f64_f32_e32 v[84:85], v106
	v_cvt_f64_f32_e32 v[62:63], v107
	v_cvt_f64_f32_e32 v[60:61], v108
	v_cvt_f64_f32_e32 v[58:59], v109
	global_load_dwordx4 v[106:109], v[102:103], off offset:16
	s_waitcnt vmcnt(0)
	v_fmac_f64_e32 v[16:17], v[98:99], v[106:107]
	v_fmac_f64_e32 v[18:19], v[94:95], v[106:107]
	;; [unrolled: 1-line block ×5, first 2 shown]
	global_load_dwordx4 v[94:97], v[104:105], off offset:48
	global_load_dwordx4 v[98:101], v[104:105], off offset:2064
	v_fmac_f64_e32 v[18:19], v[92:93], v[108:109]
	v_fmac_f64_e32 v[20:21], v[72:73], v[108:109]
	;; [unrolled: 1-line block ×3, first 2 shown]
	s_waitcnt vmcnt(1)
	v_cvt_f64_f32_e32 v[92:93], v94
	v_lshlrev_b32_e32 v94, 2, v11
	v_cvt_f64_f32_e32 v[74:75], v95
	v_cvt_f64_f32_e32 v[72:73], v96
	;; [unrolled: 1-line block ×3, first 2 shown]
	global_load_dword v11, v[28:29], off
	s_waitcnt vmcnt(1)
	v_cvt_f64_f32_e32 v[106:107], v98
	v_cvt_f64_f32_e32 v[98:99], v99
	v_ashrrev_i32_e32 v95, 31, v94
	v_lshlrev_b64 v[94:95], 3, v[94:95]
	v_add_co_u32_e32 v102, vcc, s8, v94
	v_addc_co_u32_e32 v103, vcc, v1, v95, vcc
	global_load_dwordx4 v[94:97], v[102:103], off
	s_waitcnt vmcnt(1)
	v_subrev_u32_e32 v11, s16, v11
	s_waitcnt vmcnt(0)
	v_fmac_f64_e32 v[20:21], v[82:83], v[94:95]
	v_fmac_f64_e32 v[18:19], v[86:87], v[94:95]
	;; [unrolled: 1-line block ×4, first 2 shown]
	global_load_dwordx4 v[86:89], v[104:105], off offset:2048
	v_fmac_f64_e32 v[20:21], v[64:65], v[96:97]
	v_fmac_f64_e32 v[18:19], v[66:67], v[96:97]
	;; [unrolled: 1-line block ×4, first 2 shown]
	global_load_dwordx4 v[94:97], v[102:103], off offset:16
	v_cvt_f64_f32_e32 v[64:65], v101
	s_waitcnt vmcnt(0)
	v_fmac_f64_e32 v[16:17], v[42:43], v[94:95]
	v_fmac_f64_e32 v[20:21], v[36:37], v[94:95]
	;; [unrolled: 1-line block ×5, first 2 shown]
	v_lshlrev_b32_e32 v30, 2, v11
	global_load_dword v11, v[28:29], off offset:128
	v_fmac_f64_e32 v[20:21], v[34:35], v[96:97]
	global_load_dwordx4 v[34:37], v[104:105], off offset:2096
	v_cvt_f64_f32_e32 v[48:49], v88
	v_cvt_f64_f32_e32 v[46:47], v89
	global_load_dwordx4 v[88:91], v[104:105], off offset:2080
	v_cvt_f64_f32_e32 v[66:67], v86
	v_cvt_f64_f32_e32 v[82:83], v87
	;; [unrolled: 1-line block ×3, first 2 shown]
	v_fmac_f64_e32 v[14:15], v[32:33], v[96:97]
	v_fmac_f64_e32 v[18:19], v[38:39], v[96:97]
	v_ashrrev_i32_e32 v31, 31, v30
	v_lshlrev_b64 v[30:31], 3, v[30:31]
	s_waitcnt vmcnt(2)
	v_subrev_u32_e32 v11, s16, v11
	s_waitcnt vmcnt(1)
	v_cvt_f64_f32_e32 v[94:95], v35
	v_cvt_f64_f32_e32 v[96:97], v36
	v_cvt_f64_f32_e32 v[102:103], v37
	s_waitcnt vmcnt(0)
	v_cvt_f64_f32_e32 v[100:101], v88
	v_cvt_f64_f32_e32 v[108:109], v89
	;; [unrolled: 1-line block ×5, first 2 shown]
	v_add_co_u32_e32 v34, vcc, s8, v30
	v_lshlrev_b32_e32 v30, 2, v11
	v_addc_co_u32_e32 v35, vcc, v1, v31, vcc
	v_ashrrev_i32_e32 v31, 31, v30
	v_lshlrev_b64 v[30:31], 3, v[30:31]
	v_add_co_u32_e32 v42, vcc, s8, v30
	v_addc_co_u32_e32 v43, vcc, v1, v31, vcc
	global_load_dwordx4 v[30:33], v[34:35], off
	global_load_dwordx4 v[38:41], v[42:43], off
	v_add_co_u32_e32 v24, vcc, 0x80, v24
	global_load_dwordx4 v[34:37], v[34:35], off offset:16
	s_mov_b64 s[2:3], vcc
	global_load_dwordx4 v[42:45], v[42:43], off offset:16
	v_add_co_u32_e32 v28, vcc, 0x200, v28
	s_mov_b64 s[6:7], vcc
	v_addc_co_u32_e64 v25, vcc, 0, v25, s[2:3]
	v_addc_co_u32_e64 v29, s[2:3], 0, v29, s[6:7]
	v_add_co_u32_e32 v26, vcc, 0x2000, v26
	v_cmp_ge_i64_e64 s[2:3], v[24:25], v[6:7]
	v_addc_co_u32_e32 v27, vcc, 0, v27, vcc
	s_or_b64 s[20:21], s[2:3], s[20:21]
	s_waitcnt vmcnt(3)
	v_fmac_f64_e32 v[20:21], v[78:79], v[30:31]
	v_fmac_f64_e32 v[18:19], v[80:81], v[30:31]
	;; [unrolled: 1-line block ×8, first 2 shown]
	s_waitcnt vmcnt(1)
	v_fmac_f64_e32 v[20:21], v[52:53], v[34:35]
	v_fmac_f64_e32 v[18:19], v[56:57], v[34:35]
	;; [unrolled: 1-line block ×16, first 2 shown]
	s_waitcnt vmcnt(0)
	v_fmac_f64_e32 v[20:21], v[48:49], v[42:43]
	v_fmac_f64_e32 v[18:19], v[86:87], v[42:43]
	;; [unrolled: 1-line block ×8, first 2 shown]
	s_andn2_b64 exec, exec, s[20:21]
	s_cbranch_execnz .LBB158_21
; %bb.22:
	s_or_b64 exec, exec, s[20:21]
.LBB158_23:
	s_or_b64 exec, exec, s[18:19]
.LBB158_24:
	s_or_b64 exec, exec, s[14:15]
	s_andn2_b64 vcc, exec, s[10:11]
	s_cbranch_vccz .LBB158_26
	s_branch .LBB158_37
.LBB158_25:
                                        ; implicit-def: $vgpr14_vgpr15
                                        ; implicit-def: $vgpr16_vgpr17
                                        ; implicit-def: $vgpr18_vgpr19
                                        ; implicit-def: $vgpr20_vgpr21
.LBB158_26:
	v_pk_mov_b32 v[14:15], 0, 0
	v_pk_mov_b32 v[16:17], v[14:15], v[14:15] op_sel:[0,1]
	v_pk_mov_b32 v[18:19], v[14:15], v[14:15] op_sel:[0,1]
	;; [unrolled: 1-line block ×3, first 2 shown]
	s_and_saveexec_b64 s[2:3], s[0:1]
	s_cbranch_execz .LBB158_36
; %bb.27:
	v_or_b32_e32 v1, 32, v0
	v_mov_b32_e32 v11, s17
	v_subrev_co_u32_e32 v1, vcc, s16, v1
	v_subb_co_u32_e32 v11, vcc, 0, v11, vcc
	v_add_co_u32_e32 v14, vcc, v1, v22
	v_addc_co_u32_e32 v15, vcc, v11, v23, vcc
	v_cmp_gt_i64_e32 vcc, v[14:15], v[6:7]
	v_cndmask_b32_e32 v1, v7, v15, vcc
	v_cndmask_b32_e32 v11, v6, v14, vcc
	v_mov_b32_e32 v16, s17
	v_sub_co_u32_e32 v17, vcc, s16, v0
	v_not_b32_e32 v15, v22
	v_subbrev_co_u32_e32 v16, vcc, 0, v16, vcc
	v_not_b32_e32 v14, v23
	v_add_co_u32_e32 v15, vcc, v17, v15
	v_addc_co_u32_e32 v14, vcc, v16, v14, vcc
	v_add_co_u32_e32 v22, vcc, v15, v11
	v_addc_co_u32_e32 v23, vcc, v14, v1, vcc
	v_lshrrev_b32_e32 v1, 5, v22
	v_add_u32_e32 v1, 1, v1
	v_and_b32_e32 v1, 3, v1
	v_pk_mov_b32 v[20:21], 0, 0
	v_cmp_ne_u32_e32 vcc, 0, v1
	s_mov_b64 s[10:11], 0
	v_pk_mov_b32 v[18:19], v[20:21], v[20:21] op_sel:[0,1]
	v_pk_mov_b32 v[16:17], v[20:21], v[20:21] op_sel:[0,1]
	;; [unrolled: 1-line block ×3, first 2 shown]
	s_and_saveexec_b64 s[6:7], vcc
	s_cbranch_execz .LBB158_31
; %bb.28:
	v_lshlrev_b64 v[14:15], 2, v[4:5]
	v_mov_b32_e32 v11, s13
	v_add_co_u32_e32 v26, vcc, s12, v14
	v_addc_co_u32_e32 v27, vcc, v11, v15, vcc
	v_pk_mov_b32 v[14:15], 0, 0
	v_mov_b32_e32 v25, 0
	v_lshlrev_b32_e32 v24, 4, v1
	s_movk_i32 s14, 0x800
	s_waitcnt lgkmcnt(0)
	v_mov_b32_e32 v1, s9
	v_pk_mov_b32 v[16:17], v[14:15], v[14:15] op_sel:[0,1]
	v_pk_mov_b32 v[18:19], v[14:15], v[14:15] op_sel:[0,1]
	;; [unrolled: 1-line block ×3, first 2 shown]
.LBB158_29:                             ; =>This Inner Loop Header: Depth=1
	global_load_dword v11, v[26:27], off
	global_load_dwordx4 v[28:31], v[12:13], off offset:16
	global_load_dwordx4 v[32:35], v[12:13], off
	global_load_dwordx4 v[36:39], v[12:13], off offset:32
	v_add_co_u32_e64 v4, s[0:1], 32, v4
	v_addc_co_u32_e64 v5, s[0:1], 0, v5, s[0:1]
	v_add_co_u32_e64 v24, s[0:1], -16, v24
	v_addc_co_u32_e64 v25, s[0:1], -1, v25, s[0:1]
	v_cmp_eq_u64_e64 s[0:1], 0, v[24:25]
	s_or_b64 s[10:11], s[0:1], s[10:11]
	s_waitcnt vmcnt(3)
	v_subrev_u32_e32 v11, s16, v11
	v_lshlrev_b32_e32 v40, 2, v11
	v_ashrrev_i32_e32 v41, 31, v40
	v_lshlrev_b64 v[40:41], 3, v[40:41]
	v_add_co_u32_e32 v52, vcc, s8, v40
	v_addc_co_u32_e32 v53, vcc, v1, v41, vcc
	global_load_dwordx4 v[40:43], v[52:53], off offset:16
	global_load_dwordx4 v[44:47], v[52:53], off
	global_load_dwordx4 v[48:51], v[12:13], off offset:48
	s_waitcnt vmcnt(4)
	v_cvt_f64_f32_e32 v[52:53], v32
	v_cvt_f64_f32_e32 v[32:33], v33
	;; [unrolled: 1-line block ×4, first 2 shown]
	v_add_co_u32_e32 v12, vcc, s14, v12
	v_cvt_f64_f32_e32 v[56:57], v28
	v_cvt_f64_f32_e32 v[28:29], v29
	v_cvt_f64_f32_e32 v[58:59], v30
	v_cvt_f64_f32_e32 v[30:31], v31
	v_addc_co_u32_e32 v13, vcc, 0, v13, vcc
	s_waitcnt vmcnt(3)
	v_cvt_f64_f32_e32 v[60:61], v36
	v_cvt_f64_f32_e32 v[36:37], v37
	;; [unrolled: 1-line block ×4, first 2 shown]
	v_add_co_u32_e32 v26, vcc, 0x80, v26
	v_addc_co_u32_e32 v27, vcc, 0, v27, vcc
	s_waitcnt vmcnt(1)
	v_fmac_f64_e32 v[20:21], v[52:53], v[44:45]
	v_fmac_f64_e32 v[18:19], v[32:33], v[44:45]
	;; [unrolled: 1-line block ×8, first 2 shown]
	s_waitcnt vmcnt(0)
	v_cvt_f64_f32_e32 v[64:65], v48
	v_cvt_f64_f32_e32 v[48:49], v49
	;; [unrolled: 1-line block ×4, first 2 shown]
	v_fmac_f64_e32 v[20:21], v[60:61], v[40:41]
	v_fmac_f64_e32 v[18:19], v[36:37], v[40:41]
	;; [unrolled: 1-line block ×8, first 2 shown]
	s_andn2_b64 exec, exec, s[10:11]
	s_cbranch_execnz .LBB158_29
; %bb.30:
	s_or_b64 exec, exec, s[10:11]
.LBB158_31:
	s_or_b64 exec, exec, s[6:7]
	s_mov_b64 s[0:1], 0x5f
	v_cmp_lt_u64_e32 vcc, s[0:1], v[22:23]
	s_and_saveexec_b64 s[6:7], vcc
	s_cbranch_execz .LBB158_35
; %bb.32:
	v_lshlrev_b64 v[22:23], 2, v[4:5]
	v_mov_b32_e32 v1, s13
	v_add_co_u32_e32 v11, vcc, s12, v22
	v_addc_co_u32_e32 v1, vcc, v23, v1, vcc
	v_add_co_u32_e32 v22, vcc, 0x100, v11
	v_addc_co_u32_e32 v23, vcc, 0, v1, vcc
	s_mov_b64 s[10:11], 0
	s_waitcnt lgkmcnt(0)
	v_mov_b32_e32 v1, s9
	s_movk_i32 s9, 0x1000
.LBB158_33:                             ; =>This Inner Loop Header: Depth=1
	global_load_dwordx4 v[24:27], v[12:13], off
	global_load_dwordx4 v[28:31], v[12:13], off offset:16
	global_load_dwordx4 v[32:35], v[12:13], off offset:32
	;; [unrolled: 1-line block ×6, first 2 shown]
	global_load_dword v11, v[22:23], off offset:-256
	global_load_dword v100, v[22:23], off offset:-128
	global_load_dword v101, v[22:23], off
	global_load_dword v102, v[22:23], off offset:128
	s_waitcnt vmcnt(10)
	v_cvt_f64_f32_e32 v[70:71], v26
	v_cvt_f64_f32_e32 v[72:73], v27
	s_waitcnt vmcnt(9)
	v_cvt_f64_f32_e32 v[78:79], v30
	v_cvt_f64_f32_e32 v[80:81], v31
	;; [unrolled: 3-line block ×3, first 2 shown]
	s_waitcnt vmcnt(4)
	v_cvt_f64_f32_e32 v[30:31], v64
	s_waitcnt vmcnt(3)
	v_subrev_u32_e32 v11, s16, v11
	v_lshlrev_b32_e32 v26, 2, v11
	v_ashrrev_i32_e32 v27, 31, v26
	v_lshlrev_b64 v[26:27], 3, v[26:27]
	v_add_co_u32_e32 v64, vcc, s8, v26
	v_cvt_f64_f32_e32 v[32:33], v65
	v_addc_co_u32_e32 v65, vcc, v1, v27, vcc
	v_cvt_f64_f32_e32 v[74:75], v28
	v_cvt_f64_f32_e32 v[76:77], v29
	global_load_dwordx4 v[26:29], v[64:65], off
	v_cvt_f64_f32_e32 v[54:55], v24
	v_cvt_f64_f32_e32 v[68:69], v25
	v_cvt_f64_f32_e32 v[50:51], v40
	v_cvt_f64_f32_e32 v[52:53], v41
	v_cvt_f64_f32_e32 v[56:57], v42
	v_cvt_f64_f32_e32 v[58:59], v43
	global_load_dwordx4 v[40:43], v[12:13], off offset:2096
	v_cvt_f64_f32_e32 v[94:95], v38
	v_cvt_f64_f32_e32 v[24:25], v39
	;; [unrolled: 1-line block ×7, first 2 shown]
	s_waitcnt vmcnt(4)
	v_subrev_u32_e32 v11, s16, v100
	v_cvt_f64_f32_e32 v[86:87], v34
	v_cvt_f64_f32_e32 v[90:91], v36
	v_cvt_f64_f32_e32 v[92:93], v37
	v_cvt_f64_f32_e32 v[34:35], v66
	v_cvt_f64_f32_e32 v[36:37], v67
	s_waitcnt vmcnt(1)
	v_fmac_f64_e32 v[14:15], v[72:73], v[26:27]
	v_add_co_u32_e32 v72, vcc, s9, v12
	v_fmac_f64_e32 v[20:21], v[54:55], v[26:27]
	v_fmac_f64_e32 v[18:19], v[68:69], v[26:27]
	;; [unrolled: 1-line block ×3, first 2 shown]
	v_addc_co_u32_e32 v73, vcc, 0, v13, vcc
	v_fmac_f64_e32 v[20:21], v[74:75], v[28:29]
	v_fmac_f64_e32 v[18:19], v[76:77], v[28:29]
	;; [unrolled: 1-line block ×4, first 2 shown]
	global_load_dwordx4 v[26:29], v[72:73], off
	global_load_dwordx4 v[68:71], v[72:73], off offset:16
	s_waitcnt vmcnt(2)
	v_cvt_f64_f32_e32 v[78:79], v40
	v_cvt_f64_f32_e32 v[80:81], v41
	;; [unrolled: 1-line block ×4, first 2 shown]
	global_load_dwordx4 v[74:77], v[72:73], off offset:32
	s_waitcnt vmcnt(2)
	v_cvt_f64_f32_e32 v[40:41], v26
	v_cvt_f64_f32_e32 v[42:43], v27
	;; [unrolled: 1-line block ×4, first 2 shown]
	global_load_dwordx4 v[26:29], v[64:65], off offset:16
	s_waitcnt vmcnt(2)
	v_cvt_f64_f32_e32 v[64:65], v68
	s_waitcnt vmcnt(1)
	v_cvt_f64_f32_e32 v[54:55], v74
	v_lshlrev_b32_e32 v74, 2, v11
	v_subrev_u32_e32 v11, s16, v101
	v_cvt_f64_f32_e32 v[66:67], v69
	v_cvt_f64_f32_e32 v[68:69], v70
	;; [unrolled: 1-line block ×3, first 2 shown]
	s_waitcnt vmcnt(0)
	v_fmac_f64_e32 v[14:15], v[88:89], v[26:27]
	v_fmac_f64_e32 v[14:15], v[24:25], v[28:29]
	v_cvt_f64_f32_e32 v[24:25], v75
	v_ashrrev_i32_e32 v75, 31, v74
	v_lshlrev_b64 v[74:75], 3, v[74:75]
	v_fmac_f64_e32 v[20:21], v[82:83], v[26:27]
	v_add_co_u32_e32 v82, vcc, s8, v74
	v_fmac_f64_e32 v[18:19], v[84:85], v[26:27]
	v_fmac_f64_e32 v[16:17], v[86:87], v[26:27]
	v_addc_co_u32_e32 v83, vcc, v1, v75, vcc
	v_fmac_f64_e32 v[20:21], v[90:91], v[28:29]
	v_fmac_f64_e32 v[18:19], v[92:93], v[28:29]
	;; [unrolled: 1-line block ×3, first 2 shown]
	v_cvt_f64_f32_e32 v[26:27], v76
	v_cvt_f64_f32_e32 v[28:29], v77
	global_load_dwordx4 v[74:77], v[82:83], off
	s_waitcnt vmcnt(0)
	v_fmac_f64_e32 v[20:21], v[50:51], v[74:75]
	v_fmac_f64_e32 v[18:19], v[52:53], v[74:75]
	;; [unrolled: 1-line block ×8, first 2 shown]
	global_load_dwordx4 v[74:77], v[82:83], off offset:16
	global_load_dwordx4 v[50:53], v[72:73], off offset:48
	;; [unrolled: 1-line block ×3, first 2 shown]
	s_waitcnt vmcnt(2)
	v_fmac_f64_e32 v[20:21], v[30:31], v[74:75]
	v_fmac_f64_e32 v[18:19], v[32:33], v[74:75]
	global_load_dwordx4 v[30:33], v[72:73], off offset:2064
	v_fmac_f64_e32 v[16:17], v[34:35], v[74:75]
	v_fmac_f64_e32 v[14:15], v[36:37], v[74:75]
	global_load_dwordx4 v[34:37], v[72:73], off offset:2080
	v_fmac_f64_e32 v[20:21], v[78:79], v[76:77]
	v_fmac_f64_e32 v[18:19], v[80:81], v[76:77]
	;; [unrolled: 1-line block ×4, first 2 shown]
	s_waitcnt vmcnt(3)
	v_cvt_f64_f32_e32 v[38:39], v50
	v_cvt_f64_f32_e32 v[48:49], v51
	v_cvt_f64_f32_e32 v[50:51], v52
	v_cvt_f64_f32_e32 v[52:53], v53
	s_waitcnt vmcnt(2)
	v_cvt_f64_f32_e32 v[56:57], v60
	v_cvt_f64_f32_e32 v[58:59], v61
	v_cvt_f64_f32_e32 v[60:61], v62
	v_cvt_f64_f32_e32 v[62:63], v63
	;; [unrolled: 5-line block ×3, first 2 shown]
	global_load_dwordx4 v[30:33], v[72:73], off offset:2096
	s_waitcnt vmcnt(1)
	v_cvt_f64_f32_e32 v[82:83], v34
	v_cvt_f64_f32_e32 v[84:85], v35
	;; [unrolled: 1-line block ×4, first 2 shown]
	s_waitcnt vmcnt(0)
	v_cvt_f64_f32_e32 v[72:73], v30
	v_lshlrev_b32_e32 v30, 2, v11
	v_cvt_f64_f32_e32 v[90:91], v31
	v_ashrrev_i32_e32 v31, 31, v30
	v_lshlrev_b64 v[30:31], 3, v[30:31]
	v_subrev_u32_e32 v11, s16, v102
	v_add_co_u32_e32 v96, vcc, s8, v30
	v_lshlrev_b32_e32 v30, 2, v11
	v_addc_co_u32_e32 v97, vcc, v1, v31, vcc
	v_ashrrev_i32_e32 v31, 31, v30
	v_lshlrev_b64 v[30:31], 3, v[30:31]
	v_add_co_u32_e32 v98, vcc, s8, v30
	v_cvt_f64_f32_e32 v[92:93], v32
	v_cvt_f64_f32_e32 v[94:95], v33
	v_addc_co_u32_e32 v99, vcc, v1, v31, vcc
	global_load_dwordx4 v[30:33], v[96:97], off
	v_add_co_u32_e32 v4, vcc, 0x80, v4
	v_addc_co_u32_e32 v5, vcc, 0, v5, vcc
	v_add_co_u32_e32 v22, vcc, 0x200, v22
	v_addc_co_u32_e32 v23, vcc, 0, v23, vcc
	v_cmp_ge_i64_e64 s[0:1], v[4:5], v[6:7]
	v_add_co_u32_e32 v12, vcc, 0x2000, v12
	v_addc_co_u32_e32 v13, vcc, 0, v13, vcc
	s_or_b64 s[10:11], s[0:1], s[10:11]
	s_waitcnt vmcnt(0)
	v_fmac_f64_e32 v[20:21], v[40:41], v[30:31]
	v_fmac_f64_e32 v[18:19], v[42:43], v[30:31]
	;; [unrolled: 1-line block ×8, first 2 shown]
	global_load_dwordx4 v[30:33], v[96:97], off offset:16
	global_load_dwordx4 v[34:37], v[98:99], off
	global_load_dwordx4 v[40:43], v[98:99], off offset:16
	s_waitcnt vmcnt(2)
	v_fmac_f64_e32 v[20:21], v[54:55], v[30:31]
	v_fmac_f64_e32 v[18:19], v[24:25], v[30:31]
	v_fmac_f64_e32 v[16:17], v[26:27], v[30:31]
	v_fmac_f64_e32 v[14:15], v[28:29], v[30:31]
	v_fmac_f64_e32 v[20:21], v[38:39], v[32:33]
	v_fmac_f64_e32 v[18:19], v[48:49], v[32:33]
	v_fmac_f64_e32 v[16:17], v[50:51], v[32:33]
	v_fmac_f64_e32 v[14:15], v[52:53], v[32:33]
	s_waitcnt vmcnt(1)
	v_fmac_f64_e32 v[20:21], v[56:57], v[34:35]
	v_fmac_f64_e32 v[18:19], v[58:59], v[34:35]
	v_fmac_f64_e32 v[16:17], v[60:61], v[34:35]
	v_fmac_f64_e32 v[14:15], v[62:63], v[34:35]
	v_fmac_f64_e32 v[20:21], v[74:75], v[36:37]
	v_fmac_f64_e32 v[18:19], v[76:77], v[36:37]
	v_fmac_f64_e32 v[16:17], v[78:79], v[36:37]
	v_fmac_f64_e32 v[14:15], v[80:81], v[36:37]
	;; [unrolled: 9-line block ×3, first 2 shown]
	s_andn2_b64 exec, exec, s[10:11]
	s_cbranch_execnz .LBB158_33
; %bb.34:
	s_or_b64 exec, exec, s[10:11]
.LBB158_35:
	s_or_b64 exec, exec, s[6:7]
.LBB158_36:
	s_or_b64 exec, exec, s[2:3]
.LBB158_37:
	v_mov_b32_dpp v4, v20 row_shr:1 row_mask:0xf bank_mask:0xf
	v_mov_b32_dpp v5, v21 row_shr:1 row_mask:0xf bank_mask:0xf
	v_add_f64 v[4:5], v[20:21], v[4:5]
	v_mov_b32_dpp v12, v18 row_shr:1 row_mask:0xf bank_mask:0xf
	v_mov_b32_dpp v13, v19 row_shr:1 row_mask:0xf bank_mask:0xf
	;; [unrolled: 1-line block ×6, first 2 shown]
	v_add_f64 v[12:13], v[18:19], v[12:13]
	v_add_f64 v[16:17], v[16:17], v[20:21]
	v_add_f64 v[14:15], v[14:15], v[22:23]
	v_mov_b32_dpp v6, v4 row_shr:2 row_mask:0xf bank_mask:0xf
	v_mov_b32_dpp v7, v5 row_shr:2 row_mask:0xf bank_mask:0xf
	v_mov_b32_dpp v18, v12 row_shr:2 row_mask:0xf bank_mask:0xf
	v_mov_b32_dpp v19, v13 row_shr:2 row_mask:0xf bank_mask:0xf
	v_mov_b32_dpp v20, v16 row_shr:2 row_mask:0xf bank_mask:0xf
	v_mov_b32_dpp v21, v17 row_shr:2 row_mask:0xf bank_mask:0xf
	v_mov_b32_dpp v22, v14 row_shr:2 row_mask:0xf bank_mask:0xf
	v_mov_b32_dpp v23, v15 row_shr:2 row_mask:0xf bank_mask:0xf
	v_add_f64 v[4:5], v[4:5], v[6:7]
	v_add_f64 v[12:13], v[12:13], v[18:19]
	v_add_f64 v[16:17], v[16:17], v[20:21]
	v_add_f64 v[14:15], v[14:15], v[22:23]
	v_mov_b32_dpp v6, v4 row_shr:4 row_mask:0xf bank_mask:0xe
	v_mov_b32_dpp v7, v5 row_shr:4 row_mask:0xf bank_mask:0xe
	v_mov_b32_dpp v18, v12 row_shr:4 row_mask:0xf bank_mask:0xe
	v_mov_b32_dpp v19, v13 row_shr:4 row_mask:0xf bank_mask:0xe
	v_mov_b32_dpp v20, v16 row_shr:4 row_mask:0xf bank_mask:0xe
	v_mov_b32_dpp v21, v17 row_shr:4 row_mask:0xf bank_mask:0xe
	v_mov_b32_dpp v22, v14 row_shr:4 row_mask:0xf bank_mask:0xe
	v_mov_b32_dpp v23, v15 row_shr:4 row_mask:0xf bank_mask:0xe
	v_add_f64 v[4:5], v[4:5], v[6:7]
	;; [unrolled: 12-line block ×3, first 2 shown]
	v_add_f64 v[12:13], v[12:13], v[18:19]
	v_add_f64 v[16:17], v[16:17], v[20:21]
	;; [unrolled: 1-line block ×3, first 2 shown]
	v_mov_b32_dpp v6, v4 row_bcast:15 row_mask:0xa bank_mask:0xf
	v_mov_b32_dpp v7, v5 row_bcast:15 row_mask:0xa bank_mask:0xf
	;; [unrolled: 1-line block ×8, first 2 shown]
	v_cmp_eq_u32_e32 vcc, 31, v0
	s_and_b64 exec, exec, vcc
	s_cbranch_execz .LBB158_10
; %bb.38:
	s_load_dwordx2 s[0:1], s[4:5], 0x50
	v_add_f64 v[0:1], v[4:5], v[6:7]
	v_add_f64 v[6:7], v[12:13], v[18:19]
	;; [unrolled: 1-line block ×4, first 2 shown]
	v_cmp_eq_f64_e32 vcc, 0, v[8:9]
	v_mul_f64 v[4:5], v[2:3], v[0:1]
	v_mul_f64 v[6:7], v[2:3], v[6:7]
	;; [unrolled: 1-line block ×4, first 2 shown]
	v_lshlrev_b32_e32 v10, 2, v10
	s_and_saveexec_b64 s[2:3], vcc
	s_xor_b64 s[2:3], exec, s[2:3]
	s_cbranch_execz .LBB158_40
; %bb.39:
	v_ashrrev_i32_e32 v11, 31, v10
	v_lshlrev_b64 v[8:9], 3, v[10:11]
	s_waitcnt lgkmcnt(0)
	v_mov_b32_e32 v10, s1
	v_add_co_u32_e32 v8, vcc, s0, v8
	v_addc_co_u32_e32 v9, vcc, v10, v9, vcc
	global_store_dwordx4 v[8:9], v[4:7], off
	global_store_dwordx4 v[8:9], v[0:3], off offset:16
                                        ; implicit-def: $vgpr10
                                        ; implicit-def: $vgpr8_vgpr9
                                        ; implicit-def: $vgpr4_vgpr5
                                        ; implicit-def: $vgpr0_vgpr1
.LBB158_40:
	s_andn2_saveexec_b64 s[2:3], s[2:3]
	s_cbranch_execz .LBB158_10
; %bb.41:
	v_ashrrev_i32_e32 v11, 31, v10
	v_lshlrev_b64 v[10:11], 3, v[10:11]
	s_waitcnt lgkmcnt(0)
	v_mov_b32_e32 v12, s1
	v_add_co_u32_e32 v18, vcc, s0, v10
	v_addc_co_u32_e32 v19, vcc, v12, v11, vcc
	global_load_dwordx4 v[10:13], v[18:19], off
	global_load_dwordx4 v[14:17], v[18:19], off offset:16
	s_waitcnt vmcnt(1)
	v_fmac_f64_e32 v[4:5], v[8:9], v[10:11]
	v_fmac_f64_e32 v[6:7], v[8:9], v[12:13]
	s_waitcnt vmcnt(0)
	v_fmac_f64_e32 v[0:1], v[8:9], v[14:15]
	v_fmac_f64_e32 v[2:3], v[8:9], v[16:17]
	global_store_dwordx4 v[18:19], v[4:7], off
	global_store_dwordx4 v[18:19], v[0:3], off offset:16
	s_endpgm
	.section	.rodata,"a",@progbits
	.p2align	6, 0x0
	.amdhsa_kernel _ZN9rocsparseL18bsrxmvn_4x4_kernelILj128ELj32EdlifddEEvT3_20rocsparse_direction_NS_24const_host_device_scalarIT1_EES1_PKS1_PKT2_SA_S7_PKT4_PKT5_S5_PT6_21rocsparse_index_base_b
		.amdhsa_group_segment_fixed_size 0
		.amdhsa_private_segment_fixed_size 0
		.amdhsa_kernarg_size 96
		.amdhsa_user_sgpr_count 6
		.amdhsa_user_sgpr_private_segment_buffer 1
		.amdhsa_user_sgpr_dispatch_ptr 0
		.amdhsa_user_sgpr_queue_ptr 0
		.amdhsa_user_sgpr_kernarg_segment_ptr 1
		.amdhsa_user_sgpr_dispatch_id 0
		.amdhsa_user_sgpr_flat_scratch_init 0
		.amdhsa_user_sgpr_kernarg_preload_length 0
		.amdhsa_user_sgpr_kernarg_preload_offset 0
		.amdhsa_user_sgpr_private_segment_size 0
		.amdhsa_uses_dynamic_stack 0
		.amdhsa_system_sgpr_private_segment_wavefront_offset 0
		.amdhsa_system_sgpr_workgroup_id_x 1
		.amdhsa_system_sgpr_workgroup_id_y 0
		.amdhsa_system_sgpr_workgroup_id_z 0
		.amdhsa_system_sgpr_workgroup_info 0
		.amdhsa_system_vgpr_workitem_id 0
		.amdhsa_next_free_vgpr 112
		.amdhsa_next_free_sgpr 23
		.amdhsa_accum_offset 112
		.amdhsa_reserve_vcc 1
		.amdhsa_reserve_flat_scratch 0
		.amdhsa_float_round_mode_32 0
		.amdhsa_float_round_mode_16_64 0
		.amdhsa_float_denorm_mode_32 3
		.amdhsa_float_denorm_mode_16_64 3
		.amdhsa_dx10_clamp 1
		.amdhsa_ieee_mode 1
		.amdhsa_fp16_overflow 0
		.amdhsa_tg_split 0
		.amdhsa_exception_fp_ieee_invalid_op 0
		.amdhsa_exception_fp_denorm_src 0
		.amdhsa_exception_fp_ieee_div_zero 0
		.amdhsa_exception_fp_ieee_overflow 0
		.amdhsa_exception_fp_ieee_underflow 0
		.amdhsa_exception_fp_ieee_inexact 0
		.amdhsa_exception_int_div_zero 0
	.end_amdhsa_kernel
	.section	.text._ZN9rocsparseL18bsrxmvn_4x4_kernelILj128ELj32EdlifddEEvT3_20rocsparse_direction_NS_24const_host_device_scalarIT1_EES1_PKS1_PKT2_SA_S7_PKT4_PKT5_S5_PT6_21rocsparse_index_base_b,"axG",@progbits,_ZN9rocsparseL18bsrxmvn_4x4_kernelILj128ELj32EdlifddEEvT3_20rocsparse_direction_NS_24const_host_device_scalarIT1_EES1_PKS1_PKT2_SA_S7_PKT4_PKT5_S5_PT6_21rocsparse_index_base_b,comdat
.Lfunc_end158:
	.size	_ZN9rocsparseL18bsrxmvn_4x4_kernelILj128ELj32EdlifddEEvT3_20rocsparse_direction_NS_24const_host_device_scalarIT1_EES1_PKS1_PKT2_SA_S7_PKT4_PKT5_S5_PT6_21rocsparse_index_base_b, .Lfunc_end158-_ZN9rocsparseL18bsrxmvn_4x4_kernelILj128ELj32EdlifddEEvT3_20rocsparse_direction_NS_24const_host_device_scalarIT1_EES1_PKS1_PKT2_SA_S7_PKT4_PKT5_S5_PT6_21rocsparse_index_base_b
                                        ; -- End function
	.section	.AMDGPU.csdata,"",@progbits
; Kernel info:
; codeLenInByte = 4520
; NumSgprs: 27
; NumVgprs: 112
; NumAgprs: 0
; TotalNumVgprs: 112
; ScratchSize: 0
; MemoryBound: 0
; FloatMode: 240
; IeeeMode: 1
; LDSByteSize: 0 bytes/workgroup (compile time only)
; SGPRBlocks: 3
; VGPRBlocks: 13
; NumSGPRsForWavesPerEU: 27
; NumVGPRsForWavesPerEU: 112
; AccumOffset: 112
; Occupancy: 4
; WaveLimiterHint : 1
; COMPUTE_PGM_RSRC2:SCRATCH_EN: 0
; COMPUTE_PGM_RSRC2:USER_SGPR: 6
; COMPUTE_PGM_RSRC2:TRAP_HANDLER: 0
; COMPUTE_PGM_RSRC2:TGID_X_EN: 1
; COMPUTE_PGM_RSRC2:TGID_Y_EN: 0
; COMPUTE_PGM_RSRC2:TGID_Z_EN: 0
; COMPUTE_PGM_RSRC2:TIDIG_COMP_CNT: 0
; COMPUTE_PGM_RSRC3_GFX90A:ACCUM_OFFSET: 27
; COMPUTE_PGM_RSRC3_GFX90A:TG_SPLIT: 0
	.section	.text._ZN9rocsparseL18bsrxmvn_4x4_kernelILj128ELj64EdlifddEEvT3_20rocsparse_direction_NS_24const_host_device_scalarIT1_EES1_PKS1_PKT2_SA_S7_PKT4_PKT5_S5_PT6_21rocsparse_index_base_b,"axG",@progbits,_ZN9rocsparseL18bsrxmvn_4x4_kernelILj128ELj64EdlifddEEvT3_20rocsparse_direction_NS_24const_host_device_scalarIT1_EES1_PKS1_PKT2_SA_S7_PKT4_PKT5_S5_PT6_21rocsparse_index_base_b,comdat
	.globl	_ZN9rocsparseL18bsrxmvn_4x4_kernelILj128ELj64EdlifddEEvT3_20rocsparse_direction_NS_24const_host_device_scalarIT1_EES1_PKS1_PKT2_SA_S7_PKT4_PKT5_S5_PT6_21rocsparse_index_base_b ; -- Begin function _ZN9rocsparseL18bsrxmvn_4x4_kernelILj128ELj64EdlifddEEvT3_20rocsparse_direction_NS_24const_host_device_scalarIT1_EES1_PKS1_PKT2_SA_S7_PKT4_PKT5_S5_PT6_21rocsparse_index_base_b
	.p2align	8
	.type	_ZN9rocsparseL18bsrxmvn_4x4_kernelILj128ELj64EdlifddEEvT3_20rocsparse_direction_NS_24const_host_device_scalarIT1_EES1_PKS1_PKT2_SA_S7_PKT4_PKT5_S5_PT6_21rocsparse_index_base_b,@function
_ZN9rocsparseL18bsrxmvn_4x4_kernelILj128ELj64EdlifddEEvT3_20rocsparse_direction_NS_24const_host_device_scalarIT1_EES1_PKS1_PKT2_SA_S7_PKT4_PKT5_S5_PT6_21rocsparse_index_base_b: ; @_ZN9rocsparseL18bsrxmvn_4x4_kernelILj128ELj64EdlifddEEvT3_20rocsparse_direction_NS_24const_host_device_scalarIT1_EES1_PKS1_PKT2_SA_S7_PKT4_PKT5_S5_PT6_21rocsparse_index_base_b
; %bb.0:
	s_load_dwordx2 s[16:17], s[4:5], 0x58
	s_load_dwordx2 s[8:9], s[4:5], 0x8
	;; [unrolled: 1-line block ×3, first 2 shown]
	s_waitcnt lgkmcnt(0)
	s_bitcmp1_b32 s17, 0
	s_cselect_b64 s[10:11], -1, 0
	s_xor_b64 s[2:3], s[10:11], -1
	s_and_b64 vcc, exec, s[10:11]
	v_pk_mov_b32 v[10:11], s[8:9], s[8:9] op_sel:[0,1]
	s_cbranch_vccnz .LBB159_2
; %bb.1:
	v_pk_mov_b32 v[2:3], s[8:9], s[8:9] op_sel:[0,1]
	flat_load_dwordx2 v[10:11], v[2:3]
.LBB159_2:
	s_andn2_b64 vcc, exec, s[2:3]
	v_pk_mov_b32 v[8:9], s[0:1], s[0:1] op_sel:[0,1]
	s_cbranch_vccnz .LBB159_4
; %bb.3:
	v_pk_mov_b32 v[2:3], s[0:1], s[0:1] op_sel:[0,1]
	flat_load_dwordx2 v[8:9], v[2:3]
.LBB159_4:
	s_waitcnt vmcnt(0) lgkmcnt(0)
	v_cmp_neq_f64_e32 vcc, 0, v[10:11]
	v_cmp_neq_f64_e64 s[0:1], 1.0, v[8:9]
	s_mov_b64 s[2:3], 0
	s_or_b64 s[0:1], vcc, s[0:1]
	s_and_saveexec_b64 s[8:9], s[0:1]
	s_cbranch_execz .LBB159_10
; %bb.5:
	s_load_dwordx2 s[8:9], s[4:5], 0x18
	s_load_dwordx2 s[0:1], s[4:5], 0x0
	v_lshrrev_b32_e32 v1, 6, v0
	v_lshl_or_b32 v12, s6, 1, v1
	s_mov_b64 s[6:7], 0
	s_waitcnt lgkmcnt(0)
	s_cmp_lg_u64 s[8:9], 0
	s_cbranch_scc0 .LBB159_11
; %bb.6:
	s_load_dword s2, s[4:5], 0x10
                                        ; implicit-def: $vgpr1
	s_waitcnt lgkmcnt(0)
	v_cmp_gt_i32_e32 vcc, s2, v12
	s_and_saveexec_b64 s[2:3], vcc
	s_xor_b64 s[2:3], exec, s[2:3]
	s_cbranch_execz .LBB159_8
; %bb.7:
	v_ashrrev_i32_e32 v13, 31, v12
	v_lshlrev_b64 v[2:3], 2, v[12:13]
	v_mov_b32_e32 v1, s9
	v_add_co_u32_e32 v2, vcc, s8, v2
	v_addc_co_u32_e32 v3, vcc, v1, v3, vcc
	global_load_dword v1, v[2:3], off
	s_mov_b64 s[6:7], exec
	s_waitcnt vmcnt(0)
	v_subrev_u32_e32 v1, s16, v1
.LBB159_8:
	s_or_b64 exec, exec, s[2:3]
	s_mov_b64 s[2:3], s[6:7]
	s_branch .LBB159_12
.LBB159_9:
	v_cmp_gt_i32_e32 vcc, s0, v12
	s_andn2_b64 s[2:3], s[2:3], exec
	s_and_b64 s[6:7], vcc, exec
	s_or_b64 s[2:3], s[2:3], s[6:7]
	s_and_b64 exec, exec, s[2:3]
	s_cbranch_execnz .LBB159_13
.LBB159_10:
	s_endpgm
.LBB159_11:
                                        ; implicit-def: $vgpr1
	s_cbranch_execnz .LBB159_9
.LBB159_12:
	v_mov_b32_e32 v12, v1
	s_and_b64 exec, exec, s[2:3]
	s_cbranch_execz .LBB159_10
.LBB159_13:
	s_load_dwordx8 s[8:15], s[4:5], 0x20
	v_ashrrev_i32_e32 v13, 31, v12
	v_lshlrev_b64 v[2:3], 3, v[12:13]
	v_and_b32_e32 v14, 63, v0
	s_mov_b32 s17, 0
	s_waitcnt lgkmcnt(0)
	v_mov_b32_e32 v1, s9
	v_add_co_u32_e32 v6, vcc, s8, v2
	v_addc_co_u32_e32 v7, vcc, v1, v3, vcc
	v_add_co_u32_e32 v1, vcc, 8, v6
	global_load_dwordx2 v[4:5], v[6:7], off
	v_addc_co_u32_e32 v6, vcc, 0, v7, vcc
	v_mov_b32_e32 v7, s11
	v_add_co_u32_e32 v2, vcc, s10, v2
	s_cmp_eq_u64 s[10:11], 0
	v_addc_co_u32_e32 v3, vcc, v7, v3, vcc
	s_cselect_b64 vcc, -1, 0
	v_cndmask_b32_e32 v3, v3, v6, vcc
	v_cndmask_b32_e32 v2, v2, v1, vcc
	global_load_dwordx2 v[2:3], v[2:3], off
	s_load_dwordx2 s[8:9], s[4:5], 0x40
	v_mov_b32_e32 v6, s15
	s_cmp_eq_u32 s1, 1
	s_waitcnt vmcnt(1)
	v_subrev_co_u32_e32 v0, vcc, s16, v4
	v_subbrev_co_u32_e32 v1, vcc, 0, v5, vcc
	v_add_co_u32_e32 v18, vcc, v0, v14
	v_addc_co_u32_e32 v19, vcc, 0, v1, vcc
	v_lshlrev_b64 v[0:1], 6, v[18:19]
	s_waitcnt vmcnt(0)
	v_subrev_co_u32_e32 v20, vcc, s16, v2
	v_subbrev_co_u32_e32 v21, vcc, 0, v3, vcc
	v_add_co_u32_e32 v22, vcc, s14, v0
	v_addc_co_u32_e32 v23, vcc, v6, v1, vcc
	v_cmp_lt_i64_e64 s[0:1], v[18:19], v[20:21]
	s_cbranch_scc1 .LBB159_25
; %bb.14:
	v_pk_mov_b32 v[16:17], 0, 0
	s_mov_b64 s[10:11], 0
	v_pk_mov_b32 v[24:25], v[16:17], v[16:17] op_sel:[0,1]
	v_pk_mov_b32 v[26:27], v[16:17], v[16:17] op_sel:[0,1]
	;; [unrolled: 1-line block ×3, first 2 shown]
	s_and_saveexec_b64 s[14:15], s[0:1]
	s_cbranch_execz .LBB159_24
; %bb.15:
	v_or_b32_e32 v0, 64, v14
	v_mov_b32_e32 v1, s17
	v_subrev_co_u32_e32 v0, vcc, s16, v0
	v_subb_co_u32_e32 v1, vcc, 0, v1, vcc
	v_add_co_u32_e32 v0, vcc, v0, v4
	v_addc_co_u32_e32 v1, vcc, v1, v5, vcc
	v_cmp_gt_i64_e32 vcc, v[0:1], v[20:21]
	v_cndmask_b32_e32 v1, v21, v1, vcc
	v_cndmask_b32_e32 v0, v20, v0, vcc
	v_mov_b32_e32 v6, s17
	v_sub_co_u32_e32 v7, vcc, s16, v14
	v_not_b32_e32 v3, v4
	v_subbrev_co_u32_e32 v6, vcc, 0, v6, vcc
	v_not_b32_e32 v2, v5
	v_add_co_u32_e32 v3, vcc, v7, v3
	v_addc_co_u32_e32 v2, vcc, v6, v2, vcc
	v_add_co_u32_e32 v0, vcc, v3, v0
	v_addc_co_u32_e32 v1, vcc, v2, v1, vcc
	v_lshrrev_b32_e32 v2, 6, v0
	v_add_u32_e32 v2, 1, v2
	v_and_b32_e32 v2, 3, v2
	v_pk_mov_b32 v[28:29], 0, 0
	v_cmp_ne_u32_e32 vcc, 0, v2
	s_mov_b64 s[18:19], 0
	v_pk_mov_b32 v[26:27], v[28:29], v[28:29] op_sel:[0,1]
	v_pk_mov_b32 v[24:25], v[28:29], v[28:29] op_sel:[0,1]
	v_pk_mov_b32 v[16:17], v[28:29], v[28:29] op_sel:[0,1]
	v_pk_mov_b32 v[6:7], v[18:19], v[18:19] op_sel:[0,1]
	v_pk_mov_b32 v[30:31], v[22:23], v[22:23] op_sel:[0,1]
	s_and_saveexec_b64 s[6:7], vcc
	s_cbranch_execz .LBB159_19
; %bb.16:
	v_lshlrev_b64 v[6:7], 2, v[18:19]
	v_mov_b32_e32 v13, s13
	v_add_co_u32_e32 v32, vcc, s12, v6
	v_pk_mov_b32 v[16:17], 0, 0
	v_mov_b32_e32 v3, 0
	v_addc_co_u32_e32 v33, vcc, v13, v7, vcc
	v_lshlrev_b32_e32 v2, 4, v2
	s_movk_i32 s20, 0x1000
	s_waitcnt lgkmcnt(0)
	v_mov_b32_e32 v13, s9
	v_pk_mov_b32 v[30:31], v[22:23], v[22:23] op_sel:[0,1]
	v_pk_mov_b32 v[6:7], v[18:19], v[18:19] op_sel:[0,1]
	;; [unrolled: 1-line block ×5, first 2 shown]
.LBB159_17:                             ; =>This Inner Loop Header: Depth=1
	global_load_dword v15, v[32:33], off
	global_load_dwordx4 v[34:37], v[30:31], off
	global_load_dwordx4 v[38:41], v[30:31], off offset:16
	global_load_dwordx4 v[42:45], v[30:31], off offset:48
	;; [unrolled: 1-line block ×3, first 2 shown]
	v_add_co_u32_e64 v6, s[2:3], 64, v6
	v_addc_co_u32_e64 v7, s[2:3], 0, v7, s[2:3]
	v_add_co_u32_e64 v2, s[2:3], -16, v2
	v_addc_co_u32_e64 v3, s[2:3], -1, v3, s[2:3]
	v_cmp_eq_u64_e64 s[2:3], 0, v[2:3]
	s_or_b64 s[18:19], s[2:3], s[18:19]
	s_waitcnt vmcnt(4)
	v_subrev_u32_e32 v15, s16, v15
	v_lshlrev_b32_e32 v50, 2, v15
	v_ashrrev_i32_e32 v51, 31, v50
	v_lshlrev_b64 v[50:51], 3, v[50:51]
	v_add_co_u32_e32 v58, vcc, s8, v50
	v_addc_co_u32_e32 v59, vcc, v13, v51, vcc
	global_load_dwordx4 v[50:53], v[58:59], off
	global_load_dwordx4 v[54:57], v[58:59], off offset:16
	s_waitcnt vmcnt(5)
	v_cvt_f64_f32_e32 v[58:59], v34
	s_waitcnt vmcnt(4)
	v_cvt_f64_f32_e32 v[62:63], v38
	;; [unrolled: 2-line block ×3, first 2 shown]
	v_cvt_f64_f32_e32 v[70:71], v42
	v_add_co_u32_e32 v30, vcc, s20, v30
	v_cvt_f64_f32_e32 v[34:35], v35
	v_cvt_f64_f32_e32 v[38:39], v39
	v_cvt_f64_f32_e32 v[46:47], v47
	v_cvt_f64_f32_e32 v[42:43], v43
	v_addc_co_u32_e32 v31, vcc, 0, v31, vcc
	v_cvt_f64_f32_e32 v[60:61], v36
	v_cvt_f64_f32_e32 v[64:65], v40
	;; [unrolled: 1-line block ×4, first 2 shown]
	v_add_co_u32_e32 v32, vcc, 0x100, v32
	v_cvt_f64_f32_e32 v[36:37], v37
	v_cvt_f64_f32_e32 v[40:41], v41
	v_cvt_f64_f32_e32 v[48:49], v49
	v_cvt_f64_f32_e32 v[44:45], v45
	v_addc_co_u32_e32 v33, vcc, 0, v33, vcc
	s_waitcnt vmcnt(1)
	v_fmac_f64_e32 v[28:29], v[58:59], v[50:51]
	v_fmac_f64_e32 v[26:27], v[62:63], v[50:51]
	;; [unrolled: 1-line block ×8, first 2 shown]
	s_waitcnt vmcnt(0)
	v_fmac_f64_e32 v[28:29], v[60:61], v[54:55]
	v_fmac_f64_e32 v[26:27], v[64:65], v[54:55]
	;; [unrolled: 1-line block ×8, first 2 shown]
	s_andn2_b64 exec, exec, s[18:19]
	s_cbranch_execnz .LBB159_17
; %bb.18:
	s_or_b64 exec, exec, s[18:19]
.LBB159_19:
	s_or_b64 exec, exec, s[6:7]
	s_mov_b64 s[2:3], 0xbf
	v_cmp_lt_u64_e32 vcc, s[2:3], v[0:1]
	s_and_saveexec_b64 s[18:19], vcc
	s_cbranch_execz .LBB159_23
; %bb.20:
	v_lshlrev_b64 v[0:1], 2, v[6:7]
	v_mov_b32_e32 v2, s13
	v_add_co_u32_e32 v0, vcc, s12, v0
	v_addc_co_u32_e32 v1, vcc, v1, v2, vcc
	v_add_co_u32_e32 v32, vcc, 0x200, v0
	v_addc_co_u32_e32 v33, vcc, 0, v1, vcc
	s_mov_b64 s[20:21], 0
	s_waitcnt lgkmcnt(0)
	v_mov_b32_e32 v13, s9
	s_movk_i32 s22, 0x1000
	s_movk_i32 s23, 0x2000
	;; [unrolled: 1-line block ×3, first 2 shown]
.LBB159_21:                             ; =>This Inner Loop Header: Depth=1
	global_load_dwordx4 v[0:3], v[30:31], off
	global_load_dwordx4 v[34:37], v[30:31], off offset:16
	global_load_dwordx4 v[38:41], v[30:31], off offset:32
	;; [unrolled: 1-line block ×3, first 2 shown]
	v_add_co_u32_e32 v62, vcc, s22, v30
	v_add_co_u32_e64 v64, s[2:3], s23, v30
	v_addc_co_u32_e32 v63, vcc, 0, v31, vcc
	v_addc_co_u32_e64 v65, vcc, 0, v31, s[2:3]
	global_load_dwordx4 v[46:49], v[64:65], off offset:-4096
	global_load_dwordx4 v[50:53], v[62:63], off offset:16
	global_load_dwordx4 v[54:57], v[62:63], off offset:32
	;; [unrolled: 1-line block ×3, first 2 shown]
	global_load_dword v15, v[32:33], off
	s_waitcnt vmcnt(8)
	v_cvt_f64_f32_e32 v[62:63], v0
	global_load_dword v0, v[32:33], off offset:-512
	v_cvt_f64_f32_e32 v[86:87], v1
	v_cvt_f64_f32_e32 v[96:97], v2
	;; [unrolled: 1-line block ×3, first 2 shown]
	s_waitcnt vmcnt(8)
	v_cvt_f64_f32_e32 v[100:101], v34
	v_cvt_f64_f32_e32 v[102:103], v36
	;; [unrolled: 1-line block ×3, first 2 shown]
	s_waitcnt vmcnt(7)
	v_cvt_f64_f32_e32 v[36:37], v38
	s_waitcnt vmcnt(5)
	v_cvt_f64_f32_e32 v[72:73], v48
	v_cvt_f64_f32_e32 v[70:71], v49
	;; [unrolled: 1-line block ×12, first 2 shown]
	s_waitcnt vmcnt(3)
	v_cvt_f64_f32_e32 v[92:93], v54
	v_cvt_f64_f32_e32 v[82:83], v55
	;; [unrolled: 1-line block ×4, first 2 shown]
	s_waitcnt vmcnt(2)
	v_cvt_f64_f32_e32 v[94:95], v58
	v_cvt_f64_f32_e32 v[84:85], v59
	;; [unrolled: 1-line block ×8, first 2 shown]
	s_waitcnt vmcnt(1)
	v_subrev_u32_e32 v15, s16, v15
	global_load_dwordx4 v[40:43], v[64:65], off offset:16
	s_waitcnt vmcnt(1)
	v_subrev_u32_e32 v0, s16, v0
	v_lshlrev_b32_e32 v0, 2, v0
	v_ashrrev_i32_e32 v1, 31, v0
	v_lshlrev_b64 v[0:1], 3, v[0:1]
	v_add_co_u32_e32 v48, vcc, s8, v0
	v_addc_co_u32_e32 v49, vcc, v13, v1, vcc
	global_load_dwordx4 v[0:3], v[48:49], off
	s_waitcnt vmcnt(1)
	v_cvt_f64_f32_e32 v[60:61], v40
	v_cvt_f64_f32_e32 v[54:55], v41
	;; [unrolled: 1-line block ×3, first 2 shown]
	s_waitcnt vmcnt(0)
	v_fmac_f64_e32 v[28:29], v[62:63], v[0:1]
	v_fmac_f64_e32 v[26:27], v[100:101], v[0:1]
	;; [unrolled: 1-line block ×4, first 2 shown]
	global_load_dwordx4 v[36:39], v[64:65], off
	v_fmac_f64_e32 v[28:29], v[86:87], v[2:3]
	v_fmac_f64_e32 v[26:27], v[34:35], v[2:3]
	;; [unrolled: 1-line block ×4, first 2 shown]
	global_load_dwordx4 v[0:3], v[64:65], off offset:32
	s_waitcnt vmcnt(1)
	v_cvt_f64_f32_e32 v[58:59], v36
	v_cvt_f64_f32_e32 v[56:57], v37
	;; [unrolled: 1-line block ×5, first 2 shown]
	s_waitcnt vmcnt(0)
	v_cvt_f64_f32_e32 v[62:63], v0
	v_cvt_f64_f32_e32 v[46:47], v1
	v_cvt_f64_f32_e32 v[44:45], v2
	v_cvt_f64_f32_e32 v[42:43], v3
	global_load_dwordx4 v[0:3], v[48:49], off offset:16
	s_waitcnt vmcnt(0)
	v_fmac_f64_e32 v[28:29], v[96:97], v[0:1]
	v_fmac_f64_e32 v[26:27], v[102:103], v[0:1]
	v_fmac_f64_e32 v[24:25], v[108:109], v[0:1]
	v_fmac_f64_e32 v[16:17], v[114:115], v[0:1]
	global_load_dword v0, v[32:33], off offset:-256
	v_fmac_f64_e32 v[28:29], v[98:99], v[2:3]
	v_fmac_f64_e32 v[26:27], v[104:105], v[2:3]
	;; [unrolled: 1-line block ×4, first 2 shown]
	global_load_dwordx4 v[96:99], v[64:65], off offset:48
	s_waitcnt vmcnt(1)
	v_subrev_u32_e32 v0, s16, v0
	v_lshlrev_b32_e32 v0, 2, v0
	v_ashrrev_i32_e32 v1, 31, v0
	v_lshlrev_b64 v[0:1], 3, v[0:1]
	v_add_co_u32_e32 v86, vcc, s8, v0
	v_addc_co_u32_e32 v87, vcc, v13, v1, vcc
	global_load_dwordx4 v[0:3], v[86:87], off
	v_add_co_u32_e32 v100, vcc, s24, v30
	v_addc_co_u32_e32 v101, vcc, 0, v31, vcc
	s_waitcnt vmcnt(1)
	v_cvt_f64_f32_e32 v[64:65], v96
	v_cvt_f64_f32_e32 v[52:53], v97
	;; [unrolled: 1-line block ×4, first 2 shown]
	global_load_dwordx4 v[96:99], v[100:101], off offset:16
	s_waitcnt vmcnt(1)
	v_fmac_f64_e32 v[24:25], v[92:93], v[0:1]
	v_fmac_f64_e32 v[16:17], v[94:95], v[0:1]
	global_load_dwordx4 v[92:95], v[100:101], off
	v_fmac_f64_e32 v[28:29], v[118:119], v[0:1]
	v_fmac_f64_e32 v[26:27], v[120:121], v[0:1]
	v_fmac_f64_e32 v[28:29], v[88:89], v[2:3]
	v_fmac_f64_e32 v[26:27], v[90:91], v[2:3]
	v_fmac_f64_e32 v[24:25], v[82:83], v[2:3]
	v_fmac_f64_e32 v[16:17], v[84:85], v[2:3]
	s_waitcnt vmcnt(1)
	v_cvt_f64_f32_e32 v[90:91], v98
	v_cvt_f64_f32_e32 v[82:83], v99
	;; [unrolled: 1-line block ×4, first 2 shown]
	s_waitcnt vmcnt(0)
	v_cvt_f64_f32_e32 v[88:89], v92
	v_cvt_f64_f32_e32 v[84:85], v93
	;; [unrolled: 1-line block ×4, first 2 shown]
	global_load_dwordx4 v[92:95], v[100:101], off offset:32
	s_waitcnt vmcnt(0)
	v_cvt_f64_f32_e32 v[98:99], v92
	v_cvt_f64_f32_e32 v[104:105], v93
	;; [unrolled: 1-line block ×4, first 2 shown]
	global_load_dwordx4 v[92:95], v[86:87], off offset:16
	s_waitcnt vmcnt(0)
	v_fmac_f64_e32 v[24:25], v[78:79], v[92:93]
	v_fmac_f64_e32 v[24:25], v[66:67], v[94:95]
	v_lshlrev_b32_e32 v66, 2, v15
	global_load_dword v15, v[32:33], off offset:256
	v_ashrrev_i32_e32 v67, 31, v66
	v_lshlrev_b64 v[66:67], 3, v[66:67]
	v_add_co_u32_e32 v78, vcc, s8, v66
	v_addc_co_u32_e32 v79, vcc, v13, v67, vcc
	v_fmac_f64_e32 v[16:17], v[80:81], v[92:93]
	v_fmac_f64_e32 v[16:17], v[68:69], v[94:95]
	;; [unrolled: 1-line block ×6, first 2 shown]
	global_load_dwordx4 v[70:73], v[100:101], off offset:48
	s_waitcnt vmcnt(1)
	v_subrev_u32_e32 v15, s16, v15
	v_lshlrev_b32_e32 v66, 2, v15
	v_ashrrev_i32_e32 v67, 31, v66
	v_lshlrev_b64 v[66:67], 3, v[66:67]
	v_add_co_u32_e32 v80, vcc, s8, v66
	v_addc_co_u32_e32 v81, vcc, v13, v67, vcc
	global_load_dwordx4 v[66:69], v[78:79], off
	v_add_co_u32_e32 v6, vcc, 0x100, v6
	s_mov_b64 s[2:3], vcc
	v_add_co_u32_e32 v32, vcc, 0x400, v32
	s_waitcnt vmcnt(1)
	v_cvt_f64_f32_e32 v[74:75], v70
	v_cvt_f64_f32_e32 v[70:71], v71
	s_mov_b64 s[6:7], vcc
	v_cvt_f64_f32_e32 v[76:77], v72
	v_addc_co_u32_e64 v7, vcc, 0, v7, s[2:3]
	v_addc_co_u32_e64 v33, s[2:3], 0, v33, s[6:7]
	v_cvt_f64_f32_e32 v[72:73], v73
	v_add_co_u32_e32 v30, vcc, 0x4000, v30
	v_cmp_ge_i64_e64 s[2:3], v[6:7], v[20:21]
	v_addc_co_u32_e32 v31, vcc, 0, v31, vcc
	s_or_b64 s[20:21], s[2:3], s[20:21]
	s_waitcnt vmcnt(0)
	v_fmac_f64_e32 v[28:29], v[58:59], v[66:67]
	v_fmac_f64_e32 v[26:27], v[60:61], v[66:67]
	global_load_dwordx4 v[58:61], v[78:79], off offset:16
	v_fmac_f64_e32 v[24:25], v[62:63], v[66:67]
	v_fmac_f64_e32 v[16:17], v[64:65], v[66:67]
	global_load_dwordx4 v[62:65], v[80:81], off
	v_fmac_f64_e32 v[28:29], v[56:57], v[68:69]
	v_fmac_f64_e32 v[26:27], v[54:55], v[68:69]
	global_load_dwordx4 v[54:57], v[80:81], off offset:16
	v_fmac_f64_e32 v[24:25], v[46:47], v[68:69]
	v_fmac_f64_e32 v[16:17], v[52:53], v[68:69]
	s_waitcnt vmcnt(2)
	v_fmac_f64_e32 v[28:29], v[36:37], v[58:59]
	v_fmac_f64_e32 v[26:27], v[40:41], v[58:59]
	v_fmac_f64_e32 v[24:25], v[44:45], v[58:59]
	v_fmac_f64_e32 v[16:17], v[50:51], v[58:59]
	v_fmac_f64_e32 v[28:29], v[34:35], v[60:61]
	v_fmac_f64_e32 v[26:27], v[38:39], v[60:61]
	v_fmac_f64_e32 v[24:25], v[42:43], v[60:61]
	v_fmac_f64_e32 v[16:17], v[48:49], v[60:61]
	s_waitcnt vmcnt(1)
	v_fmac_f64_e32 v[28:29], v[88:89], v[62:63]
	v_fmac_f64_e32 v[26:27], v[102:103], v[62:63]
	v_fmac_f64_e32 v[24:25], v[98:99], v[62:63]
	v_fmac_f64_e32 v[16:17], v[74:75], v[62:63]
	v_fmac_f64_e32 v[28:29], v[84:85], v[64:65]
	v_fmac_f64_e32 v[26:27], v[96:97], v[64:65]
	;; [unrolled: 9-line block ×3, first 2 shown]
	v_fmac_f64_e32 v[24:25], v[108:109], v[56:57]
	v_fmac_f64_e32 v[16:17], v[72:73], v[56:57]
	s_andn2_b64 exec, exec, s[20:21]
	s_cbranch_execnz .LBB159_21
; %bb.22:
	s_or_b64 exec, exec, s[20:21]
.LBB159_23:
	s_or_b64 exec, exec, s[18:19]
.LBB159_24:
	s_or_b64 exec, exec, s[14:15]
	s_andn2_b64 vcc, exec, s[10:11]
	s_cbranch_vccz .LBB159_26
	s_branch .LBB159_37
.LBB159_25:
                                        ; implicit-def: $vgpr16_vgpr17
                                        ; implicit-def: $vgpr24_vgpr25
                                        ; implicit-def: $vgpr26_vgpr27
                                        ; implicit-def: $vgpr28_vgpr29
.LBB159_26:
	v_pk_mov_b32 v[16:17], 0, 0
	v_pk_mov_b32 v[24:25], v[16:17], v[16:17] op_sel:[0,1]
	v_pk_mov_b32 v[26:27], v[16:17], v[16:17] op_sel:[0,1]
	;; [unrolled: 1-line block ×3, first 2 shown]
	s_and_saveexec_b64 s[2:3], s[0:1]
	s_cbranch_execz .LBB159_36
; %bb.27:
	v_or_b32_e32 v0, 64, v14
	v_mov_b32_e32 v1, s17
	v_subrev_co_u32_e32 v0, vcc, s16, v0
	v_subb_co_u32_e32 v1, vcc, 0, v1, vcc
	v_add_co_u32_e32 v0, vcc, v0, v4
	v_addc_co_u32_e32 v1, vcc, v1, v5, vcc
	v_cmp_gt_i64_e32 vcc, v[0:1], v[20:21]
	v_cndmask_b32_e32 v1, v21, v1, vcc
	v_cndmask_b32_e32 v0, v20, v0, vcc
	v_not_b32_e32 v2, v5
	v_not_b32_e32 v3, v4
	v_mov_b32_e32 v4, s17
	v_sub_co_u32_e32 v5, vcc, s16, v14
	v_subbrev_co_u32_e32 v4, vcc, 0, v4, vcc
	v_add_co_u32_e32 v3, vcc, v5, v3
	v_addc_co_u32_e32 v2, vcc, v4, v2, vcc
	v_add_co_u32_e32 v0, vcc, v3, v0
	v_addc_co_u32_e32 v1, vcc, v2, v1, vcc
	v_lshrrev_b32_e32 v2, 6, v0
	v_add_u32_e32 v2, 1, v2
	v_and_b32_e32 v2, 3, v2
	v_pk_mov_b32 v[28:29], 0, 0
	v_cmp_ne_u32_e32 vcc, 0, v2
	s_mov_b64 s[10:11], 0
	v_pk_mov_b32 v[26:27], v[28:29], v[28:29] op_sel:[0,1]
	v_pk_mov_b32 v[24:25], v[28:29], v[28:29] op_sel:[0,1]
	;; [unrolled: 1-line block ×3, first 2 shown]
	s_and_saveexec_b64 s[6:7], vcc
	s_cbranch_execz .LBB159_31
; %bb.28:
	v_lshlrev_b64 v[4:5], 2, v[18:19]
	v_mov_b32_e32 v6, s13
	v_add_co_u32_e32 v4, vcc, s12, v4
	v_pk_mov_b32 v[16:17], 0, 0
	v_mov_b32_e32 v3, 0
	v_addc_co_u32_e32 v5, vcc, v6, v5, vcc
	v_lshlrev_b32_e32 v2, 4, v2
	s_movk_i32 s14, 0x1000
	s_waitcnt lgkmcnt(0)
	v_mov_b32_e32 v6, s9
	v_pk_mov_b32 v[24:25], v[16:17], v[16:17] op_sel:[0,1]
	v_pk_mov_b32 v[26:27], v[16:17], v[16:17] op_sel:[0,1]
	;; [unrolled: 1-line block ×3, first 2 shown]
.LBB159_29:                             ; =>This Inner Loop Header: Depth=1
	global_load_dword v7, v[4:5], off
	global_load_dwordx4 v[30:33], v[22:23], off offset:16
	global_load_dwordx4 v[34:37], v[22:23], off
	global_load_dwordx4 v[38:41], v[22:23], off offset:32
	v_add_co_u32_e64 v18, s[0:1], 64, v18
	v_addc_co_u32_e64 v19, s[0:1], 0, v19, s[0:1]
	v_add_co_u32_e64 v2, s[0:1], -16, v2
	v_addc_co_u32_e64 v3, s[0:1], -1, v3, s[0:1]
	v_cmp_eq_u64_e64 s[0:1], 0, v[2:3]
	s_or_b64 s[10:11], s[0:1], s[10:11]
	s_waitcnt vmcnt(3)
	v_subrev_u32_e32 v7, s16, v7
	v_lshlrev_b32_e32 v42, 2, v7
	v_ashrrev_i32_e32 v43, 31, v42
	v_lshlrev_b64 v[42:43], 3, v[42:43]
	v_add_co_u32_e32 v54, vcc, s8, v42
	v_addc_co_u32_e32 v55, vcc, v6, v43, vcc
	global_load_dwordx4 v[42:45], v[54:55], off offset:16
	global_load_dwordx4 v[46:49], v[54:55], off
	global_load_dwordx4 v[50:53], v[22:23], off offset:48
	s_waitcnt vmcnt(4)
	v_cvt_f64_f32_e32 v[54:55], v34
	v_cvt_f64_f32_e32 v[34:35], v35
	;; [unrolled: 1-line block ×4, first 2 shown]
	v_add_co_u32_e32 v22, vcc, s14, v22
	v_cvt_f64_f32_e32 v[58:59], v30
	v_cvt_f64_f32_e32 v[30:31], v31
	;; [unrolled: 1-line block ×4, first 2 shown]
	v_addc_co_u32_e32 v23, vcc, 0, v23, vcc
	s_waitcnt vmcnt(3)
	v_cvt_f64_f32_e32 v[62:63], v38
	v_cvt_f64_f32_e32 v[38:39], v39
	;; [unrolled: 1-line block ×4, first 2 shown]
	v_add_co_u32_e32 v4, vcc, 0x100, v4
	v_addc_co_u32_e32 v5, vcc, 0, v5, vcc
	s_waitcnt vmcnt(1)
	v_fmac_f64_e32 v[28:29], v[54:55], v[46:47]
	v_fmac_f64_e32 v[26:27], v[34:35], v[46:47]
	;; [unrolled: 1-line block ×8, first 2 shown]
	s_waitcnt vmcnt(0)
	v_cvt_f64_f32_e32 v[66:67], v50
	v_cvt_f64_f32_e32 v[50:51], v51
	;; [unrolled: 1-line block ×4, first 2 shown]
	v_fmac_f64_e32 v[28:29], v[62:63], v[42:43]
	v_fmac_f64_e32 v[26:27], v[38:39], v[42:43]
	;; [unrolled: 1-line block ×8, first 2 shown]
	s_andn2_b64 exec, exec, s[10:11]
	s_cbranch_execnz .LBB159_29
; %bb.30:
	s_or_b64 exec, exec, s[10:11]
.LBB159_31:
	s_or_b64 exec, exec, s[6:7]
	s_mov_b64 s[0:1], 0xbf
	v_cmp_lt_u64_e32 vcc, s[0:1], v[0:1]
	s_and_saveexec_b64 s[6:7], vcc
	s_cbranch_execz .LBB159_35
; %bb.32:
	v_lshlrev_b64 v[0:1], 2, v[18:19]
	v_mov_b32_e32 v2, s13
	v_add_co_u32_e32 v0, vcc, s12, v0
	v_addc_co_u32_e32 v1, vcc, v1, v2, vcc
	v_add_co_u32_e32 v30, vcc, 0x200, v0
	v_addc_co_u32_e32 v31, vcc, 0, v1, vcc
	s_mov_b64 s[10:11], 0
	s_waitcnt lgkmcnt(0)
	v_mov_b32_e32 v13, s9
	s_movk_i32 s9, 0x1000
	s_movk_i32 s12, 0x2000
	;; [unrolled: 1-line block ×3, first 2 shown]
.LBB159_33:                             ; =>This Inner Loop Header: Depth=1
	global_load_dwordx4 v[4:7], v[22:23], off
	global_load_dwordx4 v[32:35], v[22:23], off offset:16
	global_load_dwordx4 v[36:39], v[22:23], off offset:32
	global_load_dwordx4 v[40:43], v[22:23], off offset:48
	v_add_co_u32_e32 v64, vcc, s9, v22
	v_addc_co_u32_e32 v65, vcc, 0, v23, vcc
	v_add_co_u32_e32 v72, vcc, s12, v22
	v_addc_co_u32_e32 v73, vcc, 0, v23, vcc
	global_load_dwordx4 v[44:47], v[72:73], off offset:-4096
	global_load_dwordx4 v[48:51], v[64:65], off offset:16
	global_load_dwordx4 v[52:55], v[72:73], off
	global_load_dwordx4 v[0:3], v[72:73], off offset:48
	s_waitcnt vmcnt(7)
	v_cvt_f64_f32_e32 v[56:57], v4
	global_load_dword v4, v[30:31], off offset:-512
	global_load_dword v79, v[30:31], off offset:-256
	global_load_dword v78, v[30:31], off
	global_load_dword v15, v[30:31], off offset:256
	v_cvt_f64_f32_e32 v[58:59], v5
	v_cvt_f64_f32_e32 v[60:61], v6
	v_cvt_f64_f32_e32 v[62:63], v7
	s_waitcnt vmcnt(10)
	v_cvt_f64_f32_e32 v[66:67], v32
	v_cvt_f64_f32_e32 v[32:33], v33
	v_cvt_f64_f32_e32 v[68:69], v34
	v_cvt_f64_f32_e32 v[70:71], v35
	s_waitcnt vmcnt(9)
	v_cvt_f64_f32_e32 v[80:81], v36
	s_waitcnt vmcnt(6)
	v_cvt_f64_f32_e32 v[100:101], v48
	v_cvt_f64_f32_e32 v[102:103], v49
	;; [unrolled: 1-line block ×15, first 2 shown]
	s_waitcnt vmcnt(5)
	v_cvt_f64_f32_e32 v[40:41], v52
	v_cvt_f64_f32_e32 v[42:43], v53
	;; [unrolled: 1-line block ×4, first 2 shown]
	s_waitcnt vmcnt(3)
	v_subrev_u32_e32 v4, s16, v4
	v_lshlrev_b32_e32 v4, 2, v4
	v_ashrrev_i32_e32 v5, 31, v4
	v_lshlrev_b64 v[4:5], 3, v[4:5]
	v_add_co_u32_e32 v48, vcc, s8, v4
	v_addc_co_u32_e32 v49, vcc, v13, v5, vcc
	global_load_dwordx4 v[4:7], v[48:49], off
	s_waitcnt vmcnt(1)
	v_subrev_u32_e32 v15, s16, v15
	s_waitcnt vmcnt(0)
	v_fmac_f64_e32 v[28:29], v[56:57], v[4:5]
	v_fmac_f64_e32 v[26:27], v[58:59], v[4:5]
	v_fmac_f64_e32 v[24:25], v[60:61], v[4:5]
	v_fmac_f64_e32 v[16:17], v[62:63], v[4:5]
	v_fmac_f64_e32 v[28:29], v[66:67], v[6:7]
	v_fmac_f64_e32 v[26:27], v[32:33], v[6:7]
	v_fmac_f64_e32 v[24:25], v[68:69], v[6:7]
	global_load_dwordx4 v[32:35], v[64:65], off offset:32
	v_fmac_f64_e32 v[16:17], v[70:71], v[6:7]
	global_load_dwordx4 v[4:7], v[64:65], off offset:48
	s_waitcnt vmcnt(1)
	v_cvt_f64_f32_e32 v[56:57], v32
	v_cvt_f64_f32_e32 v[58:59], v33
	s_waitcnt vmcnt(0)
	v_cvt_f64_f32_e32 v[66:67], v4
	v_cvt_f64_f32_e32 v[68:69], v5
	v_cvt_f64_f32_e32 v[70:71], v6
	v_cvt_f64_f32_e32 v[64:65], v7
	global_load_dwordx4 v[4:7], v[48:49], off offset:16
	v_cvt_f64_f32_e32 v[60:61], v34
	v_cvt_f64_f32_e32 v[62:63], v35
	global_load_dwordx4 v[32:35], v[72:73], off offset:16
	s_waitcnt vmcnt(1)
	v_fmac_f64_e32 v[28:29], v[80:81], v[4:5]
	v_fmac_f64_e32 v[26:27], v[36:37], v[4:5]
	;; [unrolled: 1-line block ×8, first 2 shown]
	global_load_dwordx4 v[4:7], v[72:73], off offset:32
	s_waitcnt vmcnt(1)
	v_cvt_f64_f32_e32 v[48:49], v32
	v_cvt_f64_f32_e32 v[50:51], v33
	v_cvt_f64_f32_e32 v[52:53], v34
	v_cvt_f64_f32_e32 v[54:55], v35
	s_waitcnt vmcnt(0)
	v_cvt_f64_f32_e32 v[38:39], v4
	v_subrev_u32_e32 v4, s16, v79
	v_lshlrev_b32_e32 v4, 2, v4
	v_cvt_f64_f32_e32 v[32:33], v5
	v_ashrrev_i32_e32 v5, 31, v4
	v_lshlrev_b64 v[4:5], 3, v[4:5]
	v_add_co_u32_e32 v72, vcc, s8, v4
	v_addc_co_u32_e32 v73, vcc, v13, v5, vcc
	v_cvt_f64_f32_e32 v[34:35], v6
	v_cvt_f64_f32_e32 v[36:37], v7
	global_load_dwordx4 v[4:7], v[72:73], off
	v_add_co_u32_e32 v84, vcc, s13, v22
	v_addc_co_u32_e32 v85, vcc, 0, v23, vcc
	s_waitcnt vmcnt(0)
	v_fmac_f64_e32 v[24:25], v[96:97], v[4:5]
	v_fmac_f64_e32 v[16:17], v[98:99], v[4:5]
	;; [unrolled: 1-line block ×4, first 2 shown]
	global_load_dwordx4 v[74:77], v[84:85], off
	global_load_dwordx4 v[80:83], v[84:85], off offset:16
	v_fmac_f64_e32 v[28:29], v[92:93], v[4:5]
	v_fmac_f64_e32 v[26:27], v[94:95], v[4:5]
	;; [unrolled: 1-line block ×4, first 2 shown]
	v_cvt_f64_f32_e32 v[4:5], v0
	v_cvt_f64_f32_e32 v[0:1], v1
	;; [unrolled: 1-line block ×4, first 2 shown]
	s_waitcnt vmcnt(1)
	v_cvt_f64_f32_e32 v[86:87], v74
	v_cvt_f64_f32_e32 v[88:89], v75
	global_load_dwordx4 v[72:75], v[72:73], off offset:16
	v_cvt_f64_f32_e32 v[90:91], v76
	v_cvt_f64_f32_e32 v[76:77], v77
	s_waitcnt vmcnt(0)
	v_fmac_f64_e32 v[28:29], v[56:57], v[72:73]
	v_fmac_f64_e32 v[26:27], v[58:59], v[72:73]
	global_load_dwordx4 v[56:59], v[84:85], off offset:32
	v_fmac_f64_e32 v[24:25], v[60:61], v[72:73]
	v_fmac_f64_e32 v[16:17], v[62:63], v[72:73]
	;; [unrolled: 1-line block ×6, first 2 shown]
	v_cvt_f64_f32_e32 v[60:61], v80
	v_cvt_f64_f32_e32 v[62:63], v81
	;; [unrolled: 1-line block ×4, first 2 shown]
	s_waitcnt vmcnt(0)
	v_cvt_f64_f32_e32 v[68:69], v56
	v_cvt_f64_f32_e32 v[70:71], v57
	;; [unrolled: 1-line block ×4, first 2 shown]
	global_load_dwordx4 v[56:59], v[84:85], off offset:48
	s_waitcnt vmcnt(0)
	v_cvt_f64_f32_e32 v[80:81], v56
	v_subrev_u32_e32 v56, s16, v78
	v_lshlrev_b32_e32 v56, 2, v56
	v_cvt_f64_f32_e32 v[82:83], v57
	v_ashrrev_i32_e32 v57, 31, v56
	v_lshlrev_b64 v[56:57], 3, v[56:57]
	v_add_co_u32_e32 v78, vcc, s8, v56
	v_lshlrev_b32_e32 v56, 2, v15
	v_addc_co_u32_e32 v79, vcc, v13, v57, vcc
	v_ashrrev_i32_e32 v57, 31, v56
	v_lshlrev_b64 v[56:57], 3, v[56:57]
	v_add_co_u32_e32 v94, vcc, s8, v56
	v_cvt_f64_f32_e32 v[84:85], v58
	v_cvt_f64_f32_e32 v[92:93], v59
	v_addc_co_u32_e32 v95, vcc, v13, v57, vcc
	global_load_dwordx4 v[56:59], v[78:79], off
	v_add_co_u32_e32 v18, vcc, 0x100, v18
	v_addc_co_u32_e32 v19, vcc, 0, v19, vcc
	v_add_co_u32_e32 v30, vcc, 0x400, v30
	v_addc_co_u32_e32 v31, vcc, 0, v31, vcc
	v_cmp_ge_i64_e64 s[0:1], v[18:19], v[20:21]
	v_add_co_u32_e32 v22, vcc, 0x4000, v22
	v_addc_co_u32_e32 v23, vcc, 0, v23, vcc
	s_or_b64 s[10:11], s[0:1], s[10:11]
	s_waitcnt vmcnt(0)
	v_fmac_f64_e32 v[28:29], v[40:41], v[56:57]
	v_fmac_f64_e32 v[26:27], v[42:43], v[56:57]
	;; [unrolled: 1-line block ×4, first 2 shown]
	global_load_dwordx4 v[40:43], v[78:79], off offset:16
	global_load_dwordx4 v[44:47], v[94:95], off
	v_fmac_f64_e32 v[28:29], v[48:49], v[58:59]
	v_fmac_f64_e32 v[26:27], v[50:51], v[58:59]
	global_load_dwordx4 v[48:51], v[94:95], off offset:16
	v_fmac_f64_e32 v[24:25], v[52:53], v[58:59]
	v_fmac_f64_e32 v[16:17], v[54:55], v[58:59]
	s_waitcnt vmcnt(2)
	v_fmac_f64_e32 v[28:29], v[38:39], v[40:41]
	v_fmac_f64_e32 v[26:27], v[32:33], v[40:41]
	v_fmac_f64_e32 v[24:25], v[34:35], v[40:41]
	v_fmac_f64_e32 v[16:17], v[36:37], v[40:41]
	v_fmac_f64_e32 v[28:29], v[4:5], v[42:43]
	v_fmac_f64_e32 v[26:27], v[0:1], v[42:43]
	v_fmac_f64_e32 v[24:25], v[6:7], v[42:43]
	v_fmac_f64_e32 v[16:17], v[2:3], v[42:43]
	s_waitcnt vmcnt(1)
	v_fmac_f64_e32 v[28:29], v[86:87], v[44:45]
	v_fmac_f64_e32 v[26:27], v[88:89], v[44:45]
	v_fmac_f64_e32 v[24:25], v[90:91], v[44:45]
	v_fmac_f64_e32 v[16:17], v[76:77], v[44:45]
	v_fmac_f64_e32 v[28:29], v[60:61], v[46:47]
	v_fmac_f64_e32 v[26:27], v[62:63], v[46:47]
	;; [unrolled: 9-line block ×3, first 2 shown]
	v_fmac_f64_e32 v[24:25], v[84:85], v[50:51]
	v_fmac_f64_e32 v[16:17], v[92:93], v[50:51]
	s_andn2_b64 exec, exec, s[10:11]
	s_cbranch_execnz .LBB159_33
; %bb.34:
	s_or_b64 exec, exec, s[10:11]
.LBB159_35:
	s_or_b64 exec, exec, s[6:7]
.LBB159_36:
	s_or_b64 exec, exec, s[2:3]
.LBB159_37:
	v_mov_b32_dpp v0, v28 row_shr:1 row_mask:0xf bank_mask:0xf
	v_mov_b32_dpp v1, v29 row_shr:1 row_mask:0xf bank_mask:0xf
	v_mov_b32_dpp v4, v26 row_shr:1 row_mask:0xf bank_mask:0xf
	v_mov_b32_dpp v5, v27 row_shr:1 row_mask:0xf bank_mask:0xf
	v_mov_b32_dpp v18, v24 row_shr:1 row_mask:0xf bank_mask:0xf
	v_mov_b32_dpp v19, v25 row_shr:1 row_mask:0xf bank_mask:0xf
	v_mov_b32_dpp v22, v16 row_shr:1 row_mask:0xf bank_mask:0xf
	v_mov_b32_dpp v23, v17 row_shr:1 row_mask:0xf bank_mask:0xf
	v_add_f64 v[0:1], v[28:29], v[0:1]
	v_add_f64 v[4:5], v[26:27], v[4:5]
	v_add_f64 v[18:19], v[24:25], v[18:19]
	v_add_f64 v[16:17], v[16:17], v[22:23]
	v_mov_b32_dpp v2, v0 row_shr:2 row_mask:0xf bank_mask:0xf
	v_mov_b32_dpp v3, v1 row_shr:2 row_mask:0xf bank_mask:0xf
	v_mov_b32_dpp v6, v4 row_shr:2 row_mask:0xf bank_mask:0xf
	v_mov_b32_dpp v7, v5 row_shr:2 row_mask:0xf bank_mask:0xf
	v_mov_b32_dpp v20, v18 row_shr:2 row_mask:0xf bank_mask:0xf
	v_mov_b32_dpp v21, v19 row_shr:2 row_mask:0xf bank_mask:0xf
	v_mov_b32_dpp v22, v16 row_shr:2 row_mask:0xf bank_mask:0xf
	v_mov_b32_dpp v23, v17 row_shr:2 row_mask:0xf bank_mask:0xf
	v_add_f64 v[0:1], v[0:1], v[2:3]
	v_add_f64 v[4:5], v[4:5], v[6:7]
	v_add_f64 v[18:19], v[18:19], v[20:21]
	v_add_f64 v[16:17], v[16:17], v[22:23]
	;; [unrolled: 12-line block ×4, first 2 shown]
	v_mov_b32_dpp v2, v0 row_bcast:15 row_mask:0xa bank_mask:0xf
	v_mov_b32_dpp v3, v1 row_bcast:15 row_mask:0xa bank_mask:0xf
	;; [unrolled: 1-line block ×8, first 2 shown]
	v_add_f64 v[0:1], v[0:1], v[2:3]
	v_add_f64 v[4:5], v[4:5], v[6:7]
	;; [unrolled: 1-line block ×4, first 2 shown]
	v_mov_b32_dpp v2, v0 row_bcast:31 row_mask:0xc bank_mask:0xf
	v_mov_b32_dpp v3, v1 row_bcast:31 row_mask:0xc bank_mask:0xf
	v_mov_b32_dpp v6, v4 row_bcast:31 row_mask:0xc bank_mask:0xf
	v_mov_b32_dpp v7, v5 row_bcast:31 row_mask:0xc bank_mask:0xf
	v_mov_b32_dpp v20, v18 row_bcast:31 row_mask:0xc bank_mask:0xf
	v_mov_b32_dpp v21, v19 row_bcast:31 row_mask:0xc bank_mask:0xf
	v_mov_b32_dpp v22, v16 row_bcast:31 row_mask:0xc bank_mask:0xf
	v_mov_b32_dpp v23, v17 row_bcast:31 row_mask:0xc bank_mask:0xf
	v_cmp_eq_u32_e32 vcc, 63, v14
	s_and_b64 exec, exec, vcc
	s_cbranch_execz .LBB159_10
; %bb.38:
	s_load_dwordx2 s[0:1], s[4:5], 0x50
	v_add_f64 v[0:1], v[0:1], v[2:3]
	v_add_f64 v[2:3], v[4:5], v[6:7]
	;; [unrolled: 1-line block ×4, first 2 shown]
	v_cmp_eq_f64_e32 vcc, 0, v[8:9]
	v_mul_f64 v[4:5], v[10:11], v[0:1]
	v_mul_f64 v[6:7], v[10:11], v[2:3]
	;; [unrolled: 1-line block ×4, first 2 shown]
	v_lshlrev_b32_e32 v10, 2, v12
	s_and_saveexec_b64 s[2:3], vcc
	s_xor_b64 s[2:3], exec, s[2:3]
	s_cbranch_execz .LBB159_40
; %bb.39:
	v_ashrrev_i32_e32 v11, 31, v10
	v_lshlrev_b64 v[8:9], 3, v[10:11]
	s_waitcnt lgkmcnt(0)
	v_mov_b32_e32 v10, s1
	v_add_co_u32_e32 v8, vcc, s0, v8
	v_addc_co_u32_e32 v9, vcc, v10, v9, vcc
	global_store_dwordx4 v[8:9], v[4:7], off
	global_store_dwordx4 v[8:9], v[0:3], off offset:16
                                        ; implicit-def: $vgpr10
                                        ; implicit-def: $vgpr8_vgpr9
                                        ; implicit-def: $vgpr4_vgpr5
                                        ; implicit-def: $vgpr0_vgpr1
.LBB159_40:
	s_andn2_saveexec_b64 s[2:3], s[2:3]
	s_cbranch_execz .LBB159_10
; %bb.41:
	v_ashrrev_i32_e32 v11, 31, v10
	v_lshlrev_b64 v[10:11], 3, v[10:11]
	s_waitcnt lgkmcnt(0)
	v_mov_b32_e32 v12, s1
	v_add_co_u32_e32 v18, vcc, s0, v10
	v_addc_co_u32_e32 v19, vcc, v12, v11, vcc
	global_load_dwordx4 v[10:13], v[18:19], off
	global_load_dwordx4 v[14:17], v[18:19], off offset:16
	s_waitcnt vmcnt(1)
	v_fmac_f64_e32 v[4:5], v[8:9], v[10:11]
	v_fmac_f64_e32 v[6:7], v[8:9], v[12:13]
	s_waitcnt vmcnt(0)
	v_fmac_f64_e32 v[0:1], v[8:9], v[14:15]
	v_fmac_f64_e32 v[2:3], v[8:9], v[16:17]
	global_store_dwordx4 v[18:19], v[4:7], off
	global_store_dwordx4 v[18:19], v[0:3], off offset:16
	s_endpgm
	.section	.rodata,"a",@progbits
	.p2align	6, 0x0
	.amdhsa_kernel _ZN9rocsparseL18bsrxmvn_4x4_kernelILj128ELj64EdlifddEEvT3_20rocsparse_direction_NS_24const_host_device_scalarIT1_EES1_PKS1_PKT2_SA_S7_PKT4_PKT5_S5_PT6_21rocsparse_index_base_b
		.amdhsa_group_segment_fixed_size 0
		.amdhsa_private_segment_fixed_size 0
		.amdhsa_kernarg_size 96
		.amdhsa_user_sgpr_count 6
		.amdhsa_user_sgpr_private_segment_buffer 1
		.amdhsa_user_sgpr_dispatch_ptr 0
		.amdhsa_user_sgpr_queue_ptr 0
		.amdhsa_user_sgpr_kernarg_segment_ptr 1
		.amdhsa_user_sgpr_dispatch_id 0
		.amdhsa_user_sgpr_flat_scratch_init 0
		.amdhsa_user_sgpr_kernarg_preload_length 0
		.amdhsa_user_sgpr_kernarg_preload_offset 0
		.amdhsa_user_sgpr_private_segment_size 0
		.amdhsa_uses_dynamic_stack 0
		.amdhsa_system_sgpr_private_segment_wavefront_offset 0
		.amdhsa_system_sgpr_workgroup_id_x 1
		.amdhsa_system_sgpr_workgroup_id_y 0
		.amdhsa_system_sgpr_workgroup_id_z 0
		.amdhsa_system_sgpr_workgroup_info 0
		.amdhsa_system_vgpr_workitem_id 0
		.amdhsa_next_free_vgpr 122
		.amdhsa_next_free_sgpr 25
		.amdhsa_accum_offset 124
		.amdhsa_reserve_vcc 1
		.amdhsa_reserve_flat_scratch 0
		.amdhsa_float_round_mode_32 0
		.amdhsa_float_round_mode_16_64 0
		.amdhsa_float_denorm_mode_32 3
		.amdhsa_float_denorm_mode_16_64 3
		.amdhsa_dx10_clamp 1
		.amdhsa_ieee_mode 1
		.amdhsa_fp16_overflow 0
		.amdhsa_tg_split 0
		.amdhsa_exception_fp_ieee_invalid_op 0
		.amdhsa_exception_fp_denorm_src 0
		.amdhsa_exception_fp_ieee_div_zero 0
		.amdhsa_exception_fp_ieee_overflow 0
		.amdhsa_exception_fp_ieee_underflow 0
		.amdhsa_exception_fp_ieee_inexact 0
		.amdhsa_exception_int_div_zero 0
	.end_amdhsa_kernel
	.section	.text._ZN9rocsparseL18bsrxmvn_4x4_kernelILj128ELj64EdlifddEEvT3_20rocsparse_direction_NS_24const_host_device_scalarIT1_EES1_PKS1_PKT2_SA_S7_PKT4_PKT5_S5_PT6_21rocsparse_index_base_b,"axG",@progbits,_ZN9rocsparseL18bsrxmvn_4x4_kernelILj128ELj64EdlifddEEvT3_20rocsparse_direction_NS_24const_host_device_scalarIT1_EES1_PKS1_PKT2_SA_S7_PKT4_PKT5_S5_PT6_21rocsparse_index_base_b,comdat
.Lfunc_end159:
	.size	_ZN9rocsparseL18bsrxmvn_4x4_kernelILj128ELj64EdlifddEEvT3_20rocsparse_direction_NS_24const_host_device_scalarIT1_EES1_PKS1_PKT2_SA_S7_PKT4_PKT5_S5_PT6_21rocsparse_index_base_b, .Lfunc_end159-_ZN9rocsparseL18bsrxmvn_4x4_kernelILj128ELj64EdlifddEEvT3_20rocsparse_direction_NS_24const_host_device_scalarIT1_EES1_PKS1_PKT2_SA_S7_PKT4_PKT5_S5_PT6_21rocsparse_index_base_b
                                        ; -- End function
	.section	.AMDGPU.csdata,"",@progbits
; Kernel info:
; codeLenInByte = 4680
; NumSgprs: 29
; NumVgprs: 122
; NumAgprs: 0
; TotalNumVgprs: 122
; ScratchSize: 0
; MemoryBound: 0
; FloatMode: 240
; IeeeMode: 1
; LDSByteSize: 0 bytes/workgroup (compile time only)
; SGPRBlocks: 3
; VGPRBlocks: 15
; NumSGPRsForWavesPerEU: 29
; NumVGPRsForWavesPerEU: 122
; AccumOffset: 124
; Occupancy: 4
; WaveLimiterHint : 1
; COMPUTE_PGM_RSRC2:SCRATCH_EN: 0
; COMPUTE_PGM_RSRC2:USER_SGPR: 6
; COMPUTE_PGM_RSRC2:TRAP_HANDLER: 0
; COMPUTE_PGM_RSRC2:TGID_X_EN: 1
; COMPUTE_PGM_RSRC2:TGID_Y_EN: 0
; COMPUTE_PGM_RSRC2:TGID_Z_EN: 0
; COMPUTE_PGM_RSRC2:TIDIG_COMP_CNT: 0
; COMPUTE_PGM_RSRC3_GFX90A:ACCUM_OFFSET: 30
; COMPUTE_PGM_RSRC3_GFX90A:TG_SPLIT: 0
	.section	.text._ZN9rocsparseL18bsrxmvn_4x4_kernelILj128ELj4EdllfddEEvT3_20rocsparse_direction_NS_24const_host_device_scalarIT1_EES1_PKS1_PKT2_SA_S7_PKT4_PKT5_S5_PT6_21rocsparse_index_base_b,"axG",@progbits,_ZN9rocsparseL18bsrxmvn_4x4_kernelILj128ELj4EdllfddEEvT3_20rocsparse_direction_NS_24const_host_device_scalarIT1_EES1_PKS1_PKT2_SA_S7_PKT4_PKT5_S5_PT6_21rocsparse_index_base_b,comdat
	.globl	_ZN9rocsparseL18bsrxmvn_4x4_kernelILj128ELj4EdllfddEEvT3_20rocsparse_direction_NS_24const_host_device_scalarIT1_EES1_PKS1_PKT2_SA_S7_PKT4_PKT5_S5_PT6_21rocsparse_index_base_b ; -- Begin function _ZN9rocsparseL18bsrxmvn_4x4_kernelILj128ELj4EdllfddEEvT3_20rocsparse_direction_NS_24const_host_device_scalarIT1_EES1_PKS1_PKT2_SA_S7_PKT4_PKT5_S5_PT6_21rocsparse_index_base_b
	.p2align	8
	.type	_ZN9rocsparseL18bsrxmvn_4x4_kernelILj128ELj4EdllfddEEvT3_20rocsparse_direction_NS_24const_host_device_scalarIT1_EES1_PKS1_PKT2_SA_S7_PKT4_PKT5_S5_PT6_21rocsparse_index_base_b,@function
_ZN9rocsparseL18bsrxmvn_4x4_kernelILj128ELj4EdllfddEEvT3_20rocsparse_direction_NS_24const_host_device_scalarIT1_EES1_PKS1_PKT2_SA_S7_PKT4_PKT5_S5_PT6_21rocsparse_index_base_b: ; @_ZN9rocsparseL18bsrxmvn_4x4_kernelILj128ELj4EdllfddEEvT3_20rocsparse_direction_NS_24const_host_device_scalarIT1_EES1_PKS1_PKT2_SA_S7_PKT4_PKT5_S5_PT6_21rocsparse_index_base_b
; %bb.0:
	s_load_dwordx2 s[16:17], s[4:5], 0x60
	s_load_dwordx4 s[0:3], s[4:5], 0x10
	s_load_dwordx2 s[8:9], s[4:5], 0x50
	s_waitcnt lgkmcnt(0)
	s_bitcmp1_b32 s17, 0
	s_cselect_b64 s[12:13], -1, 0
	s_xor_b64 s[10:11], s[12:13], -1
	s_and_b64 vcc, exec, s[12:13]
	v_pk_mov_b32 v[18:19], s[0:1], s[0:1] op_sel:[0,1]
	s_cbranch_vccnz .LBB160_2
; %bb.1:
	v_pk_mov_b32 v[2:3], s[0:1], s[0:1] op_sel:[0,1]
	flat_load_dwordx2 v[18:19], v[2:3]
.LBB160_2:
	s_andn2_b64 vcc, exec, s[10:11]
	v_pk_mov_b32 v[16:17], s[8:9], s[8:9] op_sel:[0,1]
	s_cbranch_vccnz .LBB160_4
; %bb.3:
	v_pk_mov_b32 v[2:3], s[8:9], s[8:9] op_sel:[0,1]
	flat_load_dwordx2 v[16:17], v[2:3]
.LBB160_4:
	s_waitcnt vmcnt(0) lgkmcnt(0)
	v_cmp_neq_f64_e32 vcc, 0, v[18:19]
	v_cmp_neq_f64_e64 s[0:1], 1.0, v[16:17]
	s_mov_b64 s[8:9], 0
	s_or_b64 s[0:1], vcc, s[0:1]
	s_and_saveexec_b64 s[10:11], s[0:1]
	s_cbranch_execz .LBB160_10
; %bb.5:
	s_load_dwordx2 s[10:11], s[4:5], 0x20
	v_lshrrev_b32_e32 v1, 2, v0
	v_lshl_or_b32 v2, s6, 5, v1
	v_mov_b32_e32 v3, 0
	s_mov_b64 s[0:1], 0
	s_waitcnt lgkmcnt(0)
	s_cmp_lg_u64 s[10:11], 0
	s_cbranch_scc0 .LBB160_11
; %bb.6:
	v_cmp_gt_i64_e32 vcc, s[2:3], v[2:3]
                                        ; implicit-def: $vgpr20_vgpr21
	s_and_saveexec_b64 s[2:3], vcc
	s_xor_b64 s[2:3], exec, s[2:3]
                                        ; implicit-def: $sgpr18_sgpr19
	s_cbranch_execz .LBB160_8
; %bb.7:
	v_lshlrev_b64 v[4:5], 3, v[2:3]
	v_mov_b32_e32 v1, s11
	v_add_co_u32_e32 v4, vcc, s10, v4
	v_addc_co_u32_e32 v5, vcc, v1, v5, vcc
	global_load_dwordx2 v[4:5], v[4:5], off
	s_mov_b64 s[0:1], exec
	s_mov_b32 s19, 0
	s_waitcnt vmcnt(0)
	v_subrev_co_u32_e32 v20, vcc, s16, v4
	v_subbrev_co_u32_e32 v21, vcc, 0, v5, vcc
.LBB160_8:
	s_or_b64 exec, exec, s[2:3]
	s_mov_b64 s[8:9], s[0:1]
.LBB160_9:
	s_and_b64 exec, exec, s[8:9]
	s_cbranch_execnz .LBB160_15
.LBB160_10:
	s_endpgm
.LBB160_11:
                                        ; implicit-def: $vgpr20_vgpr21
                                        ; implicit-def: $sgpr18_sgpr19
	s_cbranch_execz .LBB160_9
; %bb.12:
	s_load_dwordx2 s[0:1], s[4:5], 0x0
                                        ; implicit-def: $vgpr20_vgpr21
	s_waitcnt lgkmcnt(0)
	v_cmp_gt_i64_e32 vcc, s[0:1], v[2:3]
	s_and_saveexec_b64 s[0:1], vcc
                                        ; implicit-def: $sgpr18_sgpr19
; %bb.13:
	s_mov_b32 s19, 0
	s_or_b64 s[8:9], s[8:9], exec
	v_pk_mov_b32 v[20:21], v[2:3], v[2:3] op_sel:[0,1]
; %bb.14:
	s_or_b64 exec, exec, s[0:1]
	s_and_b64 exec, exec, s[8:9]
	s_cbranch_execz .LBB160_10
.LBB160_15:
	s_load_dwordx8 s[8:15], s[4:5], 0x28
	v_lshlrev_b64 v[4:5], 3, v[20:21]
	v_and_b32_e32 v22, 3, v0
	v_mov_b32_e32 v0, s19
	s_waitcnt lgkmcnt(0)
	v_mov_b32_e32 v1, s9
	v_add_co_u32_e32 v6, vcc, s8, v4
	v_addc_co_u32_e32 v7, vcc, v1, v5, vcc
	v_add_co_u32_e32 v1, vcc, 8, v6
	global_load_dwordx2 v[2:3], v[6:7], off
	v_addc_co_u32_e32 v6, vcc, 0, v7, vcc
	v_mov_b32_e32 v7, s11
	v_add_co_u32_e32 v4, vcc, s10, v4
	s_cmp_eq_u64 s[10:11], 0
	v_addc_co_u32_e32 v5, vcc, v7, v5, vcc
	s_cselect_b64 vcc, -1, 0
	v_cndmask_b32_e32 v5, v5, v6, vcc
	v_cndmask_b32_e32 v4, v4, v1, vcc
	global_load_dwordx2 v[4:5], v[4:5], off
	s_load_dword s0, s[4:5], 0x8
	s_load_dwordx2 s[6:7], s[4:5], 0x48
	v_mov_b32_e32 v6, s15
	s_waitcnt lgkmcnt(0)
	s_cmp_eq_u32 s0, 1
	s_waitcnt vmcnt(1)
	v_subrev_co_u32_e32 v1, vcc, s16, v2
	v_subb_co_u32_e32 v7, vcc, v3, v0, vcc
	v_add_co_u32_e32 v24, vcc, v1, v22
	v_addc_co_u32_e32 v25, vcc, 0, v7, vcc
	s_waitcnt vmcnt(0)
	v_subrev_co_u32_e32 v26, vcc, s16, v4
	v_subb_co_u32_e32 v27, vcc, v5, v0, vcc
	v_lshlrev_b64 v[0:1], 6, v[24:25]
	v_add_co_u32_e32 v28, vcc, s14, v0
	v_addc_co_u32_e32 v29, vcc, v6, v1, vcc
	v_cmp_lt_i64_e64 s[0:1], v[24:25], v[26:27]
	s_cbranch_scc1 .LBB160_27
; %bb.16:
	v_pk_mov_b32 v[30:31], 0, 0
	s_mov_b64 s[8:9], 0
	v_pk_mov_b32 v[32:33], v[30:31], v[30:31] op_sel:[0,1]
	v_pk_mov_b32 v[34:35], v[30:31], v[30:31] op_sel:[0,1]
	;; [unrolled: 1-line block ×3, first 2 shown]
	s_and_saveexec_b64 s[10:11], s[0:1]
	s_cbranch_execz .LBB160_26
; %bb.17:
	v_or_b32_e32 v0, 4, v22
	v_mov_b32_e32 v1, s19
	v_subrev_co_u32_e32 v0, vcc, s16, v0
	v_subb_co_u32_e32 v1, vcc, 0, v1, vcc
	v_add_co_u32_e32 v0, vcc, v0, v2
	v_addc_co_u32_e32 v1, vcc, v1, v3, vcc
	v_cmp_gt_i64_e32 vcc, v[0:1], v[26:27]
	v_cndmask_b32_e32 v1, v27, v1, vcc
	v_cndmask_b32_e32 v0, v26, v0, vcc
	v_mov_b32_e32 v6, s19
	v_sub_co_u32_e32 v7, vcc, s16, v22
	v_not_b32_e32 v5, v2
	v_subbrev_co_u32_e32 v6, vcc, 0, v6, vcc
	v_not_b32_e32 v4, v3
	v_add_co_u32_e32 v5, vcc, v7, v5
	v_addc_co_u32_e32 v4, vcc, v6, v4, vcc
	v_add_co_u32_e32 v6, vcc, v5, v0
	v_lshrrev_b32_e32 v0, 2, v6
	v_add_u32_e32 v0, 1, v0
	v_addc_co_u32_e32 v7, vcc, v4, v1, vcc
	v_and_b32_e32 v8, 3, v0
	v_pk_mov_b32 v[36:37], 0, 0
	v_cmp_ne_u32_e32 vcc, 0, v8
	s_mov_b64 s[20:21], 0
	v_pk_mov_b32 v[34:35], v[36:37], v[36:37] op_sel:[0,1]
	v_pk_mov_b32 v[32:33], v[36:37], v[36:37] op_sel:[0,1]
	;; [unrolled: 1-line block ×5, first 2 shown]
	s_and_saveexec_b64 s[14:15], vcc
	s_cbranch_execz .LBB160_21
; %bb.18:
	v_lshlrev_b64 v[0:1], 3, v[24:25]
	v_mov_b32_e32 v4, s13
	v_add_co_u32_e32 v10, vcc, s12, v0
	v_pk_mov_b32 v[30:31], 0, 0
	v_mov_b32_e32 v9, 0
	v_addc_co_u32_e32 v11, vcc, v4, v1, vcc
	v_lshlrev_b32_e32 v8, 3, v8
	s_movk_i32 s17, 0x100
	v_mov_b32_e32 v12, s19
	v_mov_b32_e32 v13, s7
	v_pk_mov_b32 v[4:5], v[28:29], v[28:29] op_sel:[0,1]
	v_pk_mov_b32 v[0:1], v[24:25], v[24:25] op_sel:[0,1]
	v_pk_mov_b32 v[32:33], v[30:31], v[30:31] op_sel:[0,1]
	v_pk_mov_b32 v[34:35], v[30:31], v[30:31] op_sel:[0,1]
	v_pk_mov_b32 v[36:37], v[30:31], v[30:31] op_sel:[0,1]
.LBB160_19:                             ; =>This Inner Loop Header: Depth=1
	global_load_dwordx2 v[14:15], v[10:11], off
	global_load_dwordx4 v[38:41], v[4:5], off
	global_load_dwordx4 v[42:45], v[4:5], off offset:16
	global_load_dwordx4 v[46:49], v[4:5], off offset:48
	;; [unrolled: 1-line block ×3, first 2 shown]
	v_add_co_u32_e64 v0, s[2:3], 4, v0
	v_addc_co_u32_e64 v1, s[2:3], 0, v1, s[2:3]
	v_add_co_u32_e64 v10, s[2:3], 32, v10
	v_addc_co_u32_e64 v11, s[2:3], 0, v11, s[2:3]
	v_add_co_u32_e64 v8, s[2:3], -8, v8
	v_addc_co_u32_e64 v9, s[2:3], -1, v9, s[2:3]
	s_waitcnt vmcnt(4)
	v_subrev_co_u32_e32 v14, vcc, s16, v14
	v_subb_co_u32_e32 v15, vcc, v15, v12, vcc
	v_lshlrev_b64 v[14:15], 5, v[14:15]
	v_add_co_u32_e32 v14, vcc, s6, v14
	v_addc_co_u32_e32 v15, vcc, v13, v15, vcc
	global_load_dwordx4 v[54:57], v[14:15], off
	global_load_dwordx4 v[58:61], v[14:15], off offset:16
	s_waitcnt vmcnt(5)
	v_cvt_f64_f32_e32 v[14:15], v38
	s_waitcnt vmcnt(4)
	v_cvt_f64_f32_e32 v[64:65], v42
	;; [unrolled: 2-line block ×3, first 2 shown]
	v_cvt_f64_f32_e32 v[72:73], v46
	v_add_co_u32_e32 v4, vcc, s17, v4
	v_cvt_f64_f32_e32 v[38:39], v39
	v_cvt_f64_f32_e32 v[42:43], v43
	;; [unrolled: 1-line block ×4, first 2 shown]
	v_addc_co_u32_e32 v5, vcc, 0, v5, vcc
	v_cvt_f64_f32_e32 v[62:63], v40
	v_cvt_f64_f32_e32 v[66:67], v44
	;; [unrolled: 1-line block ×4, first 2 shown]
	v_cmp_eq_u64_e32 vcc, 0, v[8:9]
	v_cvt_f64_f32_e32 v[40:41], v41
	v_cvt_f64_f32_e32 v[44:45], v45
	;; [unrolled: 1-line block ×4, first 2 shown]
	s_or_b64 s[20:21], vcc, s[20:21]
	s_waitcnt vmcnt(1)
	v_fmac_f64_e32 v[36:37], v[14:15], v[54:55]
	v_fmac_f64_e32 v[34:35], v[64:65], v[54:55]
	;; [unrolled: 1-line block ×8, first 2 shown]
	s_waitcnt vmcnt(0)
	v_fmac_f64_e32 v[36:37], v[62:63], v[58:59]
	v_fmac_f64_e32 v[34:35], v[66:67], v[58:59]
	;; [unrolled: 1-line block ×8, first 2 shown]
	s_andn2_b64 exec, exec, s[20:21]
	s_cbranch_execnz .LBB160_19
; %bb.20:
	s_or_b64 exec, exec, s[20:21]
.LBB160_21:
	s_or_b64 exec, exec, s[14:15]
	v_cmp_lt_u64_e32 vcc, 11, v[6:7]
	s_and_saveexec_b64 s[2:3], vcc
	s_cbranch_execz .LBB160_25
; %bb.22:
	v_lshlrev_b64 v[6:7], 3, v[0:1]
	v_mov_b32_e32 v8, s13
	v_add_co_u32_e32 v6, vcc, s12, v6
	v_addc_co_u32_e32 v7, vcc, v7, v8, vcc
	v_add_co_u32_e32 v6, vcc, 64, v6
	v_addc_co_u32_e32 v7, vcc, 0, v7, vcc
	s_mov_b64 s[14:15], 0
	v_mov_b32_e32 v8, s19
	v_mov_b32_e32 v9, s7
	s_movk_i32 s17, 0x400
.LBB160_23:                             ; =>This Inner Loop Header: Depth=1
	global_load_dwordx2 v[10:11], v[6:7], off offset:-64
	s_waitcnt vmcnt(0)
	v_subrev_co_u32_e32 v14, vcc, s16, v10
	v_subb_co_u32_e32 v15, vcc, v11, v8, vcc
	v_lshlrev_b64 v[14:15], 5, v[14:15]
	v_add_co_u32_e32 v14, vcc, s6, v14
	global_load_dwordx4 v[10:13], v[4:5], off offset:48
	global_load_dwordx4 v[38:41], v[4:5], off offset:32
	;; [unrolled: 1-line block ×3, first 2 shown]
	global_load_dwordx4 v[46:49], v[4:5], off
	v_addc_co_u32_e32 v15, vcc, v9, v15, vcc
	global_load_dwordx4 v[50:53], v[14:15], off offset:16
	global_load_dwordx4 v[54:57], v[14:15], off
	s_waitcnt vmcnt(2)
	v_cvt_f64_f32_e32 v[58:59], v46
	v_cvt_f64_f32_e32 v[14:15], v47
	s_waitcnt vmcnt(0)
	v_fmac_f64_e32 v[36:37], v[58:59], v[54:55]
	v_fmac_f64_e32 v[36:37], v[14:15], v[56:57]
	v_cvt_f64_f32_e32 v[14:15], v48
	v_fmac_f64_e32 v[36:37], v[14:15], v[50:51]
	v_cvt_f64_f32_e32 v[14:15], v49
	;; [unrolled: 2-line block ×14, first 2 shown]
	v_fmac_f64_e32 v[30:31], v[10:11], v[52:53]
	global_load_dwordx2 v[10:11], v[6:7], off offset:-32
	s_waitcnt vmcnt(0)
	v_subrev_co_u32_e32 v14, vcc, s16, v10
	v_subb_co_u32_e32 v15, vcc, v11, v8, vcc
	v_lshlrev_b64 v[14:15], 5, v[14:15]
	v_add_co_u32_e32 v14, vcc, s6, v14
	global_load_dwordx4 v[10:13], v[4:5], off offset:304
	global_load_dwordx4 v[38:41], v[4:5], off offset:288
	;; [unrolled: 1-line block ×4, first 2 shown]
	v_addc_co_u32_e32 v15, vcc, v9, v15, vcc
	global_load_dwordx4 v[50:53], v[14:15], off offset:16
	global_load_dwordx4 v[54:57], v[14:15], off
	s_waitcnt vmcnt(2)
	v_cvt_f64_f32_e32 v[58:59], v46
	v_cvt_f64_f32_e32 v[14:15], v47
	s_waitcnt vmcnt(0)
	v_fmac_f64_e32 v[36:37], v[58:59], v[54:55]
	v_fmac_f64_e32 v[36:37], v[14:15], v[56:57]
	v_cvt_f64_f32_e32 v[14:15], v48
	v_fmac_f64_e32 v[36:37], v[14:15], v[50:51]
	v_cvt_f64_f32_e32 v[14:15], v49
	;; [unrolled: 2-line block ×14, first 2 shown]
	v_fmac_f64_e32 v[30:31], v[10:11], v[52:53]
	global_load_dwordx2 v[10:11], v[6:7], off
	s_waitcnt vmcnt(0)
	v_subrev_co_u32_e32 v14, vcc, s16, v10
	v_subb_co_u32_e32 v15, vcc, v11, v8, vcc
	v_lshlrev_b64 v[14:15], 5, v[14:15]
	v_add_co_u32_e32 v14, vcc, s6, v14
	global_load_dwordx4 v[10:13], v[4:5], off offset:560
	global_load_dwordx4 v[38:41], v[4:5], off offset:544
	;; [unrolled: 1-line block ×4, first 2 shown]
	v_addc_co_u32_e32 v15, vcc, v9, v15, vcc
	global_load_dwordx4 v[50:53], v[14:15], off offset:16
	global_load_dwordx4 v[54:57], v[14:15], off
	s_waitcnt vmcnt(2)
	v_cvt_f64_f32_e32 v[58:59], v46
	v_cvt_f64_f32_e32 v[14:15], v47
	s_waitcnt vmcnt(0)
	v_fmac_f64_e32 v[36:37], v[58:59], v[54:55]
	v_fmac_f64_e32 v[36:37], v[14:15], v[56:57]
	v_cvt_f64_f32_e32 v[14:15], v48
	v_fmac_f64_e32 v[36:37], v[14:15], v[50:51]
	v_cvt_f64_f32_e32 v[14:15], v49
	;; [unrolled: 2-line block ×14, first 2 shown]
	v_fmac_f64_e32 v[30:31], v[10:11], v[52:53]
	global_load_dwordx2 v[10:11], v[6:7], off offset:32
	s_waitcnt vmcnt(0)
	v_subrev_co_u32_e32 v14, vcc, s16, v10
	v_subb_co_u32_e32 v15, vcc, v11, v8, vcc
	v_lshlrev_b64 v[14:15], 5, v[14:15]
	v_add_co_u32_e32 v14, vcc, s6, v14
	global_load_dwordx4 v[10:13], v[4:5], off offset:816
	global_load_dwordx4 v[38:41], v[4:5], off offset:800
	;; [unrolled: 1-line block ×4, first 2 shown]
	v_addc_co_u32_e32 v15, vcc, v9, v15, vcc
	global_load_dwordx4 v[50:53], v[14:15], off offset:16
	global_load_dwordx4 v[54:57], v[14:15], off
	v_add_co_u32_e32 v4, vcc, s17, v4
	v_addc_co_u32_e32 v5, vcc, 0, v5, vcc
	v_add_co_u32_e32 v0, vcc, 16, v0
	v_addc_co_u32_e32 v1, vcc, 0, v1, vcc
	;; [unrolled: 2-line block ×3, first 2 shown]
	v_cmp_ge_i64_e32 vcc, v[0:1], v[26:27]
	s_or_b64 s[14:15], vcc, s[14:15]
	s_waitcnt vmcnt(2)
	v_cvt_f64_f32_e32 v[58:59], v46
	v_cvt_f64_f32_e32 v[14:15], v47
	s_waitcnt vmcnt(0)
	v_fmac_f64_e32 v[36:37], v[58:59], v[54:55]
	v_fmac_f64_e32 v[36:37], v[14:15], v[56:57]
	v_cvt_f64_f32_e32 v[14:15], v48
	v_fmac_f64_e32 v[36:37], v[14:15], v[50:51]
	v_cvt_f64_f32_e32 v[14:15], v49
	;; [unrolled: 2-line block ×14, first 2 shown]
	v_fmac_f64_e32 v[30:31], v[10:11], v[52:53]
	s_andn2_b64 exec, exec, s[14:15]
	s_cbranch_execnz .LBB160_23
; %bb.24:
	s_or_b64 exec, exec, s[14:15]
.LBB160_25:
	s_or_b64 exec, exec, s[2:3]
.LBB160_26:
	s_or_b64 exec, exec, s[10:11]
	s_andn2_b64 vcc, exec, s[8:9]
	s_cbranch_vccz .LBB160_28
	s_branch .LBB160_39
.LBB160_27:
                                        ; implicit-def: $vgpr30_vgpr31
                                        ; implicit-def: $vgpr32_vgpr33
                                        ; implicit-def: $vgpr34_vgpr35
                                        ; implicit-def: $vgpr36_vgpr37
.LBB160_28:
	v_pk_mov_b32 v[30:31], 0, 0
	v_pk_mov_b32 v[32:33], v[30:31], v[30:31] op_sel:[0,1]
	v_pk_mov_b32 v[34:35], v[30:31], v[30:31] op_sel:[0,1]
	;; [unrolled: 1-line block ×3, first 2 shown]
	s_and_saveexec_b64 s[2:3], s[0:1]
	s_cbranch_execz .LBB160_38
; %bb.29:
	v_or_b32_e32 v0, 4, v22
	v_mov_b32_e32 v1, s19
	v_subrev_co_u32_e32 v0, vcc, s16, v0
	v_subb_co_u32_e32 v1, vcc, 0, v1, vcc
	v_add_co_u32_e32 v0, vcc, v0, v2
	v_addc_co_u32_e32 v1, vcc, v1, v3, vcc
	v_cmp_gt_i64_e32 vcc, v[0:1], v[26:27]
	v_cndmask_b32_e32 v1, v27, v1, vcc
	v_cndmask_b32_e32 v0, v26, v0, vcc
	v_mov_b32_e32 v4, s19
	v_sub_co_u32_e32 v5, vcc, s16, v22
	v_not_b32_e32 v2, v2
	v_subbrev_co_u32_e32 v4, vcc, 0, v4, vcc
	v_not_b32_e32 v3, v3
	v_add_co_u32_e32 v2, vcc, v5, v2
	v_addc_co_u32_e32 v3, vcc, v4, v3, vcc
	v_add_co_u32_e32 v0, vcc, v2, v0
	v_lshrrev_b32_e32 v2, 2, v0
	v_add_u32_e32 v2, 1, v2
	v_addc_co_u32_e32 v1, vcc, v3, v1, vcc
	v_and_b32_e32 v2, 3, v2
	v_pk_mov_b32 v[36:37], 0, 0
	v_cmp_ne_u32_e32 vcc, 0, v2
	s_mov_b64 s[10:11], 0
	v_pk_mov_b32 v[34:35], v[36:37], v[36:37] op_sel:[0,1]
	v_pk_mov_b32 v[32:33], v[36:37], v[36:37] op_sel:[0,1]
	;; [unrolled: 1-line block ×3, first 2 shown]
	s_and_saveexec_b64 s[8:9], vcc
	s_cbranch_execz .LBB160_33
; %bb.30:
	v_lshlrev_b64 v[4:5], 3, v[24:25]
	v_mov_b32_e32 v6, s13
	v_add_co_u32_e32 v4, vcc, s12, v4
	v_pk_mov_b32 v[30:31], 0, 0
	v_mov_b32_e32 v3, 0
	v_addc_co_u32_e32 v5, vcc, v6, v5, vcc
	v_lshlrev_b32_e32 v2, 3, v2
	s_movk_i32 s14, 0x100
	v_mov_b32_e32 v6, s19
	v_mov_b32_e32 v7, s7
	v_pk_mov_b32 v[32:33], v[30:31], v[30:31] op_sel:[0,1]
	v_pk_mov_b32 v[34:35], v[30:31], v[30:31] op_sel:[0,1]
	;; [unrolled: 1-line block ×3, first 2 shown]
.LBB160_31:                             ; =>This Inner Loop Header: Depth=1
	global_load_dwordx2 v[42:43], v[4:5], off
	global_load_dwordx4 v[8:11], v[28:29], off offset:32
	global_load_dwordx4 v[12:15], v[28:29], off offset:16
	global_load_dwordx4 v[38:41], v[28:29], off
	v_add_co_u32_e64 v24, s[0:1], 4, v24
	v_addc_co_u32_e64 v25, s[0:1], 0, v25, s[0:1]
	v_add_co_u32_e64 v4, s[0:1], 32, v4
	v_addc_co_u32_e64 v5, s[0:1], 0, v5, s[0:1]
	v_add_co_u32_e64 v2, s[0:1], -8, v2
	v_addc_co_u32_e64 v3, s[0:1], -1, v3, s[0:1]
	s_waitcnt vmcnt(3)
	v_subrev_co_u32_e32 v42, vcc, s16, v42
	v_subb_co_u32_e32 v43, vcc, v43, v6, vcc
	v_lshlrev_b64 v[42:43], 5, v[42:43]
	v_add_co_u32_e32 v54, vcc, s6, v42
	v_addc_co_u32_e32 v55, vcc, v7, v43, vcc
	global_load_dwordx4 v[42:45], v[54:55], off offset:16
	global_load_dwordx4 v[46:49], v[54:55], off
	global_load_dwordx4 v[50:53], v[28:29], off offset:48
	s_waitcnt vmcnt(3)
	v_cvt_f64_f32_e32 v[54:55], v38
	v_cvt_f64_f32_e32 v[38:39], v39
	;; [unrolled: 1-line block ×4, first 2 shown]
	v_add_co_u32_e32 v28, vcc, s14, v28
	v_cvt_f64_f32_e32 v[58:59], v12
	v_cvt_f64_f32_e32 v[12:13], v13
	;; [unrolled: 1-line block ×4, first 2 shown]
	v_addc_co_u32_e32 v29, vcc, 0, v29, vcc
	v_cvt_f64_f32_e32 v[62:63], v8
	v_cvt_f64_f32_e32 v[8:9], v9
	;; [unrolled: 1-line block ×4, first 2 shown]
	v_cmp_eq_u64_e32 vcc, 0, v[2:3]
	s_or_b64 s[10:11], vcc, s[10:11]
	s_waitcnt vmcnt(1)
	v_fmac_f64_e32 v[36:37], v[54:55], v[46:47]
	v_fmac_f64_e32 v[34:35], v[38:39], v[46:47]
	;; [unrolled: 1-line block ×8, first 2 shown]
	s_waitcnt vmcnt(0)
	v_cvt_f64_f32_e32 v[66:67], v50
	v_cvt_f64_f32_e32 v[50:51], v51
	;; [unrolled: 1-line block ×4, first 2 shown]
	v_fmac_f64_e32 v[36:37], v[62:63], v[42:43]
	v_fmac_f64_e32 v[34:35], v[8:9], v[42:43]
	;; [unrolled: 1-line block ×8, first 2 shown]
	s_andn2_b64 exec, exec, s[10:11]
	s_cbranch_execnz .LBB160_31
; %bb.32:
	s_or_b64 exec, exec, s[10:11]
.LBB160_33:
	s_or_b64 exec, exec, s[8:9]
	v_cmp_lt_u64_e32 vcc, 11, v[0:1]
	s_and_saveexec_b64 s[8:9], vcc
	s_cbranch_execz .LBB160_37
; %bb.34:
	v_lshlrev_b64 v[0:1], 3, v[24:25]
	v_mov_b32_e32 v2, s13
	v_add_co_u32_e32 v0, vcc, s12, v0
	v_addc_co_u32_e32 v1, vcc, v1, v2, vcc
	v_add_co_u32_e32 v38, vcc, 64, v0
	v_addc_co_u32_e32 v39, vcc, 0, v1, vcc
	s_mov_b64 s[10:11], 0
	v_mov_b32_e32 v23, s19
	v_mov_b32_e32 v88, s7
	s_movk_i32 s7, 0x400
.LBB160_35:                             ; =>This Inner Loop Header: Depth=1
	global_load_dwordx4 v[12:15], v[28:29], off
	global_load_dwordx4 v[8:11], v[28:29], off offset:16
	global_load_dwordx4 v[4:7], v[28:29], off offset:32
	;; [unrolled: 1-line block ×7, first 2 shown]
	s_waitcnt vmcnt(7)
	v_cvt_f64_f32_e32 v[56:57], v12
	v_cvt_f64_f32_e32 v[12:13], v13
	s_waitcnt vmcnt(6)
	v_cvt_f64_f32_e32 v[60:61], v8
	s_waitcnt vmcnt(4)
	v_cvt_f64_f32_e32 v[74:75], v0
	v_cvt_f64_f32_e32 v[76:77], v1
	global_load_dwordx2 v[0:1], v[38:39], off offset:-64
	s_waitcnt vmcnt(4)
	v_cvt_f64_f32_e32 v[82:83], v40
	v_cvt_f64_f32_e32 v[84:85], v41
	;; [unrolled: 1-line block ×11, first 2 shown]
	global_load_dwordx4 v[4:7], v[28:29], off offset:512
	v_cvt_f64_f32_e32 v[58:59], v14
	v_cvt_f64_f32_e32 v[14:15], v15
	;; [unrolled: 1-line block ×4, first 2 shown]
	s_waitcnt vmcnt(4)
	v_cvt_f64_f32_e32 v[92:93], v44
	v_cvt_f64_f32_e32 v[94:95], v45
	;; [unrolled: 1-line block ×4, first 2 shown]
	s_waitcnt vmcnt(2)
	v_cvt_f64_f32_e32 v[108:109], v52
	v_cvt_f64_f32_e32 v[110:111], v53
	;; [unrolled: 1-line block ×8, first 2 shown]
	s_waitcnt vmcnt(1)
	v_subrev_co_u32_e32 v0, vcc, s16, v0
	v_subb_co_u32_e32 v1, vcc, v1, v23, vcc
	v_lshlrev_b64 v[0:1], 5, v[0:1]
	v_add_co_u32_e32 v40, vcc, s6, v0
	v_addc_co_u32_e32 v41, vcc, v88, v1, vcc
	global_load_dwordx4 v[0:3], v[40:41], off
	s_waitcnt vmcnt(0)
	v_fmac_f64_e32 v[34:35], v[12:13], v[0:1]
	v_fmac_f64_e32 v[34:35], v[8:9], v[2:3]
	global_load_dwordx4 v[8:11], v[28:29], off offset:528
	v_fmac_f64_e32 v[36:37], v[56:57], v[0:1]
	v_fmac_f64_e32 v[32:33], v[58:59], v[0:1]
	;; [unrolled: 1-line block ×3, first 2 shown]
	v_cvt_f64_f32_e32 v[52:53], v6
	v_cvt_f64_f32_e32 v[54:55], v7
	v_fmac_f64_e32 v[36:37], v[60:61], v[2:3]
	v_fmac_f64_e32 v[32:33], v[62:63], v[2:3]
	;; [unrolled: 1-line block ×3, first 2 shown]
	v_cvt_f64_f32_e32 v[48:49], v4
	v_cvt_f64_f32_e32 v[50:51], v5
	global_load_dwordx4 v[60:63], v[28:29], off offset:768
	global_load_dwordx4 v[56:59], v[28:29], off offset:560
	s_waitcnt vmcnt(2)
	v_cvt_f64_f32_e32 v[42:43], v10
	v_cvt_f64_f32_e32 v[0:1], v11
	global_load_dwordx4 v[10:13], v[40:41], off offset:16
	v_cvt_f64_f32_e32 v[44:45], v8
	v_cvt_f64_f32_e32 v[46:47], v9
	global_load_dwordx4 v[6:9], v[28:29], off offset:544
	s_waitcnt vmcnt(2)
	v_cvt_f64_f32_e32 v[14:15], v58
	v_cvt_f64_f32_e32 v[40:41], v59
	s_waitcnt vmcnt(1)
	v_fmac_f64_e32 v[36:37], v[66:67], v[10:11]
	v_fmac_f64_e32 v[34:35], v[68:69], v[10:11]
	;; [unrolled: 1-line block ×8, first 2 shown]
	v_cvt_f64_f32_e32 v[10:11], v56
	v_cvt_f64_f32_e32 v[12:13], v57
	global_load_dwordx2 v[56:57], v[38:39], off offset:-32
	global_load_dwordx4 v[68:71], v[28:29], off offset:784
	global_load_dwordx4 v[76:79], v[28:29], off offset:800
	s_waitcnt vmcnt(3)
	v_cvt_f64_f32_e32 v[2:3], v6
	v_cvt_f64_f32_e32 v[4:5], v7
	;; [unrolled: 1-line block ×4, first 2 shown]
	s_waitcnt vmcnt(2)
	v_subrev_co_u32_e32 v56, vcc, s16, v56
	v_subb_co_u32_e32 v57, vcc, v57, v23, vcc
	v_lshlrev_b64 v[56:57], 5, v[56:57]
	v_add_co_u32_e32 v80, vcc, s6, v56
	v_addc_co_u32_e32 v81, vcc, v88, v57, vcc
	global_load_dwordx4 v[56:59], v[80:81], off
	s_waitcnt vmcnt(2)
	v_cvt_f64_f32_e32 v[64:65], v68
	v_cvt_f64_f32_e32 v[66:67], v69
	;; [unrolled: 1-line block ×4, first 2 shown]
	s_waitcnt vmcnt(0)
	v_fmac_f64_e32 v[30:31], v[90:91], v[56:57]
	global_load_dwordx2 v[90:91], v[38:39], off
	v_fmac_f64_e32 v[36:37], v[82:83], v[56:57]
	v_fmac_f64_e32 v[36:37], v[92:93], v[58:59]
	global_load_dwordx2 v[92:93], v[38:39], off offset:32
	v_fmac_f64_e32 v[34:35], v[84:85], v[56:57]
	v_fmac_f64_e32 v[34:35], v[94:95], v[58:59]
	;; [unrolled: 1-line block ×3, first 2 shown]
	global_load_dwordx4 v[80:83], v[80:81], off offset:16
	v_fmac_f64_e32 v[32:33], v[96:97], v[58:59]
	v_fmac_f64_e32 v[30:31], v[98:99], v[58:59]
	global_load_dwordx4 v[84:87], v[28:29], off offset:816
	v_cvt_f64_f32_e32 v[56:57], v60
	v_cvt_f64_f32_e32 v[58:59], v61
	;; [unrolled: 1-line block ×8, first 2 shown]
	s_waitcnt vmcnt(3)
	v_subrev_co_u32_e32 v90, vcc, s16, v90
	v_subb_co_u32_e32 v91, vcc, v91, v23, vcc
	s_waitcnt vmcnt(2)
	v_subrev_co_u32_e32 v92, vcc, s16, v92
	v_subb_co_u32_e32 v93, vcc, v93, v23, vcc
	v_lshlrev_b64 v[90:91], 5, v[90:91]
	v_add_co_u32_e32 v94, vcc, s6, v90
	v_addc_co_u32_e32 v95, vcc, v88, v91, vcc
	v_lshlrev_b64 v[90:91], 5, v[92:93]
	v_add_co_u32_e32 v96, vcc, s6, v90
	v_addc_co_u32_e32 v97, vcc, v88, v91, vcc
	global_load_dwordx4 v[90:93], v[94:95], off
	s_waitcnt vmcnt(2)
	v_fmac_f64_e32 v[36:37], v[100:101], v[80:81]
	v_fmac_f64_e32 v[34:35], v[102:103], v[80:81]
	;; [unrolled: 1-line block ×8, first 2 shown]
	v_add_co_u32_e32 v28, vcc, s7, v28
	s_mov_b64 s[0:1], vcc
	v_add_co_u32_e32 v24, vcc, 16, v24
	v_addc_co_u32_e32 v25, vcc, 0, v25, vcc
	v_addc_co_u32_e64 v29, s[0:1], 0, v29, s[0:1]
	s_waitcnt vmcnt(1)
	v_cvt_f64_f32_e32 v[80:81], v84
	v_cvt_f64_f32_e32 v[82:83], v85
	;; [unrolled: 1-line block ×4, first 2 shown]
	v_add_co_u32_e32 v38, vcc, 0x80, v38
	v_cmp_ge_i64_e64 s[0:1], v[24:25], v[26:27]
	v_addc_co_u32_e32 v39, vcc, 0, v39, vcc
	s_or_b64 s[10:11], s[0:1], s[10:11]
	s_waitcnt vmcnt(0)
	v_fmac_f64_e32 v[36:37], v[48:49], v[90:91]
	v_fmac_f64_e32 v[34:35], v[50:51], v[90:91]
	global_load_dwordx4 v[48:51], v[94:95], off offset:16
	v_fmac_f64_e32 v[36:37], v[44:45], v[92:93]
	v_fmac_f64_e32 v[34:35], v[46:47], v[92:93]
	global_load_dwordx4 v[44:47], v[96:97], off
	v_fmac_f64_e32 v[32:33], v[52:53], v[90:91]
	v_fmac_f64_e32 v[30:31], v[54:55], v[90:91]
	global_load_dwordx4 v[52:55], v[96:97], off offset:16
	v_fmac_f64_e32 v[32:33], v[42:43], v[92:93]
	v_fmac_f64_e32 v[30:31], v[0:1], v[92:93]
	s_waitcnt vmcnt(2)
	v_fmac_f64_e32 v[36:37], v[2:3], v[48:49]
	v_fmac_f64_e32 v[34:35], v[4:5], v[48:49]
	v_fmac_f64_e32 v[32:33], v[6:7], v[48:49]
	v_fmac_f64_e32 v[30:31], v[8:9], v[48:49]
	v_fmac_f64_e32 v[36:37], v[10:11], v[50:51]
	v_fmac_f64_e32 v[34:35], v[12:13], v[50:51]
	v_fmac_f64_e32 v[32:33], v[14:15], v[50:51]
	v_fmac_f64_e32 v[30:31], v[40:41], v[50:51]
	s_waitcnt vmcnt(1)
	v_fmac_f64_e32 v[36:37], v[56:57], v[44:45]
	v_fmac_f64_e32 v[34:35], v[58:59], v[44:45]
	v_fmac_f64_e32 v[32:33], v[60:61], v[44:45]
	v_fmac_f64_e32 v[30:31], v[62:63], v[44:45]
	v_fmac_f64_e32 v[36:37], v[64:65], v[46:47]
	v_fmac_f64_e32 v[34:35], v[66:67], v[46:47]
	;; [unrolled: 9-line block ×3, first 2 shown]
	v_fmac_f64_e32 v[32:33], v[84:85], v[54:55]
	v_fmac_f64_e32 v[30:31], v[86:87], v[54:55]
	s_andn2_b64 exec, exec, s[10:11]
	s_cbranch_execnz .LBB160_35
; %bb.36:
	s_or_b64 exec, exec, s[10:11]
.LBB160_37:
	s_or_b64 exec, exec, s[8:9]
.LBB160_38:
	s_or_b64 exec, exec, s[2:3]
.LBB160_39:
	v_mov_b32_dpp v0, v36 row_shr:1 row_mask:0xf bank_mask:0xf
	v_mov_b32_dpp v1, v37 row_shr:1 row_mask:0xf bank_mask:0xf
	;; [unrolled: 1-line block ×8, first 2 shown]
	v_add_f64 v[0:1], v[36:37], v[0:1]
	v_add_f64 v[4:5], v[34:35], v[4:5]
	;; [unrolled: 1-line block ×4, first 2 shown]
	v_mov_b32_dpp v2, v0 row_shr:2 row_mask:0xf bank_mask:0xf
	v_mov_b32_dpp v3, v1 row_shr:2 row_mask:0xf bank_mask:0xf
	v_mov_b32_dpp v6, v4 row_shr:2 row_mask:0xf bank_mask:0xf
	v_mov_b32_dpp v7, v5 row_shr:2 row_mask:0xf bank_mask:0xf
	v_mov_b32_dpp v10, v8 row_shr:2 row_mask:0xf bank_mask:0xf
	v_mov_b32_dpp v11, v9 row_shr:2 row_mask:0xf bank_mask:0xf
	v_mov_b32_dpp v14, v12 row_shr:2 row_mask:0xf bank_mask:0xf
	v_mov_b32_dpp v15, v13 row_shr:2 row_mask:0xf bank_mask:0xf
	v_cmp_eq_u32_e32 vcc, 3, v22
	s_and_b64 exec, exec, vcc
	s_cbranch_execz .LBB160_10
; %bb.40:
	s_load_dwordx2 s[0:1], s[4:5], 0x58
	v_add_f64 v[0:1], v[0:1], v[2:3]
	v_add_f64 v[2:3], v[4:5], v[6:7]
	;; [unrolled: 1-line block ×4, first 2 shown]
	v_cmp_eq_f64_e32 vcc, 0, v[16:17]
	v_mul_f64 v[4:5], v[18:19], v[0:1]
	v_mul_f64 v[6:7], v[18:19], v[2:3]
	;; [unrolled: 1-line block ×4, first 2 shown]
	v_lshlrev_b64 v[8:9], 5, v[20:21]
	s_and_saveexec_b64 s[2:3], vcc
	s_xor_b64 s[2:3], exec, s[2:3]
	s_cbranch_execz .LBB160_42
; %bb.41:
	s_waitcnt lgkmcnt(0)
	v_mov_b32_e32 v10, s1
	v_add_co_u32_e32 v8, vcc, s0, v8
	v_addc_co_u32_e32 v9, vcc, v10, v9, vcc
	global_store_dwordx4 v[8:9], v[4:7], off
	global_store_dwordx4 v[8:9], v[0:3], off offset:16
                                        ; implicit-def: $vgpr8_vgpr9
                                        ; implicit-def: $vgpr16_vgpr17
                                        ; implicit-def: $vgpr4_vgpr5
                                        ; implicit-def: $vgpr0_vgpr1
.LBB160_42:
	s_andn2_saveexec_b64 s[2:3], s[2:3]
	s_cbranch_execz .LBB160_10
; %bb.43:
	s_waitcnt lgkmcnt(0)
	v_mov_b32_e32 v10, s1
	v_add_co_u32_e32 v18, vcc, s0, v8
	v_addc_co_u32_e32 v19, vcc, v10, v9, vcc
	global_load_dwordx4 v[8:11], v[18:19], off
	global_load_dwordx4 v[12:15], v[18:19], off offset:16
	s_waitcnt vmcnt(1)
	v_fmac_f64_e32 v[4:5], v[16:17], v[8:9]
	v_fmac_f64_e32 v[6:7], v[16:17], v[10:11]
	s_waitcnt vmcnt(0)
	v_fmac_f64_e32 v[0:1], v[16:17], v[12:13]
	v_fmac_f64_e32 v[2:3], v[16:17], v[14:15]
	global_store_dwordx4 v[18:19], v[4:7], off
	global_store_dwordx4 v[18:19], v[0:3], off offset:16
	s_endpgm
	.section	.rodata,"a",@progbits
	.p2align	6, 0x0
	.amdhsa_kernel _ZN9rocsparseL18bsrxmvn_4x4_kernelILj128ELj4EdllfddEEvT3_20rocsparse_direction_NS_24const_host_device_scalarIT1_EES1_PKS1_PKT2_SA_S7_PKT4_PKT5_S5_PT6_21rocsparse_index_base_b
		.amdhsa_group_segment_fixed_size 0
		.amdhsa_private_segment_fixed_size 0
		.amdhsa_kernarg_size 104
		.amdhsa_user_sgpr_count 6
		.amdhsa_user_sgpr_private_segment_buffer 1
		.amdhsa_user_sgpr_dispatch_ptr 0
		.amdhsa_user_sgpr_queue_ptr 0
		.amdhsa_user_sgpr_kernarg_segment_ptr 1
		.amdhsa_user_sgpr_dispatch_id 0
		.amdhsa_user_sgpr_flat_scratch_init 0
		.amdhsa_user_sgpr_kernarg_preload_length 0
		.amdhsa_user_sgpr_kernarg_preload_offset 0
		.amdhsa_user_sgpr_private_segment_size 0
		.amdhsa_uses_dynamic_stack 0
		.amdhsa_system_sgpr_private_segment_wavefront_offset 0
		.amdhsa_system_sgpr_workgroup_id_x 1
		.amdhsa_system_sgpr_workgroup_id_y 0
		.amdhsa_system_sgpr_workgroup_id_z 0
		.amdhsa_system_sgpr_workgroup_info 0
		.amdhsa_system_vgpr_workitem_id 0
		.amdhsa_next_free_vgpr 116
		.amdhsa_next_free_sgpr 22
		.amdhsa_accum_offset 116
		.amdhsa_reserve_vcc 1
		.amdhsa_reserve_flat_scratch 0
		.amdhsa_float_round_mode_32 0
		.amdhsa_float_round_mode_16_64 0
		.amdhsa_float_denorm_mode_32 3
		.amdhsa_float_denorm_mode_16_64 3
		.amdhsa_dx10_clamp 1
		.amdhsa_ieee_mode 1
		.amdhsa_fp16_overflow 0
		.amdhsa_tg_split 0
		.amdhsa_exception_fp_ieee_invalid_op 0
		.amdhsa_exception_fp_denorm_src 0
		.amdhsa_exception_fp_ieee_div_zero 0
		.amdhsa_exception_fp_ieee_overflow 0
		.amdhsa_exception_fp_ieee_underflow 0
		.amdhsa_exception_fp_ieee_inexact 0
		.amdhsa_exception_int_div_zero 0
	.end_amdhsa_kernel
	.section	.text._ZN9rocsparseL18bsrxmvn_4x4_kernelILj128ELj4EdllfddEEvT3_20rocsparse_direction_NS_24const_host_device_scalarIT1_EES1_PKS1_PKT2_SA_S7_PKT4_PKT5_S5_PT6_21rocsparse_index_base_b,"axG",@progbits,_ZN9rocsparseL18bsrxmvn_4x4_kernelILj128ELj4EdllfddEEvT3_20rocsparse_direction_NS_24const_host_device_scalarIT1_EES1_PKS1_PKT2_SA_S7_PKT4_PKT5_S5_PT6_21rocsparse_index_base_b,comdat
.Lfunc_end160:
	.size	_ZN9rocsparseL18bsrxmvn_4x4_kernelILj128ELj4EdllfddEEvT3_20rocsparse_direction_NS_24const_host_device_scalarIT1_EES1_PKS1_PKT2_SA_S7_PKT4_PKT5_S5_PT6_21rocsparse_index_base_b, .Lfunc_end160-_ZN9rocsparseL18bsrxmvn_4x4_kernelILj128ELj4EdllfddEEvT3_20rocsparse_direction_NS_24const_host_device_scalarIT1_EES1_PKS1_PKT2_SA_S7_PKT4_PKT5_S5_PT6_21rocsparse_index_base_b
                                        ; -- End function
	.section	.AMDGPU.csdata,"",@progbits
; Kernel info:
; codeLenInByte = 4068
; NumSgprs: 26
; NumVgprs: 116
; NumAgprs: 0
; TotalNumVgprs: 116
; ScratchSize: 0
; MemoryBound: 0
; FloatMode: 240
; IeeeMode: 1
; LDSByteSize: 0 bytes/workgroup (compile time only)
; SGPRBlocks: 3
; VGPRBlocks: 14
; NumSGPRsForWavesPerEU: 26
; NumVGPRsForWavesPerEU: 116
; AccumOffset: 116
; Occupancy: 4
; WaveLimiterHint : 1
; COMPUTE_PGM_RSRC2:SCRATCH_EN: 0
; COMPUTE_PGM_RSRC2:USER_SGPR: 6
; COMPUTE_PGM_RSRC2:TRAP_HANDLER: 0
; COMPUTE_PGM_RSRC2:TGID_X_EN: 1
; COMPUTE_PGM_RSRC2:TGID_Y_EN: 0
; COMPUTE_PGM_RSRC2:TGID_Z_EN: 0
; COMPUTE_PGM_RSRC2:TIDIG_COMP_CNT: 0
; COMPUTE_PGM_RSRC3_GFX90A:ACCUM_OFFSET: 28
; COMPUTE_PGM_RSRC3_GFX90A:TG_SPLIT: 0
	.section	.text._ZN9rocsparseL18bsrxmvn_4x4_kernelILj128ELj8EdllfddEEvT3_20rocsparse_direction_NS_24const_host_device_scalarIT1_EES1_PKS1_PKT2_SA_S7_PKT4_PKT5_S5_PT6_21rocsparse_index_base_b,"axG",@progbits,_ZN9rocsparseL18bsrxmvn_4x4_kernelILj128ELj8EdllfddEEvT3_20rocsparse_direction_NS_24const_host_device_scalarIT1_EES1_PKS1_PKT2_SA_S7_PKT4_PKT5_S5_PT6_21rocsparse_index_base_b,comdat
	.globl	_ZN9rocsparseL18bsrxmvn_4x4_kernelILj128ELj8EdllfddEEvT3_20rocsparse_direction_NS_24const_host_device_scalarIT1_EES1_PKS1_PKT2_SA_S7_PKT4_PKT5_S5_PT6_21rocsparse_index_base_b ; -- Begin function _ZN9rocsparseL18bsrxmvn_4x4_kernelILj128ELj8EdllfddEEvT3_20rocsparse_direction_NS_24const_host_device_scalarIT1_EES1_PKS1_PKT2_SA_S7_PKT4_PKT5_S5_PT6_21rocsparse_index_base_b
	.p2align	8
	.type	_ZN9rocsparseL18bsrxmvn_4x4_kernelILj128ELj8EdllfddEEvT3_20rocsparse_direction_NS_24const_host_device_scalarIT1_EES1_PKS1_PKT2_SA_S7_PKT4_PKT5_S5_PT6_21rocsparse_index_base_b,@function
_ZN9rocsparseL18bsrxmvn_4x4_kernelILj128ELj8EdllfddEEvT3_20rocsparse_direction_NS_24const_host_device_scalarIT1_EES1_PKS1_PKT2_SA_S7_PKT4_PKT5_S5_PT6_21rocsparse_index_base_b: ; @_ZN9rocsparseL18bsrxmvn_4x4_kernelILj128ELj8EdllfddEEvT3_20rocsparse_direction_NS_24const_host_device_scalarIT1_EES1_PKS1_PKT2_SA_S7_PKT4_PKT5_S5_PT6_21rocsparse_index_base_b
; %bb.0:
	s_load_dwordx2 s[16:17], s[4:5], 0x60
	s_load_dwordx4 s[0:3], s[4:5], 0x10
	s_load_dwordx2 s[8:9], s[4:5], 0x50
	s_waitcnt lgkmcnt(0)
	s_bitcmp1_b32 s17, 0
	s_cselect_b64 s[12:13], -1, 0
	s_xor_b64 s[10:11], s[12:13], -1
	s_and_b64 vcc, exec, s[12:13]
	v_pk_mov_b32 v[18:19], s[0:1], s[0:1] op_sel:[0,1]
	s_cbranch_vccnz .LBB161_2
; %bb.1:
	v_pk_mov_b32 v[2:3], s[0:1], s[0:1] op_sel:[0,1]
	flat_load_dwordx2 v[18:19], v[2:3]
.LBB161_2:
	s_andn2_b64 vcc, exec, s[10:11]
	v_pk_mov_b32 v[16:17], s[8:9], s[8:9] op_sel:[0,1]
	s_cbranch_vccnz .LBB161_4
; %bb.3:
	v_pk_mov_b32 v[2:3], s[8:9], s[8:9] op_sel:[0,1]
	flat_load_dwordx2 v[16:17], v[2:3]
.LBB161_4:
	s_waitcnt vmcnt(0) lgkmcnt(0)
	v_cmp_neq_f64_e32 vcc, 0, v[18:19]
	v_cmp_neq_f64_e64 s[0:1], 1.0, v[16:17]
	s_mov_b64 s[8:9], 0
	s_or_b64 s[0:1], vcc, s[0:1]
	s_and_saveexec_b64 s[10:11], s[0:1]
	s_cbranch_execz .LBB161_10
; %bb.5:
	s_load_dwordx2 s[10:11], s[4:5], 0x20
	v_lshrrev_b32_e32 v1, 3, v0
	v_lshl_or_b32 v2, s6, 4, v1
	v_mov_b32_e32 v3, 0
	s_mov_b64 s[0:1], 0
	s_waitcnt lgkmcnt(0)
	s_cmp_lg_u64 s[10:11], 0
	s_cbranch_scc0 .LBB161_11
; %bb.6:
	v_cmp_gt_i64_e32 vcc, s[2:3], v[2:3]
                                        ; implicit-def: $vgpr20_vgpr21
	s_and_saveexec_b64 s[2:3], vcc
	s_xor_b64 s[2:3], exec, s[2:3]
                                        ; implicit-def: $sgpr18_sgpr19
	s_cbranch_execz .LBB161_8
; %bb.7:
	v_lshlrev_b64 v[4:5], 3, v[2:3]
	v_mov_b32_e32 v1, s11
	v_add_co_u32_e32 v4, vcc, s10, v4
	v_addc_co_u32_e32 v5, vcc, v1, v5, vcc
	global_load_dwordx2 v[4:5], v[4:5], off
	s_mov_b64 s[0:1], exec
	s_mov_b32 s19, 0
	s_waitcnt vmcnt(0)
	v_subrev_co_u32_e32 v20, vcc, s16, v4
	v_subbrev_co_u32_e32 v21, vcc, 0, v5, vcc
.LBB161_8:
	s_or_b64 exec, exec, s[2:3]
	s_mov_b64 s[8:9], s[0:1]
.LBB161_9:
	s_and_b64 exec, exec, s[8:9]
	s_cbranch_execnz .LBB161_15
.LBB161_10:
	s_endpgm
.LBB161_11:
                                        ; implicit-def: $vgpr20_vgpr21
                                        ; implicit-def: $sgpr18_sgpr19
	s_cbranch_execz .LBB161_9
; %bb.12:
	s_load_dwordx2 s[0:1], s[4:5], 0x0
                                        ; implicit-def: $vgpr20_vgpr21
	s_waitcnt lgkmcnt(0)
	v_cmp_gt_i64_e32 vcc, s[0:1], v[2:3]
	s_and_saveexec_b64 s[0:1], vcc
                                        ; implicit-def: $sgpr18_sgpr19
; %bb.13:
	s_mov_b32 s19, 0
	s_or_b64 s[8:9], s[8:9], exec
	v_pk_mov_b32 v[20:21], v[2:3], v[2:3] op_sel:[0,1]
; %bb.14:
	s_or_b64 exec, exec, s[0:1]
	s_and_b64 exec, exec, s[8:9]
	s_cbranch_execz .LBB161_10
.LBB161_15:
	s_load_dwordx8 s[8:15], s[4:5], 0x28
	v_lshlrev_b64 v[4:5], 3, v[20:21]
	v_and_b32_e32 v22, 7, v0
	v_mov_b32_e32 v0, s19
	s_waitcnt lgkmcnt(0)
	v_mov_b32_e32 v1, s9
	v_add_co_u32_e32 v6, vcc, s8, v4
	v_addc_co_u32_e32 v7, vcc, v1, v5, vcc
	v_add_co_u32_e32 v1, vcc, 8, v6
	global_load_dwordx2 v[2:3], v[6:7], off
	v_addc_co_u32_e32 v6, vcc, 0, v7, vcc
	v_mov_b32_e32 v7, s11
	v_add_co_u32_e32 v4, vcc, s10, v4
	s_cmp_eq_u64 s[10:11], 0
	v_addc_co_u32_e32 v5, vcc, v7, v5, vcc
	s_cselect_b64 vcc, -1, 0
	v_cndmask_b32_e32 v5, v5, v6, vcc
	v_cndmask_b32_e32 v4, v4, v1, vcc
	global_load_dwordx2 v[4:5], v[4:5], off
	s_load_dword s0, s[4:5], 0x8
	s_load_dwordx2 s[6:7], s[4:5], 0x48
	v_mov_b32_e32 v6, s15
	s_waitcnt lgkmcnt(0)
	s_cmp_eq_u32 s0, 1
	s_waitcnt vmcnt(1)
	v_subrev_co_u32_e32 v1, vcc, s16, v2
	v_subb_co_u32_e32 v7, vcc, v3, v0, vcc
	v_add_co_u32_e32 v24, vcc, v1, v22
	v_addc_co_u32_e32 v25, vcc, 0, v7, vcc
	s_waitcnt vmcnt(0)
	v_subrev_co_u32_e32 v26, vcc, s16, v4
	v_subb_co_u32_e32 v27, vcc, v5, v0, vcc
	v_lshlrev_b64 v[0:1], 6, v[24:25]
	v_add_co_u32_e32 v28, vcc, s14, v0
	v_addc_co_u32_e32 v29, vcc, v6, v1, vcc
	v_cmp_lt_i64_e64 s[0:1], v[24:25], v[26:27]
	s_cbranch_scc1 .LBB161_27
; %bb.16:
	v_pk_mov_b32 v[30:31], 0, 0
	s_mov_b64 s[8:9], 0
	v_pk_mov_b32 v[32:33], v[30:31], v[30:31] op_sel:[0,1]
	v_pk_mov_b32 v[34:35], v[30:31], v[30:31] op_sel:[0,1]
	;; [unrolled: 1-line block ×3, first 2 shown]
	s_and_saveexec_b64 s[10:11], s[0:1]
	s_cbranch_execz .LBB161_26
; %bb.17:
	v_or_b32_e32 v0, 8, v22
	v_mov_b32_e32 v1, s19
	v_subrev_co_u32_e32 v0, vcc, s16, v0
	v_subb_co_u32_e32 v1, vcc, 0, v1, vcc
	v_add_co_u32_e32 v0, vcc, v0, v2
	v_addc_co_u32_e32 v1, vcc, v1, v3, vcc
	v_cmp_gt_i64_e32 vcc, v[0:1], v[26:27]
	v_cndmask_b32_e32 v1, v27, v1, vcc
	v_cndmask_b32_e32 v0, v26, v0, vcc
	v_mov_b32_e32 v6, s19
	v_sub_co_u32_e32 v7, vcc, s16, v22
	v_not_b32_e32 v5, v2
	v_subbrev_co_u32_e32 v6, vcc, 0, v6, vcc
	v_not_b32_e32 v4, v3
	v_add_co_u32_e32 v5, vcc, v7, v5
	v_addc_co_u32_e32 v4, vcc, v6, v4, vcc
	v_add_co_u32_e32 v6, vcc, v5, v0
	v_lshrrev_b32_e32 v0, 3, v6
	v_add_u32_e32 v0, 1, v0
	v_addc_co_u32_e32 v7, vcc, v4, v1, vcc
	v_and_b32_e32 v8, 3, v0
	v_pk_mov_b32 v[36:37], 0, 0
	v_cmp_ne_u32_e32 vcc, 0, v8
	s_mov_b64 s[20:21], 0
	v_pk_mov_b32 v[34:35], v[36:37], v[36:37] op_sel:[0,1]
	v_pk_mov_b32 v[32:33], v[36:37], v[36:37] op_sel:[0,1]
	;; [unrolled: 1-line block ×5, first 2 shown]
	s_and_saveexec_b64 s[14:15], vcc
	s_cbranch_execz .LBB161_21
; %bb.18:
	v_lshlrev_b64 v[0:1], 3, v[24:25]
	v_mov_b32_e32 v4, s13
	v_add_co_u32_e32 v10, vcc, s12, v0
	v_pk_mov_b32 v[30:31], 0, 0
	v_mov_b32_e32 v9, 0
	v_addc_co_u32_e32 v11, vcc, v4, v1, vcc
	v_lshlrev_b32_e32 v8, 3, v8
	s_movk_i32 s17, 0x200
	v_mov_b32_e32 v12, s19
	v_mov_b32_e32 v13, s7
	v_pk_mov_b32 v[4:5], v[28:29], v[28:29] op_sel:[0,1]
	v_pk_mov_b32 v[0:1], v[24:25], v[24:25] op_sel:[0,1]
	v_pk_mov_b32 v[32:33], v[30:31], v[30:31] op_sel:[0,1]
	v_pk_mov_b32 v[34:35], v[30:31], v[30:31] op_sel:[0,1]
	v_pk_mov_b32 v[36:37], v[30:31], v[30:31] op_sel:[0,1]
.LBB161_19:                             ; =>This Inner Loop Header: Depth=1
	global_load_dwordx2 v[14:15], v[10:11], off
	global_load_dwordx4 v[38:41], v[4:5], off
	global_load_dwordx4 v[42:45], v[4:5], off offset:16
	global_load_dwordx4 v[46:49], v[4:5], off offset:48
	;; [unrolled: 1-line block ×3, first 2 shown]
	v_add_co_u32_e64 v0, s[2:3], 8, v0
	v_addc_co_u32_e64 v1, s[2:3], 0, v1, s[2:3]
	v_add_co_u32_e64 v10, s[2:3], 64, v10
	v_addc_co_u32_e64 v11, s[2:3], 0, v11, s[2:3]
	v_add_co_u32_e64 v8, s[2:3], -8, v8
	v_addc_co_u32_e64 v9, s[2:3], -1, v9, s[2:3]
	s_waitcnt vmcnt(4)
	v_subrev_co_u32_e32 v14, vcc, s16, v14
	v_subb_co_u32_e32 v15, vcc, v15, v12, vcc
	v_lshlrev_b64 v[14:15], 5, v[14:15]
	v_add_co_u32_e32 v14, vcc, s6, v14
	v_addc_co_u32_e32 v15, vcc, v13, v15, vcc
	global_load_dwordx4 v[54:57], v[14:15], off
	global_load_dwordx4 v[58:61], v[14:15], off offset:16
	s_waitcnt vmcnt(5)
	v_cvt_f64_f32_e32 v[14:15], v38
	s_waitcnt vmcnt(4)
	v_cvt_f64_f32_e32 v[64:65], v42
	;; [unrolled: 2-line block ×3, first 2 shown]
	v_cvt_f64_f32_e32 v[72:73], v46
	v_add_co_u32_e32 v4, vcc, s17, v4
	v_cvt_f64_f32_e32 v[38:39], v39
	v_cvt_f64_f32_e32 v[42:43], v43
	;; [unrolled: 1-line block ×4, first 2 shown]
	v_addc_co_u32_e32 v5, vcc, 0, v5, vcc
	v_cvt_f64_f32_e32 v[62:63], v40
	v_cvt_f64_f32_e32 v[66:67], v44
	;; [unrolled: 1-line block ×4, first 2 shown]
	v_cmp_eq_u64_e32 vcc, 0, v[8:9]
	v_cvt_f64_f32_e32 v[40:41], v41
	v_cvt_f64_f32_e32 v[44:45], v45
	;; [unrolled: 1-line block ×4, first 2 shown]
	s_or_b64 s[20:21], vcc, s[20:21]
	s_waitcnt vmcnt(1)
	v_fmac_f64_e32 v[36:37], v[14:15], v[54:55]
	v_fmac_f64_e32 v[34:35], v[64:65], v[54:55]
	;; [unrolled: 1-line block ×8, first 2 shown]
	s_waitcnt vmcnt(0)
	v_fmac_f64_e32 v[36:37], v[62:63], v[58:59]
	v_fmac_f64_e32 v[34:35], v[66:67], v[58:59]
	;; [unrolled: 1-line block ×8, first 2 shown]
	s_andn2_b64 exec, exec, s[20:21]
	s_cbranch_execnz .LBB161_19
; %bb.20:
	s_or_b64 exec, exec, s[20:21]
.LBB161_21:
	s_or_b64 exec, exec, s[14:15]
	v_cmp_lt_u64_e32 vcc, 23, v[6:7]
	s_and_saveexec_b64 s[2:3], vcc
	s_cbranch_execz .LBB161_25
; %bb.22:
	v_lshlrev_b64 v[6:7], 3, v[0:1]
	v_mov_b32_e32 v8, s13
	v_add_co_u32_e32 v6, vcc, s12, v6
	v_addc_co_u32_e32 v7, vcc, v7, v8, vcc
	v_add_co_u32_e32 v6, vcc, 0x80, v6
	v_addc_co_u32_e32 v7, vcc, 0, v7, vcc
	s_mov_b64 s[14:15], 0
	v_mov_b32_e32 v8, s19
	v_mov_b32_e32 v9, s7
	s_movk_i32 s17, 0x800
.LBB161_23:                             ; =>This Inner Loop Header: Depth=1
	global_load_dwordx2 v[10:11], v[6:7], off offset:-128
	s_waitcnt vmcnt(0)
	v_subrev_co_u32_e32 v14, vcc, s16, v10
	v_subb_co_u32_e32 v15, vcc, v11, v8, vcc
	v_lshlrev_b64 v[14:15], 5, v[14:15]
	v_add_co_u32_e32 v14, vcc, s6, v14
	global_load_dwordx4 v[10:13], v[4:5], off offset:48
	global_load_dwordx4 v[38:41], v[4:5], off offset:32
	global_load_dwordx4 v[42:45], v[4:5], off offset:16
	global_load_dwordx4 v[46:49], v[4:5], off
	v_addc_co_u32_e32 v15, vcc, v9, v15, vcc
	global_load_dwordx4 v[50:53], v[14:15], off offset:16
	global_load_dwordx4 v[54:57], v[14:15], off
	s_waitcnt vmcnt(2)
	v_cvt_f64_f32_e32 v[58:59], v46
	v_cvt_f64_f32_e32 v[14:15], v47
	s_waitcnt vmcnt(0)
	v_fmac_f64_e32 v[36:37], v[58:59], v[54:55]
	v_fmac_f64_e32 v[36:37], v[14:15], v[56:57]
	v_cvt_f64_f32_e32 v[14:15], v48
	v_fmac_f64_e32 v[36:37], v[14:15], v[50:51]
	v_cvt_f64_f32_e32 v[14:15], v49
	;; [unrolled: 2-line block ×14, first 2 shown]
	v_fmac_f64_e32 v[30:31], v[10:11], v[52:53]
	global_load_dwordx2 v[10:11], v[6:7], off offset:-64
	s_waitcnt vmcnt(0)
	v_subrev_co_u32_e32 v14, vcc, s16, v10
	v_subb_co_u32_e32 v15, vcc, v11, v8, vcc
	v_lshlrev_b64 v[14:15], 5, v[14:15]
	v_add_co_u32_e32 v14, vcc, s6, v14
	global_load_dwordx4 v[10:13], v[4:5], off offset:560
	global_load_dwordx4 v[38:41], v[4:5], off offset:544
	;; [unrolled: 1-line block ×4, first 2 shown]
	v_addc_co_u32_e32 v15, vcc, v9, v15, vcc
	global_load_dwordx4 v[50:53], v[14:15], off offset:16
	global_load_dwordx4 v[54:57], v[14:15], off
	s_waitcnt vmcnt(2)
	v_cvt_f64_f32_e32 v[58:59], v46
	v_cvt_f64_f32_e32 v[14:15], v47
	s_waitcnt vmcnt(0)
	v_fmac_f64_e32 v[36:37], v[58:59], v[54:55]
	v_fmac_f64_e32 v[36:37], v[14:15], v[56:57]
	v_cvt_f64_f32_e32 v[14:15], v48
	v_fmac_f64_e32 v[36:37], v[14:15], v[50:51]
	v_cvt_f64_f32_e32 v[14:15], v49
	;; [unrolled: 2-line block ×14, first 2 shown]
	v_fmac_f64_e32 v[30:31], v[10:11], v[52:53]
	global_load_dwordx2 v[10:11], v[6:7], off
	s_waitcnt vmcnt(0)
	v_subrev_co_u32_e32 v14, vcc, s16, v10
	v_subb_co_u32_e32 v15, vcc, v11, v8, vcc
	v_lshlrev_b64 v[14:15], 5, v[14:15]
	v_add_co_u32_e32 v14, vcc, s6, v14
	global_load_dwordx4 v[10:13], v[4:5], off offset:1072
	global_load_dwordx4 v[38:41], v[4:5], off offset:1056
	;; [unrolled: 1-line block ×4, first 2 shown]
	v_addc_co_u32_e32 v15, vcc, v9, v15, vcc
	global_load_dwordx4 v[50:53], v[14:15], off offset:16
	global_load_dwordx4 v[54:57], v[14:15], off
	s_waitcnt vmcnt(2)
	v_cvt_f64_f32_e32 v[58:59], v46
	v_cvt_f64_f32_e32 v[14:15], v47
	s_waitcnt vmcnt(0)
	v_fmac_f64_e32 v[36:37], v[58:59], v[54:55]
	v_fmac_f64_e32 v[36:37], v[14:15], v[56:57]
	v_cvt_f64_f32_e32 v[14:15], v48
	v_fmac_f64_e32 v[36:37], v[14:15], v[50:51]
	v_cvt_f64_f32_e32 v[14:15], v49
	;; [unrolled: 2-line block ×14, first 2 shown]
	v_fmac_f64_e32 v[30:31], v[10:11], v[52:53]
	global_load_dwordx2 v[10:11], v[6:7], off offset:64
	s_waitcnt vmcnt(0)
	v_subrev_co_u32_e32 v14, vcc, s16, v10
	v_subb_co_u32_e32 v15, vcc, v11, v8, vcc
	v_lshlrev_b64 v[14:15], 5, v[14:15]
	v_add_co_u32_e32 v14, vcc, s6, v14
	global_load_dwordx4 v[10:13], v[4:5], off offset:1584
	global_load_dwordx4 v[38:41], v[4:5], off offset:1568
	;; [unrolled: 1-line block ×4, first 2 shown]
	v_addc_co_u32_e32 v15, vcc, v9, v15, vcc
	global_load_dwordx4 v[50:53], v[14:15], off offset:16
	global_load_dwordx4 v[54:57], v[14:15], off
	v_add_co_u32_e32 v4, vcc, s17, v4
	v_addc_co_u32_e32 v5, vcc, 0, v5, vcc
	v_add_co_u32_e32 v0, vcc, 32, v0
	v_addc_co_u32_e32 v1, vcc, 0, v1, vcc
	;; [unrolled: 2-line block ×3, first 2 shown]
	v_cmp_ge_i64_e32 vcc, v[0:1], v[26:27]
	s_or_b64 s[14:15], vcc, s[14:15]
	s_waitcnt vmcnt(2)
	v_cvt_f64_f32_e32 v[58:59], v46
	v_cvt_f64_f32_e32 v[14:15], v47
	s_waitcnt vmcnt(0)
	v_fmac_f64_e32 v[36:37], v[58:59], v[54:55]
	v_fmac_f64_e32 v[36:37], v[14:15], v[56:57]
	v_cvt_f64_f32_e32 v[14:15], v48
	v_fmac_f64_e32 v[36:37], v[14:15], v[50:51]
	v_cvt_f64_f32_e32 v[14:15], v49
	;; [unrolled: 2-line block ×14, first 2 shown]
	v_fmac_f64_e32 v[30:31], v[10:11], v[52:53]
	s_andn2_b64 exec, exec, s[14:15]
	s_cbranch_execnz .LBB161_23
; %bb.24:
	s_or_b64 exec, exec, s[14:15]
.LBB161_25:
	s_or_b64 exec, exec, s[2:3]
.LBB161_26:
	s_or_b64 exec, exec, s[10:11]
	s_andn2_b64 vcc, exec, s[8:9]
	s_cbranch_vccz .LBB161_28
	s_branch .LBB161_39
.LBB161_27:
                                        ; implicit-def: $vgpr30_vgpr31
                                        ; implicit-def: $vgpr32_vgpr33
                                        ; implicit-def: $vgpr34_vgpr35
                                        ; implicit-def: $vgpr36_vgpr37
.LBB161_28:
	v_pk_mov_b32 v[30:31], 0, 0
	v_pk_mov_b32 v[32:33], v[30:31], v[30:31] op_sel:[0,1]
	v_pk_mov_b32 v[34:35], v[30:31], v[30:31] op_sel:[0,1]
	;; [unrolled: 1-line block ×3, first 2 shown]
	s_and_saveexec_b64 s[2:3], s[0:1]
	s_cbranch_execz .LBB161_38
; %bb.29:
	v_or_b32_e32 v0, 8, v22
	v_mov_b32_e32 v1, s19
	v_subrev_co_u32_e32 v0, vcc, s16, v0
	v_subb_co_u32_e32 v1, vcc, 0, v1, vcc
	v_add_co_u32_e32 v0, vcc, v0, v2
	v_addc_co_u32_e32 v1, vcc, v1, v3, vcc
	v_cmp_gt_i64_e32 vcc, v[0:1], v[26:27]
	v_cndmask_b32_e32 v1, v27, v1, vcc
	v_cndmask_b32_e32 v0, v26, v0, vcc
	v_mov_b32_e32 v4, s19
	v_sub_co_u32_e32 v5, vcc, s16, v22
	v_not_b32_e32 v2, v2
	v_subbrev_co_u32_e32 v4, vcc, 0, v4, vcc
	v_not_b32_e32 v3, v3
	v_add_co_u32_e32 v2, vcc, v5, v2
	v_addc_co_u32_e32 v3, vcc, v4, v3, vcc
	v_add_co_u32_e32 v0, vcc, v2, v0
	v_lshrrev_b32_e32 v2, 3, v0
	v_add_u32_e32 v2, 1, v2
	v_addc_co_u32_e32 v1, vcc, v3, v1, vcc
	v_and_b32_e32 v2, 3, v2
	v_pk_mov_b32 v[36:37], 0, 0
	v_cmp_ne_u32_e32 vcc, 0, v2
	s_mov_b64 s[10:11], 0
	v_pk_mov_b32 v[34:35], v[36:37], v[36:37] op_sel:[0,1]
	v_pk_mov_b32 v[32:33], v[36:37], v[36:37] op_sel:[0,1]
	;; [unrolled: 1-line block ×3, first 2 shown]
	s_and_saveexec_b64 s[8:9], vcc
	s_cbranch_execz .LBB161_33
; %bb.30:
	v_lshlrev_b64 v[4:5], 3, v[24:25]
	v_mov_b32_e32 v6, s13
	v_add_co_u32_e32 v4, vcc, s12, v4
	v_pk_mov_b32 v[30:31], 0, 0
	v_mov_b32_e32 v3, 0
	v_addc_co_u32_e32 v5, vcc, v6, v5, vcc
	v_lshlrev_b32_e32 v2, 3, v2
	s_movk_i32 s14, 0x200
	v_mov_b32_e32 v6, s19
	v_mov_b32_e32 v7, s7
	v_pk_mov_b32 v[32:33], v[30:31], v[30:31] op_sel:[0,1]
	v_pk_mov_b32 v[34:35], v[30:31], v[30:31] op_sel:[0,1]
	;; [unrolled: 1-line block ×3, first 2 shown]
.LBB161_31:                             ; =>This Inner Loop Header: Depth=1
	global_load_dwordx2 v[42:43], v[4:5], off
	global_load_dwordx4 v[8:11], v[28:29], off offset:32
	global_load_dwordx4 v[12:15], v[28:29], off offset:16
	global_load_dwordx4 v[38:41], v[28:29], off
	v_add_co_u32_e64 v24, s[0:1], 8, v24
	v_addc_co_u32_e64 v25, s[0:1], 0, v25, s[0:1]
	v_add_co_u32_e64 v4, s[0:1], 64, v4
	v_addc_co_u32_e64 v5, s[0:1], 0, v5, s[0:1]
	v_add_co_u32_e64 v2, s[0:1], -8, v2
	v_addc_co_u32_e64 v3, s[0:1], -1, v3, s[0:1]
	s_waitcnt vmcnt(3)
	v_subrev_co_u32_e32 v42, vcc, s16, v42
	v_subb_co_u32_e32 v43, vcc, v43, v6, vcc
	v_lshlrev_b64 v[42:43], 5, v[42:43]
	v_add_co_u32_e32 v54, vcc, s6, v42
	v_addc_co_u32_e32 v55, vcc, v7, v43, vcc
	global_load_dwordx4 v[42:45], v[54:55], off offset:16
	global_load_dwordx4 v[46:49], v[54:55], off
	global_load_dwordx4 v[50:53], v[28:29], off offset:48
	s_waitcnt vmcnt(3)
	v_cvt_f64_f32_e32 v[54:55], v38
	v_cvt_f64_f32_e32 v[38:39], v39
	;; [unrolled: 1-line block ×4, first 2 shown]
	v_add_co_u32_e32 v28, vcc, s14, v28
	v_cvt_f64_f32_e32 v[58:59], v12
	v_cvt_f64_f32_e32 v[12:13], v13
	v_cvt_f64_f32_e32 v[60:61], v14
	v_cvt_f64_f32_e32 v[14:15], v15
	v_addc_co_u32_e32 v29, vcc, 0, v29, vcc
	v_cvt_f64_f32_e32 v[62:63], v8
	v_cvt_f64_f32_e32 v[8:9], v9
	;; [unrolled: 1-line block ×4, first 2 shown]
	v_cmp_eq_u64_e32 vcc, 0, v[2:3]
	s_or_b64 s[10:11], vcc, s[10:11]
	s_waitcnt vmcnt(1)
	v_fmac_f64_e32 v[36:37], v[54:55], v[46:47]
	v_fmac_f64_e32 v[34:35], v[38:39], v[46:47]
	;; [unrolled: 1-line block ×8, first 2 shown]
	s_waitcnt vmcnt(0)
	v_cvt_f64_f32_e32 v[66:67], v50
	v_cvt_f64_f32_e32 v[50:51], v51
	;; [unrolled: 1-line block ×4, first 2 shown]
	v_fmac_f64_e32 v[36:37], v[62:63], v[42:43]
	v_fmac_f64_e32 v[34:35], v[8:9], v[42:43]
	v_fmac_f64_e32 v[32:33], v[64:65], v[42:43]
	v_fmac_f64_e32 v[30:31], v[10:11], v[42:43]
	v_fmac_f64_e32 v[36:37], v[66:67], v[44:45]
	v_fmac_f64_e32 v[34:35], v[50:51], v[44:45]
	v_fmac_f64_e32 v[32:33], v[68:69], v[44:45]
	v_fmac_f64_e32 v[30:31], v[52:53], v[44:45]
	s_andn2_b64 exec, exec, s[10:11]
	s_cbranch_execnz .LBB161_31
; %bb.32:
	s_or_b64 exec, exec, s[10:11]
.LBB161_33:
	s_or_b64 exec, exec, s[8:9]
	v_cmp_lt_u64_e32 vcc, 23, v[0:1]
	s_and_saveexec_b64 s[8:9], vcc
	s_cbranch_execz .LBB161_37
; %bb.34:
	v_lshlrev_b64 v[0:1], 3, v[24:25]
	v_mov_b32_e32 v2, s13
	v_add_co_u32_e32 v0, vcc, s12, v0
	v_addc_co_u32_e32 v1, vcc, v1, v2, vcc
	v_add_co_u32_e32 v38, vcc, 0x80, v0
	v_addc_co_u32_e32 v39, vcc, 0, v1, vcc
	s_mov_b64 s[10:11], 0
	v_mov_b32_e32 v23, s19
	v_mov_b32_e32 v88, s7
	s_movk_i32 s7, 0x800
.LBB161_35:                             ; =>This Inner Loop Header: Depth=1
	global_load_dwordx4 v[12:15], v[28:29], off
	global_load_dwordx4 v[8:11], v[28:29], off offset:16
	global_load_dwordx4 v[4:7], v[28:29], off offset:32
	;; [unrolled: 1-line block ×7, first 2 shown]
	s_waitcnt vmcnt(7)
	v_cvt_f64_f32_e32 v[56:57], v12
	v_cvt_f64_f32_e32 v[12:13], v13
	s_waitcnt vmcnt(6)
	v_cvt_f64_f32_e32 v[60:61], v8
	s_waitcnt vmcnt(4)
	v_cvt_f64_f32_e32 v[74:75], v0
	v_cvt_f64_f32_e32 v[76:77], v1
	global_load_dwordx2 v[0:1], v[38:39], off offset:-128
	s_waitcnt vmcnt(4)
	v_cvt_f64_f32_e32 v[82:83], v40
	v_cvt_f64_f32_e32 v[84:85], v41
	;; [unrolled: 1-line block ×11, first 2 shown]
	global_load_dwordx4 v[4:7], v[28:29], off offset:1024
	v_cvt_f64_f32_e32 v[58:59], v14
	v_cvt_f64_f32_e32 v[14:15], v15
	;; [unrolled: 1-line block ×4, first 2 shown]
	s_waitcnt vmcnt(4)
	v_cvt_f64_f32_e32 v[92:93], v44
	v_cvt_f64_f32_e32 v[94:95], v45
	;; [unrolled: 1-line block ×4, first 2 shown]
	s_waitcnt vmcnt(2)
	v_cvt_f64_f32_e32 v[108:109], v52
	v_cvt_f64_f32_e32 v[110:111], v53
	;; [unrolled: 1-line block ×8, first 2 shown]
	s_waitcnt vmcnt(1)
	v_subrev_co_u32_e32 v0, vcc, s16, v0
	v_subb_co_u32_e32 v1, vcc, v1, v23, vcc
	v_lshlrev_b64 v[0:1], 5, v[0:1]
	v_add_co_u32_e32 v40, vcc, s6, v0
	v_addc_co_u32_e32 v41, vcc, v88, v1, vcc
	global_load_dwordx4 v[0:3], v[40:41], off
	s_waitcnt vmcnt(0)
	v_fmac_f64_e32 v[34:35], v[12:13], v[0:1]
	v_fmac_f64_e32 v[34:35], v[8:9], v[2:3]
	global_load_dwordx4 v[8:11], v[28:29], off offset:1040
	v_fmac_f64_e32 v[36:37], v[56:57], v[0:1]
	v_fmac_f64_e32 v[32:33], v[58:59], v[0:1]
	;; [unrolled: 1-line block ×3, first 2 shown]
	v_cvt_f64_f32_e32 v[52:53], v6
	v_cvt_f64_f32_e32 v[54:55], v7
	v_fmac_f64_e32 v[36:37], v[60:61], v[2:3]
	v_fmac_f64_e32 v[32:33], v[62:63], v[2:3]
	;; [unrolled: 1-line block ×3, first 2 shown]
	v_cvt_f64_f32_e32 v[48:49], v4
	v_cvt_f64_f32_e32 v[50:51], v5
	global_load_dwordx4 v[60:63], v[28:29], off offset:1536
	global_load_dwordx4 v[56:59], v[28:29], off offset:1072
	s_waitcnt vmcnt(2)
	v_cvt_f64_f32_e32 v[42:43], v10
	v_cvt_f64_f32_e32 v[0:1], v11
	global_load_dwordx4 v[10:13], v[40:41], off offset:16
	v_cvt_f64_f32_e32 v[44:45], v8
	v_cvt_f64_f32_e32 v[46:47], v9
	global_load_dwordx4 v[6:9], v[28:29], off offset:1056
	s_waitcnt vmcnt(2)
	v_cvt_f64_f32_e32 v[14:15], v58
	v_cvt_f64_f32_e32 v[40:41], v59
	s_waitcnt vmcnt(1)
	v_fmac_f64_e32 v[36:37], v[66:67], v[10:11]
	v_fmac_f64_e32 v[34:35], v[68:69], v[10:11]
	;; [unrolled: 1-line block ×8, first 2 shown]
	v_cvt_f64_f32_e32 v[10:11], v56
	v_cvt_f64_f32_e32 v[12:13], v57
	global_load_dwordx2 v[56:57], v[38:39], off offset:-64
	global_load_dwordx4 v[68:71], v[28:29], off offset:1552
	global_load_dwordx4 v[76:79], v[28:29], off offset:1568
	s_waitcnt vmcnt(3)
	v_cvt_f64_f32_e32 v[2:3], v6
	v_cvt_f64_f32_e32 v[4:5], v7
	;; [unrolled: 1-line block ×4, first 2 shown]
	s_waitcnt vmcnt(2)
	v_subrev_co_u32_e32 v56, vcc, s16, v56
	v_subb_co_u32_e32 v57, vcc, v57, v23, vcc
	v_lshlrev_b64 v[56:57], 5, v[56:57]
	v_add_co_u32_e32 v80, vcc, s6, v56
	v_addc_co_u32_e32 v81, vcc, v88, v57, vcc
	global_load_dwordx4 v[56:59], v[80:81], off
	s_waitcnt vmcnt(2)
	v_cvt_f64_f32_e32 v[64:65], v68
	v_cvt_f64_f32_e32 v[66:67], v69
	;; [unrolled: 1-line block ×4, first 2 shown]
	s_waitcnt vmcnt(0)
	v_fmac_f64_e32 v[30:31], v[90:91], v[56:57]
	global_load_dwordx2 v[90:91], v[38:39], off
	v_fmac_f64_e32 v[36:37], v[82:83], v[56:57]
	v_fmac_f64_e32 v[36:37], v[92:93], v[58:59]
	global_load_dwordx2 v[92:93], v[38:39], off offset:64
	v_fmac_f64_e32 v[34:35], v[84:85], v[56:57]
	v_fmac_f64_e32 v[34:35], v[94:95], v[58:59]
	;; [unrolled: 1-line block ×3, first 2 shown]
	global_load_dwordx4 v[80:83], v[80:81], off offset:16
	v_fmac_f64_e32 v[32:33], v[96:97], v[58:59]
	v_fmac_f64_e32 v[30:31], v[98:99], v[58:59]
	global_load_dwordx4 v[84:87], v[28:29], off offset:1584
	v_cvt_f64_f32_e32 v[56:57], v60
	v_cvt_f64_f32_e32 v[58:59], v61
	;; [unrolled: 1-line block ×8, first 2 shown]
	s_waitcnt vmcnt(3)
	v_subrev_co_u32_e32 v90, vcc, s16, v90
	v_subb_co_u32_e32 v91, vcc, v91, v23, vcc
	s_waitcnt vmcnt(2)
	v_subrev_co_u32_e32 v92, vcc, s16, v92
	v_subb_co_u32_e32 v93, vcc, v93, v23, vcc
	v_lshlrev_b64 v[90:91], 5, v[90:91]
	v_add_co_u32_e32 v94, vcc, s6, v90
	v_addc_co_u32_e32 v95, vcc, v88, v91, vcc
	v_lshlrev_b64 v[90:91], 5, v[92:93]
	v_add_co_u32_e32 v96, vcc, s6, v90
	v_addc_co_u32_e32 v97, vcc, v88, v91, vcc
	global_load_dwordx4 v[90:93], v[94:95], off
	s_waitcnt vmcnt(2)
	v_fmac_f64_e32 v[36:37], v[100:101], v[80:81]
	v_fmac_f64_e32 v[34:35], v[102:103], v[80:81]
	;; [unrolled: 1-line block ×8, first 2 shown]
	v_add_co_u32_e32 v28, vcc, s7, v28
	s_mov_b64 s[0:1], vcc
	v_add_co_u32_e32 v24, vcc, 32, v24
	v_addc_co_u32_e32 v25, vcc, 0, v25, vcc
	v_addc_co_u32_e64 v29, s[0:1], 0, v29, s[0:1]
	s_waitcnt vmcnt(1)
	v_cvt_f64_f32_e32 v[80:81], v84
	v_cvt_f64_f32_e32 v[82:83], v85
	;; [unrolled: 1-line block ×4, first 2 shown]
	v_add_co_u32_e32 v38, vcc, 0x100, v38
	v_cmp_ge_i64_e64 s[0:1], v[24:25], v[26:27]
	v_addc_co_u32_e32 v39, vcc, 0, v39, vcc
	s_or_b64 s[10:11], s[0:1], s[10:11]
	s_waitcnt vmcnt(0)
	v_fmac_f64_e32 v[36:37], v[48:49], v[90:91]
	v_fmac_f64_e32 v[34:35], v[50:51], v[90:91]
	global_load_dwordx4 v[48:51], v[94:95], off offset:16
	v_fmac_f64_e32 v[36:37], v[44:45], v[92:93]
	v_fmac_f64_e32 v[34:35], v[46:47], v[92:93]
	global_load_dwordx4 v[44:47], v[96:97], off
	v_fmac_f64_e32 v[32:33], v[52:53], v[90:91]
	v_fmac_f64_e32 v[30:31], v[54:55], v[90:91]
	global_load_dwordx4 v[52:55], v[96:97], off offset:16
	v_fmac_f64_e32 v[32:33], v[42:43], v[92:93]
	v_fmac_f64_e32 v[30:31], v[0:1], v[92:93]
	s_waitcnt vmcnt(2)
	v_fmac_f64_e32 v[36:37], v[2:3], v[48:49]
	v_fmac_f64_e32 v[34:35], v[4:5], v[48:49]
	v_fmac_f64_e32 v[32:33], v[6:7], v[48:49]
	v_fmac_f64_e32 v[30:31], v[8:9], v[48:49]
	v_fmac_f64_e32 v[36:37], v[10:11], v[50:51]
	v_fmac_f64_e32 v[34:35], v[12:13], v[50:51]
	v_fmac_f64_e32 v[32:33], v[14:15], v[50:51]
	v_fmac_f64_e32 v[30:31], v[40:41], v[50:51]
	s_waitcnt vmcnt(1)
	v_fmac_f64_e32 v[36:37], v[56:57], v[44:45]
	v_fmac_f64_e32 v[34:35], v[58:59], v[44:45]
	v_fmac_f64_e32 v[32:33], v[60:61], v[44:45]
	v_fmac_f64_e32 v[30:31], v[62:63], v[44:45]
	v_fmac_f64_e32 v[36:37], v[64:65], v[46:47]
	v_fmac_f64_e32 v[34:35], v[66:67], v[46:47]
	;; [unrolled: 9-line block ×3, first 2 shown]
	v_fmac_f64_e32 v[32:33], v[84:85], v[54:55]
	v_fmac_f64_e32 v[30:31], v[86:87], v[54:55]
	s_andn2_b64 exec, exec, s[10:11]
	s_cbranch_execnz .LBB161_35
; %bb.36:
	s_or_b64 exec, exec, s[10:11]
.LBB161_37:
	s_or_b64 exec, exec, s[8:9]
.LBB161_38:
	s_or_b64 exec, exec, s[2:3]
.LBB161_39:
	v_mov_b32_dpp v0, v36 row_shr:1 row_mask:0xf bank_mask:0xf
	v_mov_b32_dpp v1, v37 row_shr:1 row_mask:0xf bank_mask:0xf
	v_mov_b32_dpp v4, v34 row_shr:1 row_mask:0xf bank_mask:0xf
	v_mov_b32_dpp v5, v35 row_shr:1 row_mask:0xf bank_mask:0xf
	v_mov_b32_dpp v8, v32 row_shr:1 row_mask:0xf bank_mask:0xf
	v_mov_b32_dpp v9, v33 row_shr:1 row_mask:0xf bank_mask:0xf
	v_mov_b32_dpp v12, v30 row_shr:1 row_mask:0xf bank_mask:0xf
	v_mov_b32_dpp v13, v31 row_shr:1 row_mask:0xf bank_mask:0xf
	v_add_f64 v[0:1], v[36:37], v[0:1]
	v_add_f64 v[4:5], v[34:35], v[4:5]
	;; [unrolled: 1-line block ×4, first 2 shown]
	v_mov_b32_dpp v2, v0 row_shr:2 row_mask:0xf bank_mask:0xf
	v_mov_b32_dpp v3, v1 row_shr:2 row_mask:0xf bank_mask:0xf
	;; [unrolled: 1-line block ×8, first 2 shown]
	v_add_f64 v[0:1], v[0:1], v[2:3]
	v_add_f64 v[4:5], v[4:5], v[6:7]
	;; [unrolled: 1-line block ×4, first 2 shown]
	v_mov_b32_dpp v2, v0 row_shr:4 row_mask:0xf bank_mask:0xe
	v_mov_b32_dpp v3, v1 row_shr:4 row_mask:0xf bank_mask:0xe
	;; [unrolled: 1-line block ×8, first 2 shown]
	v_cmp_eq_u32_e32 vcc, 7, v22
	s_and_b64 exec, exec, vcc
	s_cbranch_execz .LBB161_10
; %bb.40:
	s_load_dwordx2 s[0:1], s[4:5], 0x58
	v_add_f64 v[0:1], v[0:1], v[2:3]
	v_add_f64 v[2:3], v[4:5], v[6:7]
	v_add_f64 v[8:9], v[8:9], v[10:11]
	v_add_f64 v[10:11], v[12:13], v[14:15]
	v_cmp_eq_f64_e32 vcc, 0, v[16:17]
	v_mul_f64 v[4:5], v[18:19], v[0:1]
	v_mul_f64 v[6:7], v[18:19], v[2:3]
	;; [unrolled: 1-line block ×4, first 2 shown]
	v_lshlrev_b64 v[8:9], 5, v[20:21]
	s_and_saveexec_b64 s[2:3], vcc
	s_xor_b64 s[2:3], exec, s[2:3]
	s_cbranch_execz .LBB161_42
; %bb.41:
	s_waitcnt lgkmcnt(0)
	v_mov_b32_e32 v10, s1
	v_add_co_u32_e32 v8, vcc, s0, v8
	v_addc_co_u32_e32 v9, vcc, v10, v9, vcc
	global_store_dwordx4 v[8:9], v[4:7], off
	global_store_dwordx4 v[8:9], v[0:3], off offset:16
                                        ; implicit-def: $vgpr8_vgpr9
                                        ; implicit-def: $vgpr16_vgpr17
                                        ; implicit-def: $vgpr4_vgpr5
                                        ; implicit-def: $vgpr0_vgpr1
.LBB161_42:
	s_andn2_saveexec_b64 s[2:3], s[2:3]
	s_cbranch_execz .LBB161_10
; %bb.43:
	s_waitcnt lgkmcnt(0)
	v_mov_b32_e32 v10, s1
	v_add_co_u32_e32 v18, vcc, s0, v8
	v_addc_co_u32_e32 v19, vcc, v10, v9, vcc
	global_load_dwordx4 v[8:11], v[18:19], off
	global_load_dwordx4 v[12:15], v[18:19], off offset:16
	s_waitcnt vmcnt(1)
	v_fmac_f64_e32 v[4:5], v[16:17], v[8:9]
	v_fmac_f64_e32 v[6:7], v[16:17], v[10:11]
	s_waitcnt vmcnt(0)
	v_fmac_f64_e32 v[0:1], v[16:17], v[12:13]
	v_fmac_f64_e32 v[2:3], v[16:17], v[14:15]
	global_store_dwordx4 v[18:19], v[4:7], off
	global_store_dwordx4 v[18:19], v[0:3], off offset:16
	s_endpgm
	.section	.rodata,"a",@progbits
	.p2align	6, 0x0
	.amdhsa_kernel _ZN9rocsparseL18bsrxmvn_4x4_kernelILj128ELj8EdllfddEEvT3_20rocsparse_direction_NS_24const_host_device_scalarIT1_EES1_PKS1_PKT2_SA_S7_PKT4_PKT5_S5_PT6_21rocsparse_index_base_b
		.amdhsa_group_segment_fixed_size 0
		.amdhsa_private_segment_fixed_size 0
		.amdhsa_kernarg_size 104
		.amdhsa_user_sgpr_count 6
		.amdhsa_user_sgpr_private_segment_buffer 1
		.amdhsa_user_sgpr_dispatch_ptr 0
		.amdhsa_user_sgpr_queue_ptr 0
		.amdhsa_user_sgpr_kernarg_segment_ptr 1
		.amdhsa_user_sgpr_dispatch_id 0
		.amdhsa_user_sgpr_flat_scratch_init 0
		.amdhsa_user_sgpr_kernarg_preload_length 0
		.amdhsa_user_sgpr_kernarg_preload_offset 0
		.amdhsa_user_sgpr_private_segment_size 0
		.amdhsa_uses_dynamic_stack 0
		.amdhsa_system_sgpr_private_segment_wavefront_offset 0
		.amdhsa_system_sgpr_workgroup_id_x 1
		.amdhsa_system_sgpr_workgroup_id_y 0
		.amdhsa_system_sgpr_workgroup_id_z 0
		.amdhsa_system_sgpr_workgroup_info 0
		.amdhsa_system_vgpr_workitem_id 0
		.amdhsa_next_free_vgpr 116
		.amdhsa_next_free_sgpr 22
		.amdhsa_accum_offset 116
		.amdhsa_reserve_vcc 1
		.amdhsa_reserve_flat_scratch 0
		.amdhsa_float_round_mode_32 0
		.amdhsa_float_round_mode_16_64 0
		.amdhsa_float_denorm_mode_32 3
		.amdhsa_float_denorm_mode_16_64 3
		.amdhsa_dx10_clamp 1
		.amdhsa_ieee_mode 1
		.amdhsa_fp16_overflow 0
		.amdhsa_tg_split 0
		.amdhsa_exception_fp_ieee_invalid_op 0
		.amdhsa_exception_fp_denorm_src 0
		.amdhsa_exception_fp_ieee_div_zero 0
		.amdhsa_exception_fp_ieee_overflow 0
		.amdhsa_exception_fp_ieee_underflow 0
		.amdhsa_exception_fp_ieee_inexact 0
		.amdhsa_exception_int_div_zero 0
	.end_amdhsa_kernel
	.section	.text._ZN9rocsparseL18bsrxmvn_4x4_kernelILj128ELj8EdllfddEEvT3_20rocsparse_direction_NS_24const_host_device_scalarIT1_EES1_PKS1_PKT2_SA_S7_PKT4_PKT5_S5_PT6_21rocsparse_index_base_b,"axG",@progbits,_ZN9rocsparseL18bsrxmvn_4x4_kernelILj128ELj8EdllfddEEvT3_20rocsparse_direction_NS_24const_host_device_scalarIT1_EES1_PKS1_PKT2_SA_S7_PKT4_PKT5_S5_PT6_21rocsparse_index_base_b,comdat
.Lfunc_end161:
	.size	_ZN9rocsparseL18bsrxmvn_4x4_kernelILj128ELj8EdllfddEEvT3_20rocsparse_direction_NS_24const_host_device_scalarIT1_EES1_PKS1_PKT2_SA_S7_PKT4_PKT5_S5_PT6_21rocsparse_index_base_b, .Lfunc_end161-_ZN9rocsparseL18bsrxmvn_4x4_kernelILj128ELj8EdllfddEEvT3_20rocsparse_direction_NS_24const_host_device_scalarIT1_EES1_PKS1_PKT2_SA_S7_PKT4_PKT5_S5_PT6_21rocsparse_index_base_b
                                        ; -- End function
	.section	.AMDGPU.csdata,"",@progbits
; Kernel info:
; codeLenInByte = 4172
; NumSgprs: 26
; NumVgprs: 116
; NumAgprs: 0
; TotalNumVgprs: 116
; ScratchSize: 0
; MemoryBound: 0
; FloatMode: 240
; IeeeMode: 1
; LDSByteSize: 0 bytes/workgroup (compile time only)
; SGPRBlocks: 3
; VGPRBlocks: 14
; NumSGPRsForWavesPerEU: 26
; NumVGPRsForWavesPerEU: 116
; AccumOffset: 116
; Occupancy: 4
; WaveLimiterHint : 1
; COMPUTE_PGM_RSRC2:SCRATCH_EN: 0
; COMPUTE_PGM_RSRC2:USER_SGPR: 6
; COMPUTE_PGM_RSRC2:TRAP_HANDLER: 0
; COMPUTE_PGM_RSRC2:TGID_X_EN: 1
; COMPUTE_PGM_RSRC2:TGID_Y_EN: 0
; COMPUTE_PGM_RSRC2:TGID_Z_EN: 0
; COMPUTE_PGM_RSRC2:TIDIG_COMP_CNT: 0
; COMPUTE_PGM_RSRC3_GFX90A:ACCUM_OFFSET: 28
; COMPUTE_PGM_RSRC3_GFX90A:TG_SPLIT: 0
	.section	.text._ZN9rocsparseL18bsrxmvn_4x4_kernelILj128ELj16EdllfddEEvT3_20rocsparse_direction_NS_24const_host_device_scalarIT1_EES1_PKS1_PKT2_SA_S7_PKT4_PKT5_S5_PT6_21rocsparse_index_base_b,"axG",@progbits,_ZN9rocsparseL18bsrxmvn_4x4_kernelILj128ELj16EdllfddEEvT3_20rocsparse_direction_NS_24const_host_device_scalarIT1_EES1_PKS1_PKT2_SA_S7_PKT4_PKT5_S5_PT6_21rocsparse_index_base_b,comdat
	.globl	_ZN9rocsparseL18bsrxmvn_4x4_kernelILj128ELj16EdllfddEEvT3_20rocsparse_direction_NS_24const_host_device_scalarIT1_EES1_PKS1_PKT2_SA_S7_PKT4_PKT5_S5_PT6_21rocsparse_index_base_b ; -- Begin function _ZN9rocsparseL18bsrxmvn_4x4_kernelILj128ELj16EdllfddEEvT3_20rocsparse_direction_NS_24const_host_device_scalarIT1_EES1_PKS1_PKT2_SA_S7_PKT4_PKT5_S5_PT6_21rocsparse_index_base_b
	.p2align	8
	.type	_ZN9rocsparseL18bsrxmvn_4x4_kernelILj128ELj16EdllfddEEvT3_20rocsparse_direction_NS_24const_host_device_scalarIT1_EES1_PKS1_PKT2_SA_S7_PKT4_PKT5_S5_PT6_21rocsparse_index_base_b,@function
_ZN9rocsparseL18bsrxmvn_4x4_kernelILj128ELj16EdllfddEEvT3_20rocsparse_direction_NS_24const_host_device_scalarIT1_EES1_PKS1_PKT2_SA_S7_PKT4_PKT5_S5_PT6_21rocsparse_index_base_b: ; @_ZN9rocsparseL18bsrxmvn_4x4_kernelILj128ELj16EdllfddEEvT3_20rocsparse_direction_NS_24const_host_device_scalarIT1_EES1_PKS1_PKT2_SA_S7_PKT4_PKT5_S5_PT6_21rocsparse_index_base_b
; %bb.0:
	s_load_dwordx2 s[16:17], s[4:5], 0x60
	s_load_dwordx4 s[0:3], s[4:5], 0x10
	s_load_dwordx2 s[8:9], s[4:5], 0x50
	s_waitcnt lgkmcnt(0)
	s_bitcmp1_b32 s17, 0
	s_cselect_b64 s[12:13], -1, 0
	s_xor_b64 s[10:11], s[12:13], -1
	s_and_b64 vcc, exec, s[12:13]
	v_pk_mov_b32 v[18:19], s[0:1], s[0:1] op_sel:[0,1]
	s_cbranch_vccnz .LBB162_2
; %bb.1:
	v_pk_mov_b32 v[2:3], s[0:1], s[0:1] op_sel:[0,1]
	flat_load_dwordx2 v[18:19], v[2:3]
.LBB162_2:
	s_andn2_b64 vcc, exec, s[10:11]
	v_pk_mov_b32 v[16:17], s[8:9], s[8:9] op_sel:[0,1]
	s_cbranch_vccnz .LBB162_4
; %bb.3:
	v_pk_mov_b32 v[2:3], s[8:9], s[8:9] op_sel:[0,1]
	flat_load_dwordx2 v[16:17], v[2:3]
.LBB162_4:
	s_waitcnt vmcnt(0) lgkmcnt(0)
	v_cmp_neq_f64_e32 vcc, 0, v[18:19]
	v_cmp_neq_f64_e64 s[0:1], 1.0, v[16:17]
	s_mov_b64 s[8:9], 0
	s_or_b64 s[0:1], vcc, s[0:1]
	s_and_saveexec_b64 s[10:11], s[0:1]
	s_cbranch_execz .LBB162_10
; %bb.5:
	s_load_dwordx2 s[10:11], s[4:5], 0x20
	v_lshrrev_b32_e32 v1, 4, v0
	v_lshl_or_b32 v2, s6, 3, v1
	v_mov_b32_e32 v3, 0
	s_mov_b64 s[0:1], 0
	s_waitcnt lgkmcnt(0)
	s_cmp_lg_u64 s[10:11], 0
	s_cbranch_scc0 .LBB162_11
; %bb.6:
	v_cmp_gt_i64_e32 vcc, s[2:3], v[2:3]
                                        ; implicit-def: $vgpr20_vgpr21
	s_and_saveexec_b64 s[2:3], vcc
	s_xor_b64 s[2:3], exec, s[2:3]
                                        ; implicit-def: $sgpr18_sgpr19
	s_cbranch_execz .LBB162_8
; %bb.7:
	v_lshlrev_b64 v[4:5], 3, v[2:3]
	v_mov_b32_e32 v1, s11
	v_add_co_u32_e32 v4, vcc, s10, v4
	v_addc_co_u32_e32 v5, vcc, v1, v5, vcc
	global_load_dwordx2 v[4:5], v[4:5], off
	s_mov_b64 s[0:1], exec
	s_mov_b32 s19, 0
	s_waitcnt vmcnt(0)
	v_subrev_co_u32_e32 v20, vcc, s16, v4
	v_subbrev_co_u32_e32 v21, vcc, 0, v5, vcc
.LBB162_8:
	s_or_b64 exec, exec, s[2:3]
	s_mov_b64 s[8:9], s[0:1]
.LBB162_9:
	s_and_b64 exec, exec, s[8:9]
	s_cbranch_execnz .LBB162_15
.LBB162_10:
	s_endpgm
.LBB162_11:
                                        ; implicit-def: $vgpr20_vgpr21
                                        ; implicit-def: $sgpr18_sgpr19
	s_cbranch_execz .LBB162_9
; %bb.12:
	s_load_dwordx2 s[0:1], s[4:5], 0x0
                                        ; implicit-def: $vgpr20_vgpr21
	s_waitcnt lgkmcnt(0)
	v_cmp_gt_i64_e32 vcc, s[0:1], v[2:3]
	s_and_saveexec_b64 s[0:1], vcc
                                        ; implicit-def: $sgpr18_sgpr19
; %bb.13:
	s_mov_b32 s19, 0
	s_or_b64 s[8:9], s[8:9], exec
	v_pk_mov_b32 v[20:21], v[2:3], v[2:3] op_sel:[0,1]
; %bb.14:
	s_or_b64 exec, exec, s[0:1]
	s_and_b64 exec, exec, s[8:9]
	s_cbranch_execz .LBB162_10
.LBB162_15:
	s_load_dwordx8 s[8:15], s[4:5], 0x28
	v_lshlrev_b64 v[4:5], 3, v[20:21]
	v_and_b32_e32 v22, 15, v0
	v_mov_b32_e32 v0, s19
	s_waitcnt lgkmcnt(0)
	v_mov_b32_e32 v1, s9
	v_add_co_u32_e32 v6, vcc, s8, v4
	v_addc_co_u32_e32 v7, vcc, v1, v5, vcc
	v_add_co_u32_e32 v1, vcc, 8, v6
	global_load_dwordx2 v[2:3], v[6:7], off
	v_addc_co_u32_e32 v6, vcc, 0, v7, vcc
	v_mov_b32_e32 v7, s11
	v_add_co_u32_e32 v4, vcc, s10, v4
	s_cmp_eq_u64 s[10:11], 0
	v_addc_co_u32_e32 v5, vcc, v7, v5, vcc
	s_cselect_b64 vcc, -1, 0
	v_cndmask_b32_e32 v5, v5, v6, vcc
	v_cndmask_b32_e32 v4, v4, v1, vcc
	global_load_dwordx2 v[4:5], v[4:5], off
	s_load_dword s0, s[4:5], 0x8
	s_load_dwordx2 s[6:7], s[4:5], 0x48
	v_mov_b32_e32 v6, s15
	s_waitcnt lgkmcnt(0)
	s_cmp_eq_u32 s0, 1
	s_waitcnt vmcnt(1)
	v_subrev_co_u32_e32 v1, vcc, s16, v2
	v_subb_co_u32_e32 v7, vcc, v3, v0, vcc
	v_add_co_u32_e32 v24, vcc, v1, v22
	v_addc_co_u32_e32 v25, vcc, 0, v7, vcc
	s_waitcnt vmcnt(0)
	v_subrev_co_u32_e32 v26, vcc, s16, v4
	v_subb_co_u32_e32 v27, vcc, v5, v0, vcc
	v_lshlrev_b64 v[0:1], 6, v[24:25]
	v_add_co_u32_e32 v28, vcc, s14, v0
	v_addc_co_u32_e32 v29, vcc, v6, v1, vcc
	v_cmp_lt_i64_e64 s[0:1], v[24:25], v[26:27]
	s_cbranch_scc1 .LBB162_27
; %bb.16:
	v_pk_mov_b32 v[30:31], 0, 0
	s_mov_b64 s[8:9], 0
	v_pk_mov_b32 v[32:33], v[30:31], v[30:31] op_sel:[0,1]
	v_pk_mov_b32 v[34:35], v[30:31], v[30:31] op_sel:[0,1]
	;; [unrolled: 1-line block ×3, first 2 shown]
	s_and_saveexec_b64 s[10:11], s[0:1]
	s_cbranch_execz .LBB162_26
; %bb.17:
	v_or_b32_e32 v0, 16, v22
	v_mov_b32_e32 v1, s19
	v_subrev_co_u32_e32 v0, vcc, s16, v0
	v_subb_co_u32_e32 v1, vcc, 0, v1, vcc
	v_add_co_u32_e32 v0, vcc, v0, v2
	v_addc_co_u32_e32 v1, vcc, v1, v3, vcc
	v_cmp_gt_i64_e32 vcc, v[0:1], v[26:27]
	v_cndmask_b32_e32 v1, v27, v1, vcc
	v_cndmask_b32_e32 v0, v26, v0, vcc
	v_mov_b32_e32 v6, s19
	v_sub_co_u32_e32 v7, vcc, s16, v22
	v_not_b32_e32 v5, v2
	v_subbrev_co_u32_e32 v6, vcc, 0, v6, vcc
	v_not_b32_e32 v4, v3
	v_add_co_u32_e32 v5, vcc, v7, v5
	v_addc_co_u32_e32 v4, vcc, v6, v4, vcc
	v_add_co_u32_e32 v6, vcc, v5, v0
	v_lshrrev_b32_e32 v0, 4, v6
	v_add_u32_e32 v0, 1, v0
	v_addc_co_u32_e32 v7, vcc, v4, v1, vcc
	v_and_b32_e32 v8, 3, v0
	v_pk_mov_b32 v[36:37], 0, 0
	v_cmp_ne_u32_e32 vcc, 0, v8
	s_mov_b64 s[20:21], 0
	v_pk_mov_b32 v[34:35], v[36:37], v[36:37] op_sel:[0,1]
	v_pk_mov_b32 v[32:33], v[36:37], v[36:37] op_sel:[0,1]
	;; [unrolled: 1-line block ×5, first 2 shown]
	s_and_saveexec_b64 s[14:15], vcc
	s_cbranch_execz .LBB162_21
; %bb.18:
	v_lshlrev_b64 v[0:1], 3, v[24:25]
	v_mov_b32_e32 v4, s13
	v_add_co_u32_e32 v10, vcc, s12, v0
	v_pk_mov_b32 v[30:31], 0, 0
	v_mov_b32_e32 v9, 0
	v_addc_co_u32_e32 v11, vcc, v4, v1, vcc
	v_lshlrev_b32_e32 v8, 3, v8
	s_movk_i32 s17, 0x400
	v_mov_b32_e32 v12, s19
	v_mov_b32_e32 v13, s7
	v_pk_mov_b32 v[4:5], v[28:29], v[28:29] op_sel:[0,1]
	v_pk_mov_b32 v[0:1], v[24:25], v[24:25] op_sel:[0,1]
	;; [unrolled: 1-line block ×5, first 2 shown]
.LBB162_19:                             ; =>This Inner Loop Header: Depth=1
	global_load_dwordx2 v[14:15], v[10:11], off
	global_load_dwordx4 v[38:41], v[4:5], off
	global_load_dwordx4 v[42:45], v[4:5], off offset:16
	global_load_dwordx4 v[46:49], v[4:5], off offset:48
	;; [unrolled: 1-line block ×3, first 2 shown]
	v_add_co_u32_e64 v0, s[2:3], 16, v0
	v_addc_co_u32_e64 v1, s[2:3], 0, v1, s[2:3]
	v_add_co_u32_e64 v8, s[2:3], -8, v8
	v_addc_co_u32_e64 v9, s[2:3], -1, v9, s[2:3]
	v_cmp_eq_u64_e64 s[2:3], 0, v[8:9]
	s_or_b64 s[20:21], s[2:3], s[20:21]
	s_waitcnt vmcnt(4)
	v_subrev_co_u32_e32 v14, vcc, s16, v14
	v_subb_co_u32_e32 v15, vcc, v15, v12, vcc
	v_lshlrev_b64 v[14:15], 5, v[14:15]
	v_add_co_u32_e32 v14, vcc, s6, v14
	v_addc_co_u32_e32 v15, vcc, v13, v15, vcc
	global_load_dwordx4 v[54:57], v[14:15], off
	global_load_dwordx4 v[58:61], v[14:15], off offset:16
	s_waitcnt vmcnt(5)
	v_cvt_f64_f32_e32 v[14:15], v38
	s_waitcnt vmcnt(4)
	v_cvt_f64_f32_e32 v[64:65], v42
	;; [unrolled: 2-line block ×3, first 2 shown]
	v_cvt_f64_f32_e32 v[72:73], v46
	v_add_co_u32_e32 v4, vcc, s17, v4
	v_cvt_f64_f32_e32 v[38:39], v39
	v_cvt_f64_f32_e32 v[42:43], v43
	;; [unrolled: 1-line block ×4, first 2 shown]
	v_addc_co_u32_e32 v5, vcc, 0, v5, vcc
	v_cvt_f64_f32_e32 v[62:63], v40
	v_cvt_f64_f32_e32 v[66:67], v44
	;; [unrolled: 1-line block ×4, first 2 shown]
	v_add_co_u32_e32 v10, vcc, 0x80, v10
	v_cvt_f64_f32_e32 v[40:41], v41
	v_cvt_f64_f32_e32 v[44:45], v45
	;; [unrolled: 1-line block ×4, first 2 shown]
	v_addc_co_u32_e32 v11, vcc, 0, v11, vcc
	s_waitcnt vmcnt(1)
	v_fmac_f64_e32 v[36:37], v[14:15], v[54:55]
	v_fmac_f64_e32 v[34:35], v[64:65], v[54:55]
	;; [unrolled: 1-line block ×8, first 2 shown]
	s_waitcnt vmcnt(0)
	v_fmac_f64_e32 v[36:37], v[62:63], v[58:59]
	v_fmac_f64_e32 v[34:35], v[66:67], v[58:59]
	;; [unrolled: 1-line block ×8, first 2 shown]
	s_andn2_b64 exec, exec, s[20:21]
	s_cbranch_execnz .LBB162_19
; %bb.20:
	s_or_b64 exec, exec, s[20:21]
.LBB162_21:
	s_or_b64 exec, exec, s[14:15]
	v_cmp_lt_u64_e32 vcc, 47, v[6:7]
	s_and_saveexec_b64 s[2:3], vcc
	s_cbranch_execz .LBB162_25
; %bb.22:
	v_lshlrev_b64 v[6:7], 3, v[0:1]
	v_mov_b32_e32 v8, s13
	v_add_co_u32_e32 v6, vcc, s12, v6
	v_addc_co_u32_e32 v7, vcc, v7, v8, vcc
	v_add_co_u32_e32 v6, vcc, 0x100, v6
	v_addc_co_u32_e32 v7, vcc, 0, v7, vcc
	s_mov_b64 s[14:15], 0
	v_mov_b32_e32 v8, s19
	v_mov_b32_e32 v9, s7
	s_movk_i32 s17, 0x1000
.LBB162_23:                             ; =>This Inner Loop Header: Depth=1
	global_load_dwordx2 v[10:11], v[6:7], off offset:-256
	s_waitcnt vmcnt(0)
	v_subrev_co_u32_e32 v14, vcc, s16, v10
	v_subb_co_u32_e32 v15, vcc, v11, v8, vcc
	v_lshlrev_b64 v[14:15], 5, v[14:15]
	v_add_co_u32_e32 v14, vcc, s6, v14
	global_load_dwordx4 v[10:13], v[4:5], off offset:48
	global_load_dwordx4 v[38:41], v[4:5], off offset:32
	;; [unrolled: 1-line block ×3, first 2 shown]
	global_load_dwordx4 v[46:49], v[4:5], off
	v_addc_co_u32_e32 v15, vcc, v9, v15, vcc
	global_load_dwordx4 v[50:53], v[14:15], off offset:16
	global_load_dwordx4 v[54:57], v[14:15], off
	s_waitcnt vmcnt(2)
	v_cvt_f64_f32_e32 v[58:59], v46
	v_cvt_f64_f32_e32 v[14:15], v47
	s_waitcnt vmcnt(0)
	v_fmac_f64_e32 v[36:37], v[58:59], v[54:55]
	v_fmac_f64_e32 v[36:37], v[14:15], v[56:57]
	v_cvt_f64_f32_e32 v[14:15], v48
	v_fmac_f64_e32 v[36:37], v[14:15], v[50:51]
	v_cvt_f64_f32_e32 v[14:15], v49
	;; [unrolled: 2-line block ×14, first 2 shown]
	v_fmac_f64_e32 v[30:31], v[10:11], v[52:53]
	global_load_dwordx2 v[10:11], v[6:7], off offset:-128
	s_waitcnt vmcnt(0)
	v_subrev_co_u32_e32 v14, vcc, s16, v10
	v_subb_co_u32_e32 v15, vcc, v11, v8, vcc
	v_lshlrev_b64 v[14:15], 5, v[14:15]
	v_add_co_u32_e32 v14, vcc, s6, v14
	global_load_dwordx4 v[10:13], v[4:5], off offset:1072
	global_load_dwordx4 v[38:41], v[4:5], off offset:1056
	;; [unrolled: 1-line block ×4, first 2 shown]
	v_addc_co_u32_e32 v15, vcc, v9, v15, vcc
	global_load_dwordx4 v[50:53], v[14:15], off offset:16
	global_load_dwordx4 v[54:57], v[14:15], off
	s_waitcnt vmcnt(2)
	v_cvt_f64_f32_e32 v[58:59], v46
	v_cvt_f64_f32_e32 v[14:15], v47
	s_waitcnt vmcnt(0)
	v_fmac_f64_e32 v[36:37], v[58:59], v[54:55]
	v_fmac_f64_e32 v[36:37], v[14:15], v[56:57]
	v_cvt_f64_f32_e32 v[14:15], v48
	v_fmac_f64_e32 v[36:37], v[14:15], v[50:51]
	v_cvt_f64_f32_e32 v[14:15], v49
	;; [unrolled: 2-line block ×14, first 2 shown]
	v_fmac_f64_e32 v[30:31], v[10:11], v[52:53]
	global_load_dwordx2 v[10:11], v[6:7], off
	s_waitcnt vmcnt(0)
	v_subrev_co_u32_e32 v14, vcc, s16, v10
	v_subb_co_u32_e32 v15, vcc, v11, v8, vcc
	v_lshlrev_b64 v[14:15], 5, v[14:15]
	v_add_co_u32_e32 v14, vcc, s6, v14
	global_load_dwordx4 v[10:13], v[4:5], off offset:2096
	global_load_dwordx4 v[38:41], v[4:5], off offset:2080
	;; [unrolled: 1-line block ×4, first 2 shown]
	v_addc_co_u32_e32 v15, vcc, v9, v15, vcc
	global_load_dwordx4 v[50:53], v[14:15], off offset:16
	global_load_dwordx4 v[54:57], v[14:15], off
	s_waitcnt vmcnt(2)
	v_cvt_f64_f32_e32 v[58:59], v46
	v_cvt_f64_f32_e32 v[14:15], v47
	s_waitcnt vmcnt(0)
	v_fmac_f64_e32 v[36:37], v[58:59], v[54:55]
	v_fmac_f64_e32 v[36:37], v[14:15], v[56:57]
	v_cvt_f64_f32_e32 v[14:15], v48
	v_fmac_f64_e32 v[36:37], v[14:15], v[50:51]
	v_cvt_f64_f32_e32 v[14:15], v49
	;; [unrolled: 2-line block ×14, first 2 shown]
	v_fmac_f64_e32 v[30:31], v[10:11], v[52:53]
	global_load_dwordx2 v[10:11], v[6:7], off offset:128
	s_waitcnt vmcnt(0)
	v_subrev_co_u32_e32 v14, vcc, s16, v10
	v_subb_co_u32_e32 v15, vcc, v11, v8, vcc
	v_lshlrev_b64 v[14:15], 5, v[14:15]
	v_add_co_u32_e32 v14, vcc, s6, v14
	global_load_dwordx4 v[10:13], v[4:5], off offset:3120
	global_load_dwordx4 v[38:41], v[4:5], off offset:3104
	;; [unrolled: 1-line block ×4, first 2 shown]
	v_addc_co_u32_e32 v15, vcc, v9, v15, vcc
	global_load_dwordx4 v[50:53], v[14:15], off offset:16
	global_load_dwordx4 v[54:57], v[14:15], off
	v_add_co_u32_e32 v4, vcc, s17, v4
	v_addc_co_u32_e32 v5, vcc, 0, v5, vcc
	v_add_co_u32_e32 v0, vcc, 64, v0
	v_addc_co_u32_e32 v1, vcc, 0, v1, vcc
	;; [unrolled: 2-line block ×3, first 2 shown]
	v_cmp_ge_i64_e32 vcc, v[0:1], v[26:27]
	s_or_b64 s[14:15], vcc, s[14:15]
	s_waitcnt vmcnt(2)
	v_cvt_f64_f32_e32 v[58:59], v46
	v_cvt_f64_f32_e32 v[14:15], v47
	s_waitcnt vmcnt(0)
	v_fmac_f64_e32 v[36:37], v[58:59], v[54:55]
	v_fmac_f64_e32 v[36:37], v[14:15], v[56:57]
	v_cvt_f64_f32_e32 v[14:15], v48
	v_fmac_f64_e32 v[36:37], v[14:15], v[50:51]
	v_cvt_f64_f32_e32 v[14:15], v49
	;; [unrolled: 2-line block ×14, first 2 shown]
	v_fmac_f64_e32 v[30:31], v[10:11], v[52:53]
	s_andn2_b64 exec, exec, s[14:15]
	s_cbranch_execnz .LBB162_23
; %bb.24:
	s_or_b64 exec, exec, s[14:15]
.LBB162_25:
	s_or_b64 exec, exec, s[2:3]
.LBB162_26:
	s_or_b64 exec, exec, s[10:11]
	s_andn2_b64 vcc, exec, s[8:9]
	s_cbranch_vccz .LBB162_28
	s_branch .LBB162_39
.LBB162_27:
                                        ; implicit-def: $vgpr30_vgpr31
                                        ; implicit-def: $vgpr32_vgpr33
                                        ; implicit-def: $vgpr34_vgpr35
                                        ; implicit-def: $vgpr36_vgpr37
.LBB162_28:
	v_pk_mov_b32 v[30:31], 0, 0
	v_pk_mov_b32 v[32:33], v[30:31], v[30:31] op_sel:[0,1]
	v_pk_mov_b32 v[34:35], v[30:31], v[30:31] op_sel:[0,1]
	;; [unrolled: 1-line block ×3, first 2 shown]
	s_and_saveexec_b64 s[2:3], s[0:1]
	s_cbranch_execz .LBB162_38
; %bb.29:
	v_or_b32_e32 v0, 16, v22
	v_mov_b32_e32 v1, s19
	v_subrev_co_u32_e32 v0, vcc, s16, v0
	v_subb_co_u32_e32 v1, vcc, 0, v1, vcc
	v_add_co_u32_e32 v0, vcc, v0, v2
	v_addc_co_u32_e32 v1, vcc, v1, v3, vcc
	v_cmp_gt_i64_e32 vcc, v[0:1], v[26:27]
	v_cndmask_b32_e32 v1, v27, v1, vcc
	v_cndmask_b32_e32 v0, v26, v0, vcc
	v_mov_b32_e32 v4, s19
	v_sub_co_u32_e32 v5, vcc, s16, v22
	v_not_b32_e32 v2, v2
	v_subbrev_co_u32_e32 v4, vcc, 0, v4, vcc
	v_not_b32_e32 v3, v3
	v_add_co_u32_e32 v2, vcc, v5, v2
	v_addc_co_u32_e32 v3, vcc, v4, v3, vcc
	v_add_co_u32_e32 v0, vcc, v2, v0
	v_lshrrev_b32_e32 v2, 4, v0
	v_add_u32_e32 v2, 1, v2
	v_addc_co_u32_e32 v1, vcc, v3, v1, vcc
	v_and_b32_e32 v2, 3, v2
	v_pk_mov_b32 v[36:37], 0, 0
	v_cmp_ne_u32_e32 vcc, 0, v2
	s_mov_b64 s[10:11], 0
	v_pk_mov_b32 v[34:35], v[36:37], v[36:37] op_sel:[0,1]
	v_pk_mov_b32 v[32:33], v[36:37], v[36:37] op_sel:[0,1]
	;; [unrolled: 1-line block ×3, first 2 shown]
	s_and_saveexec_b64 s[8:9], vcc
	s_cbranch_execz .LBB162_33
; %bb.30:
	v_lshlrev_b64 v[4:5], 3, v[24:25]
	v_mov_b32_e32 v6, s13
	v_add_co_u32_e32 v4, vcc, s12, v4
	v_pk_mov_b32 v[30:31], 0, 0
	v_mov_b32_e32 v3, 0
	v_addc_co_u32_e32 v5, vcc, v6, v5, vcc
	v_lshlrev_b32_e32 v2, 3, v2
	s_movk_i32 s14, 0x400
	v_mov_b32_e32 v6, s19
	v_mov_b32_e32 v7, s7
	v_pk_mov_b32 v[32:33], v[30:31], v[30:31] op_sel:[0,1]
	v_pk_mov_b32 v[34:35], v[30:31], v[30:31] op_sel:[0,1]
	v_pk_mov_b32 v[36:37], v[30:31], v[30:31] op_sel:[0,1]
.LBB162_31:                             ; =>This Inner Loop Header: Depth=1
	global_load_dwordx2 v[42:43], v[4:5], off
	global_load_dwordx4 v[8:11], v[28:29], off offset:32
	global_load_dwordx4 v[12:15], v[28:29], off offset:16
	global_load_dwordx4 v[38:41], v[28:29], off
	v_add_co_u32_e64 v24, s[0:1], 16, v24
	v_addc_co_u32_e64 v25, s[0:1], 0, v25, s[0:1]
	v_add_co_u32_e64 v2, s[0:1], -8, v2
	v_addc_co_u32_e64 v3, s[0:1], -1, v3, s[0:1]
	v_cmp_eq_u64_e64 s[0:1], 0, v[2:3]
	s_or_b64 s[10:11], s[0:1], s[10:11]
	s_waitcnt vmcnt(3)
	v_subrev_co_u32_e32 v42, vcc, s16, v42
	v_subb_co_u32_e32 v43, vcc, v43, v6, vcc
	v_lshlrev_b64 v[42:43], 5, v[42:43]
	v_add_co_u32_e32 v54, vcc, s6, v42
	v_addc_co_u32_e32 v55, vcc, v7, v43, vcc
	global_load_dwordx4 v[42:45], v[54:55], off offset:16
	global_load_dwordx4 v[46:49], v[54:55], off
	global_load_dwordx4 v[50:53], v[28:29], off offset:48
	s_waitcnt vmcnt(3)
	v_cvt_f64_f32_e32 v[54:55], v38
	v_cvt_f64_f32_e32 v[38:39], v39
	;; [unrolled: 1-line block ×4, first 2 shown]
	v_add_co_u32_e32 v28, vcc, s14, v28
	v_cvt_f64_f32_e32 v[58:59], v12
	v_cvt_f64_f32_e32 v[12:13], v13
	;; [unrolled: 1-line block ×4, first 2 shown]
	v_addc_co_u32_e32 v29, vcc, 0, v29, vcc
	v_cvt_f64_f32_e32 v[62:63], v8
	v_cvt_f64_f32_e32 v[8:9], v9
	;; [unrolled: 1-line block ×4, first 2 shown]
	v_add_co_u32_e32 v4, vcc, 0x80, v4
	v_addc_co_u32_e32 v5, vcc, 0, v5, vcc
	s_waitcnt vmcnt(1)
	v_fmac_f64_e32 v[36:37], v[54:55], v[46:47]
	v_fmac_f64_e32 v[34:35], v[38:39], v[46:47]
	v_fmac_f64_e32 v[32:33], v[56:57], v[46:47]
	v_fmac_f64_e32 v[30:31], v[40:41], v[46:47]
	v_fmac_f64_e32 v[36:37], v[58:59], v[48:49]
	v_fmac_f64_e32 v[34:35], v[12:13], v[48:49]
	v_fmac_f64_e32 v[32:33], v[60:61], v[48:49]
	v_fmac_f64_e32 v[30:31], v[14:15], v[48:49]
	s_waitcnt vmcnt(0)
	v_cvt_f64_f32_e32 v[66:67], v50
	v_cvt_f64_f32_e32 v[50:51], v51
	;; [unrolled: 1-line block ×4, first 2 shown]
	v_fmac_f64_e32 v[36:37], v[62:63], v[42:43]
	v_fmac_f64_e32 v[34:35], v[8:9], v[42:43]
	;; [unrolled: 1-line block ×8, first 2 shown]
	s_andn2_b64 exec, exec, s[10:11]
	s_cbranch_execnz .LBB162_31
; %bb.32:
	s_or_b64 exec, exec, s[10:11]
.LBB162_33:
	s_or_b64 exec, exec, s[8:9]
	v_cmp_lt_u64_e32 vcc, 47, v[0:1]
	s_and_saveexec_b64 s[8:9], vcc
	s_cbranch_execz .LBB162_37
; %bb.34:
	v_lshlrev_b64 v[0:1], 3, v[24:25]
	v_mov_b32_e32 v2, s13
	v_add_co_u32_e32 v0, vcc, s12, v0
	v_addc_co_u32_e32 v1, vcc, v1, v2, vcc
	v_add_co_u32_e32 v38, vcc, 0x100, v0
	v_addc_co_u32_e32 v39, vcc, 0, v1, vcc
	s_mov_b64 s[10:11], 0
	v_mov_b32_e32 v23, s19
	v_mov_b32_e32 v88, s7
	s_movk_i32 s7, 0x1000
.LBB162_35:                             ; =>This Inner Loop Header: Depth=1
	global_load_dwordx4 v[12:15], v[28:29], off
	global_load_dwordx4 v[8:11], v[28:29], off offset:16
	global_load_dwordx4 v[4:7], v[28:29], off offset:32
	;; [unrolled: 1-line block ×7, first 2 shown]
	s_waitcnt vmcnt(7)
	v_cvt_f64_f32_e32 v[56:57], v12
	v_cvt_f64_f32_e32 v[12:13], v13
	s_waitcnt vmcnt(6)
	v_cvt_f64_f32_e32 v[60:61], v8
	s_waitcnt vmcnt(4)
	v_cvt_f64_f32_e32 v[74:75], v0
	v_cvt_f64_f32_e32 v[76:77], v1
	global_load_dwordx2 v[0:1], v[38:39], off offset:-256
	s_waitcnt vmcnt(4)
	v_cvt_f64_f32_e32 v[82:83], v40
	v_cvt_f64_f32_e32 v[84:85], v41
	;; [unrolled: 1-line block ×11, first 2 shown]
	global_load_dwordx4 v[4:7], v[28:29], off offset:2048
	v_cvt_f64_f32_e32 v[58:59], v14
	v_cvt_f64_f32_e32 v[14:15], v15
	;; [unrolled: 1-line block ×4, first 2 shown]
	s_waitcnt vmcnt(4)
	v_cvt_f64_f32_e32 v[92:93], v44
	v_cvt_f64_f32_e32 v[94:95], v45
	;; [unrolled: 1-line block ×4, first 2 shown]
	s_waitcnt vmcnt(2)
	v_cvt_f64_f32_e32 v[108:109], v52
	v_cvt_f64_f32_e32 v[110:111], v53
	;; [unrolled: 1-line block ×8, first 2 shown]
	s_waitcnt vmcnt(1)
	v_subrev_co_u32_e32 v0, vcc, s16, v0
	v_subb_co_u32_e32 v1, vcc, v1, v23, vcc
	v_lshlrev_b64 v[0:1], 5, v[0:1]
	v_add_co_u32_e32 v40, vcc, s6, v0
	v_addc_co_u32_e32 v41, vcc, v88, v1, vcc
	global_load_dwordx4 v[0:3], v[40:41], off
	s_waitcnt vmcnt(0)
	v_fmac_f64_e32 v[34:35], v[12:13], v[0:1]
	v_fmac_f64_e32 v[34:35], v[8:9], v[2:3]
	global_load_dwordx4 v[8:11], v[28:29], off offset:2064
	v_fmac_f64_e32 v[36:37], v[56:57], v[0:1]
	v_fmac_f64_e32 v[32:33], v[58:59], v[0:1]
	;; [unrolled: 1-line block ×3, first 2 shown]
	v_cvt_f64_f32_e32 v[52:53], v6
	v_cvt_f64_f32_e32 v[54:55], v7
	v_fmac_f64_e32 v[36:37], v[60:61], v[2:3]
	v_fmac_f64_e32 v[32:33], v[62:63], v[2:3]
	;; [unrolled: 1-line block ×3, first 2 shown]
	v_cvt_f64_f32_e32 v[48:49], v4
	v_cvt_f64_f32_e32 v[50:51], v5
	global_load_dwordx4 v[60:63], v[28:29], off offset:3072
	global_load_dwordx4 v[56:59], v[28:29], off offset:2096
	s_waitcnt vmcnt(2)
	v_cvt_f64_f32_e32 v[42:43], v10
	v_cvt_f64_f32_e32 v[0:1], v11
	global_load_dwordx4 v[10:13], v[40:41], off offset:16
	v_cvt_f64_f32_e32 v[44:45], v8
	v_cvt_f64_f32_e32 v[46:47], v9
	global_load_dwordx4 v[6:9], v[28:29], off offset:2080
	s_waitcnt vmcnt(2)
	v_cvt_f64_f32_e32 v[14:15], v58
	v_cvt_f64_f32_e32 v[40:41], v59
	s_waitcnt vmcnt(1)
	v_fmac_f64_e32 v[36:37], v[66:67], v[10:11]
	v_fmac_f64_e32 v[34:35], v[68:69], v[10:11]
	;; [unrolled: 1-line block ×8, first 2 shown]
	v_cvt_f64_f32_e32 v[10:11], v56
	v_cvt_f64_f32_e32 v[12:13], v57
	global_load_dwordx2 v[56:57], v[38:39], off offset:-128
	global_load_dwordx4 v[68:71], v[28:29], off offset:3088
	global_load_dwordx4 v[76:79], v[28:29], off offset:3104
	s_waitcnt vmcnt(3)
	v_cvt_f64_f32_e32 v[2:3], v6
	v_cvt_f64_f32_e32 v[4:5], v7
	;; [unrolled: 1-line block ×4, first 2 shown]
	s_waitcnt vmcnt(2)
	v_subrev_co_u32_e32 v56, vcc, s16, v56
	v_subb_co_u32_e32 v57, vcc, v57, v23, vcc
	v_lshlrev_b64 v[56:57], 5, v[56:57]
	v_add_co_u32_e32 v80, vcc, s6, v56
	v_addc_co_u32_e32 v81, vcc, v88, v57, vcc
	global_load_dwordx4 v[56:59], v[80:81], off
	s_waitcnt vmcnt(2)
	v_cvt_f64_f32_e32 v[64:65], v68
	v_cvt_f64_f32_e32 v[66:67], v69
	;; [unrolled: 1-line block ×4, first 2 shown]
	s_waitcnt vmcnt(0)
	v_fmac_f64_e32 v[30:31], v[90:91], v[56:57]
	global_load_dwordx2 v[90:91], v[38:39], off
	v_fmac_f64_e32 v[36:37], v[82:83], v[56:57]
	v_fmac_f64_e32 v[36:37], v[92:93], v[58:59]
	global_load_dwordx2 v[92:93], v[38:39], off offset:128
	v_fmac_f64_e32 v[34:35], v[84:85], v[56:57]
	v_fmac_f64_e32 v[34:35], v[94:95], v[58:59]
	;; [unrolled: 1-line block ×3, first 2 shown]
	global_load_dwordx4 v[80:83], v[80:81], off offset:16
	v_fmac_f64_e32 v[32:33], v[96:97], v[58:59]
	v_fmac_f64_e32 v[30:31], v[98:99], v[58:59]
	global_load_dwordx4 v[84:87], v[28:29], off offset:3120
	v_cvt_f64_f32_e32 v[56:57], v60
	v_cvt_f64_f32_e32 v[58:59], v61
	;; [unrolled: 1-line block ×8, first 2 shown]
	s_waitcnt vmcnt(3)
	v_subrev_co_u32_e32 v90, vcc, s16, v90
	v_subb_co_u32_e32 v91, vcc, v91, v23, vcc
	s_waitcnt vmcnt(2)
	v_subrev_co_u32_e32 v92, vcc, s16, v92
	v_subb_co_u32_e32 v93, vcc, v93, v23, vcc
	v_lshlrev_b64 v[90:91], 5, v[90:91]
	v_add_co_u32_e32 v94, vcc, s6, v90
	v_addc_co_u32_e32 v95, vcc, v88, v91, vcc
	v_lshlrev_b64 v[90:91], 5, v[92:93]
	v_add_co_u32_e32 v96, vcc, s6, v90
	v_addc_co_u32_e32 v97, vcc, v88, v91, vcc
	global_load_dwordx4 v[90:93], v[94:95], off
	s_waitcnt vmcnt(2)
	v_fmac_f64_e32 v[36:37], v[100:101], v[80:81]
	v_fmac_f64_e32 v[34:35], v[102:103], v[80:81]
	;; [unrolled: 1-line block ×8, first 2 shown]
	v_add_co_u32_e32 v28, vcc, s7, v28
	s_mov_b64 s[0:1], vcc
	v_add_co_u32_e32 v24, vcc, 64, v24
	v_addc_co_u32_e32 v25, vcc, 0, v25, vcc
	v_addc_co_u32_e64 v29, s[0:1], 0, v29, s[0:1]
	s_waitcnt vmcnt(1)
	v_cvt_f64_f32_e32 v[80:81], v84
	v_cvt_f64_f32_e32 v[82:83], v85
	;; [unrolled: 1-line block ×4, first 2 shown]
	v_add_co_u32_e32 v38, vcc, 0x200, v38
	v_cmp_ge_i64_e64 s[0:1], v[24:25], v[26:27]
	v_addc_co_u32_e32 v39, vcc, 0, v39, vcc
	s_or_b64 s[10:11], s[0:1], s[10:11]
	s_waitcnt vmcnt(0)
	v_fmac_f64_e32 v[36:37], v[48:49], v[90:91]
	v_fmac_f64_e32 v[34:35], v[50:51], v[90:91]
	global_load_dwordx4 v[48:51], v[94:95], off offset:16
	v_fmac_f64_e32 v[36:37], v[44:45], v[92:93]
	v_fmac_f64_e32 v[34:35], v[46:47], v[92:93]
	global_load_dwordx4 v[44:47], v[96:97], off
	v_fmac_f64_e32 v[32:33], v[52:53], v[90:91]
	v_fmac_f64_e32 v[30:31], v[54:55], v[90:91]
	global_load_dwordx4 v[52:55], v[96:97], off offset:16
	v_fmac_f64_e32 v[32:33], v[42:43], v[92:93]
	v_fmac_f64_e32 v[30:31], v[0:1], v[92:93]
	s_waitcnt vmcnt(2)
	v_fmac_f64_e32 v[36:37], v[2:3], v[48:49]
	v_fmac_f64_e32 v[34:35], v[4:5], v[48:49]
	v_fmac_f64_e32 v[32:33], v[6:7], v[48:49]
	v_fmac_f64_e32 v[30:31], v[8:9], v[48:49]
	v_fmac_f64_e32 v[36:37], v[10:11], v[50:51]
	v_fmac_f64_e32 v[34:35], v[12:13], v[50:51]
	v_fmac_f64_e32 v[32:33], v[14:15], v[50:51]
	v_fmac_f64_e32 v[30:31], v[40:41], v[50:51]
	s_waitcnt vmcnt(1)
	v_fmac_f64_e32 v[36:37], v[56:57], v[44:45]
	v_fmac_f64_e32 v[34:35], v[58:59], v[44:45]
	v_fmac_f64_e32 v[32:33], v[60:61], v[44:45]
	v_fmac_f64_e32 v[30:31], v[62:63], v[44:45]
	v_fmac_f64_e32 v[36:37], v[64:65], v[46:47]
	v_fmac_f64_e32 v[34:35], v[66:67], v[46:47]
	;; [unrolled: 9-line block ×3, first 2 shown]
	v_fmac_f64_e32 v[32:33], v[84:85], v[54:55]
	v_fmac_f64_e32 v[30:31], v[86:87], v[54:55]
	s_andn2_b64 exec, exec, s[10:11]
	s_cbranch_execnz .LBB162_35
; %bb.36:
	s_or_b64 exec, exec, s[10:11]
.LBB162_37:
	s_or_b64 exec, exec, s[8:9]
.LBB162_38:
	s_or_b64 exec, exec, s[2:3]
.LBB162_39:
	v_mov_b32_dpp v0, v36 row_shr:1 row_mask:0xf bank_mask:0xf
	v_mov_b32_dpp v1, v37 row_shr:1 row_mask:0xf bank_mask:0xf
	v_mov_b32_dpp v4, v34 row_shr:1 row_mask:0xf bank_mask:0xf
	v_mov_b32_dpp v5, v35 row_shr:1 row_mask:0xf bank_mask:0xf
	v_mov_b32_dpp v8, v32 row_shr:1 row_mask:0xf bank_mask:0xf
	v_mov_b32_dpp v9, v33 row_shr:1 row_mask:0xf bank_mask:0xf
	v_mov_b32_dpp v12, v30 row_shr:1 row_mask:0xf bank_mask:0xf
	v_mov_b32_dpp v13, v31 row_shr:1 row_mask:0xf bank_mask:0xf
	v_add_f64 v[0:1], v[36:37], v[0:1]
	v_add_f64 v[4:5], v[34:35], v[4:5]
	v_add_f64 v[8:9], v[32:33], v[8:9]
	v_add_f64 v[12:13], v[30:31], v[12:13]
	v_mov_b32_dpp v2, v0 row_shr:2 row_mask:0xf bank_mask:0xf
	v_mov_b32_dpp v3, v1 row_shr:2 row_mask:0xf bank_mask:0xf
	v_mov_b32_dpp v6, v4 row_shr:2 row_mask:0xf bank_mask:0xf
	v_mov_b32_dpp v7, v5 row_shr:2 row_mask:0xf bank_mask:0xf
	v_mov_b32_dpp v10, v8 row_shr:2 row_mask:0xf bank_mask:0xf
	v_mov_b32_dpp v11, v9 row_shr:2 row_mask:0xf bank_mask:0xf
	v_mov_b32_dpp v14, v12 row_shr:2 row_mask:0xf bank_mask:0xf
	v_mov_b32_dpp v15, v13 row_shr:2 row_mask:0xf bank_mask:0xf
	v_add_f64 v[0:1], v[0:1], v[2:3]
	v_add_f64 v[4:5], v[4:5], v[6:7]
	v_add_f64 v[8:9], v[8:9], v[10:11]
	v_add_f64 v[12:13], v[12:13], v[14:15]
	;; [unrolled: 12-line block ×3, first 2 shown]
	v_mov_b32_dpp v2, v0 row_shr:8 row_mask:0xf bank_mask:0xc
	v_mov_b32_dpp v3, v1 row_shr:8 row_mask:0xf bank_mask:0xc
	;; [unrolled: 1-line block ×8, first 2 shown]
	v_cmp_eq_u32_e32 vcc, 15, v22
	s_and_b64 exec, exec, vcc
	s_cbranch_execz .LBB162_10
; %bb.40:
	s_load_dwordx2 s[0:1], s[4:5], 0x58
	v_add_f64 v[0:1], v[0:1], v[2:3]
	v_add_f64 v[2:3], v[4:5], v[6:7]
	v_add_f64 v[8:9], v[8:9], v[10:11]
	v_add_f64 v[10:11], v[12:13], v[14:15]
	v_cmp_eq_f64_e32 vcc, 0, v[16:17]
	v_mul_f64 v[4:5], v[18:19], v[0:1]
	v_mul_f64 v[6:7], v[18:19], v[2:3]
	;; [unrolled: 1-line block ×4, first 2 shown]
	v_lshlrev_b64 v[8:9], 5, v[20:21]
	s_and_saveexec_b64 s[2:3], vcc
	s_xor_b64 s[2:3], exec, s[2:3]
	s_cbranch_execz .LBB162_42
; %bb.41:
	s_waitcnt lgkmcnt(0)
	v_mov_b32_e32 v10, s1
	v_add_co_u32_e32 v8, vcc, s0, v8
	v_addc_co_u32_e32 v9, vcc, v10, v9, vcc
	global_store_dwordx4 v[8:9], v[4:7], off
	global_store_dwordx4 v[8:9], v[0:3], off offset:16
                                        ; implicit-def: $vgpr8_vgpr9
                                        ; implicit-def: $vgpr16_vgpr17
                                        ; implicit-def: $vgpr4_vgpr5
                                        ; implicit-def: $vgpr0_vgpr1
.LBB162_42:
	s_andn2_saveexec_b64 s[2:3], s[2:3]
	s_cbranch_execz .LBB162_10
; %bb.43:
	s_waitcnt lgkmcnt(0)
	v_mov_b32_e32 v10, s1
	v_add_co_u32_e32 v18, vcc, s0, v8
	v_addc_co_u32_e32 v19, vcc, v10, v9, vcc
	global_load_dwordx4 v[8:11], v[18:19], off
	global_load_dwordx4 v[12:15], v[18:19], off offset:16
	s_waitcnt vmcnt(1)
	v_fmac_f64_e32 v[4:5], v[16:17], v[8:9]
	v_fmac_f64_e32 v[6:7], v[16:17], v[10:11]
	s_waitcnt vmcnt(0)
	v_fmac_f64_e32 v[0:1], v[16:17], v[12:13]
	v_fmac_f64_e32 v[2:3], v[16:17], v[14:15]
	global_store_dwordx4 v[18:19], v[4:7], off
	global_store_dwordx4 v[18:19], v[0:3], off offset:16
	s_endpgm
	.section	.rodata,"a",@progbits
	.p2align	6, 0x0
	.amdhsa_kernel _ZN9rocsparseL18bsrxmvn_4x4_kernelILj128ELj16EdllfddEEvT3_20rocsparse_direction_NS_24const_host_device_scalarIT1_EES1_PKS1_PKT2_SA_S7_PKT4_PKT5_S5_PT6_21rocsparse_index_base_b
		.amdhsa_group_segment_fixed_size 0
		.amdhsa_private_segment_fixed_size 0
		.amdhsa_kernarg_size 104
		.amdhsa_user_sgpr_count 6
		.amdhsa_user_sgpr_private_segment_buffer 1
		.amdhsa_user_sgpr_dispatch_ptr 0
		.amdhsa_user_sgpr_queue_ptr 0
		.amdhsa_user_sgpr_kernarg_segment_ptr 1
		.amdhsa_user_sgpr_dispatch_id 0
		.amdhsa_user_sgpr_flat_scratch_init 0
		.amdhsa_user_sgpr_kernarg_preload_length 0
		.amdhsa_user_sgpr_kernarg_preload_offset 0
		.amdhsa_user_sgpr_private_segment_size 0
		.amdhsa_uses_dynamic_stack 0
		.amdhsa_system_sgpr_private_segment_wavefront_offset 0
		.amdhsa_system_sgpr_workgroup_id_x 1
		.amdhsa_system_sgpr_workgroup_id_y 0
		.amdhsa_system_sgpr_workgroup_id_z 0
		.amdhsa_system_sgpr_workgroup_info 0
		.amdhsa_system_vgpr_workitem_id 0
		.amdhsa_next_free_vgpr 116
		.amdhsa_next_free_sgpr 22
		.amdhsa_accum_offset 116
		.amdhsa_reserve_vcc 1
		.amdhsa_reserve_flat_scratch 0
		.amdhsa_float_round_mode_32 0
		.amdhsa_float_round_mode_16_64 0
		.amdhsa_float_denorm_mode_32 3
		.amdhsa_float_denorm_mode_16_64 3
		.amdhsa_dx10_clamp 1
		.amdhsa_ieee_mode 1
		.amdhsa_fp16_overflow 0
		.amdhsa_tg_split 0
		.amdhsa_exception_fp_ieee_invalid_op 0
		.amdhsa_exception_fp_denorm_src 0
		.amdhsa_exception_fp_ieee_div_zero 0
		.amdhsa_exception_fp_ieee_overflow 0
		.amdhsa_exception_fp_ieee_underflow 0
		.amdhsa_exception_fp_ieee_inexact 0
		.amdhsa_exception_int_div_zero 0
	.end_amdhsa_kernel
	.section	.text._ZN9rocsparseL18bsrxmvn_4x4_kernelILj128ELj16EdllfddEEvT3_20rocsparse_direction_NS_24const_host_device_scalarIT1_EES1_PKS1_PKT2_SA_S7_PKT4_PKT5_S5_PT6_21rocsparse_index_base_b,"axG",@progbits,_ZN9rocsparseL18bsrxmvn_4x4_kernelILj128ELj16EdllfddEEvT3_20rocsparse_direction_NS_24const_host_device_scalarIT1_EES1_PKS1_PKT2_SA_S7_PKT4_PKT5_S5_PT6_21rocsparse_index_base_b,comdat
.Lfunc_end162:
	.size	_ZN9rocsparseL18bsrxmvn_4x4_kernelILj128ELj16EdllfddEEvT3_20rocsparse_direction_NS_24const_host_device_scalarIT1_EES1_PKS1_PKT2_SA_S7_PKT4_PKT5_S5_PT6_21rocsparse_index_base_b, .Lfunc_end162-_ZN9rocsparseL18bsrxmvn_4x4_kernelILj128ELj16EdllfddEEvT3_20rocsparse_direction_NS_24const_host_device_scalarIT1_EES1_PKS1_PKT2_SA_S7_PKT4_PKT5_S5_PT6_21rocsparse_index_base_b
                                        ; -- End function
	.section	.AMDGPU.csdata,"",@progbits
; Kernel info:
; codeLenInByte = 4268
; NumSgprs: 26
; NumVgprs: 116
; NumAgprs: 0
; TotalNumVgprs: 116
; ScratchSize: 0
; MemoryBound: 0
; FloatMode: 240
; IeeeMode: 1
; LDSByteSize: 0 bytes/workgroup (compile time only)
; SGPRBlocks: 3
; VGPRBlocks: 14
; NumSGPRsForWavesPerEU: 26
; NumVGPRsForWavesPerEU: 116
; AccumOffset: 116
; Occupancy: 4
; WaveLimiterHint : 1
; COMPUTE_PGM_RSRC2:SCRATCH_EN: 0
; COMPUTE_PGM_RSRC2:USER_SGPR: 6
; COMPUTE_PGM_RSRC2:TRAP_HANDLER: 0
; COMPUTE_PGM_RSRC2:TGID_X_EN: 1
; COMPUTE_PGM_RSRC2:TGID_Y_EN: 0
; COMPUTE_PGM_RSRC2:TGID_Z_EN: 0
; COMPUTE_PGM_RSRC2:TIDIG_COMP_CNT: 0
; COMPUTE_PGM_RSRC3_GFX90A:ACCUM_OFFSET: 28
; COMPUTE_PGM_RSRC3_GFX90A:TG_SPLIT: 0
	.section	.text._ZN9rocsparseL18bsrxmvn_4x4_kernelILj128ELj32EdllfddEEvT3_20rocsparse_direction_NS_24const_host_device_scalarIT1_EES1_PKS1_PKT2_SA_S7_PKT4_PKT5_S5_PT6_21rocsparse_index_base_b,"axG",@progbits,_ZN9rocsparseL18bsrxmvn_4x4_kernelILj128ELj32EdllfddEEvT3_20rocsparse_direction_NS_24const_host_device_scalarIT1_EES1_PKS1_PKT2_SA_S7_PKT4_PKT5_S5_PT6_21rocsparse_index_base_b,comdat
	.globl	_ZN9rocsparseL18bsrxmvn_4x4_kernelILj128ELj32EdllfddEEvT3_20rocsparse_direction_NS_24const_host_device_scalarIT1_EES1_PKS1_PKT2_SA_S7_PKT4_PKT5_S5_PT6_21rocsparse_index_base_b ; -- Begin function _ZN9rocsparseL18bsrxmvn_4x4_kernelILj128ELj32EdllfddEEvT3_20rocsparse_direction_NS_24const_host_device_scalarIT1_EES1_PKS1_PKT2_SA_S7_PKT4_PKT5_S5_PT6_21rocsparse_index_base_b
	.p2align	8
	.type	_ZN9rocsparseL18bsrxmvn_4x4_kernelILj128ELj32EdllfddEEvT3_20rocsparse_direction_NS_24const_host_device_scalarIT1_EES1_PKS1_PKT2_SA_S7_PKT4_PKT5_S5_PT6_21rocsparse_index_base_b,@function
_ZN9rocsparseL18bsrxmvn_4x4_kernelILj128ELj32EdllfddEEvT3_20rocsparse_direction_NS_24const_host_device_scalarIT1_EES1_PKS1_PKT2_SA_S7_PKT4_PKT5_S5_PT6_21rocsparse_index_base_b: ; @_ZN9rocsparseL18bsrxmvn_4x4_kernelILj128ELj32EdllfddEEvT3_20rocsparse_direction_NS_24const_host_device_scalarIT1_EES1_PKS1_PKT2_SA_S7_PKT4_PKT5_S5_PT6_21rocsparse_index_base_b
; %bb.0:
	s_load_dwordx2 s[16:17], s[4:5], 0x60
	s_load_dwordx4 s[0:3], s[4:5], 0x10
	s_load_dwordx2 s[8:9], s[4:5], 0x50
	s_waitcnt lgkmcnt(0)
	s_bitcmp1_b32 s17, 0
	s_cselect_b64 s[12:13], -1, 0
	s_xor_b64 s[10:11], s[12:13], -1
	s_and_b64 vcc, exec, s[12:13]
	v_pk_mov_b32 v[18:19], s[0:1], s[0:1] op_sel:[0,1]
	s_cbranch_vccnz .LBB163_2
; %bb.1:
	v_pk_mov_b32 v[2:3], s[0:1], s[0:1] op_sel:[0,1]
	flat_load_dwordx2 v[18:19], v[2:3]
.LBB163_2:
	s_andn2_b64 vcc, exec, s[10:11]
	v_pk_mov_b32 v[16:17], s[8:9], s[8:9] op_sel:[0,1]
	s_cbranch_vccnz .LBB163_4
; %bb.3:
	v_pk_mov_b32 v[2:3], s[8:9], s[8:9] op_sel:[0,1]
	flat_load_dwordx2 v[16:17], v[2:3]
.LBB163_4:
	s_waitcnt vmcnt(0) lgkmcnt(0)
	v_cmp_neq_f64_e32 vcc, 0, v[18:19]
	v_cmp_neq_f64_e64 s[0:1], 1.0, v[16:17]
	s_mov_b64 s[8:9], 0
	s_or_b64 s[0:1], vcc, s[0:1]
	s_and_saveexec_b64 s[10:11], s[0:1]
	s_cbranch_execz .LBB163_10
; %bb.5:
	s_load_dwordx2 s[10:11], s[4:5], 0x20
	v_lshrrev_b32_e32 v1, 5, v0
	v_lshl_or_b32 v2, s6, 2, v1
	v_mov_b32_e32 v3, 0
	s_mov_b64 s[0:1], 0
	s_waitcnt lgkmcnt(0)
	s_cmp_lg_u64 s[10:11], 0
	s_cbranch_scc0 .LBB163_11
; %bb.6:
	v_cmp_gt_i64_e32 vcc, s[2:3], v[2:3]
                                        ; implicit-def: $vgpr20_vgpr21
	s_and_saveexec_b64 s[2:3], vcc
	s_xor_b64 s[2:3], exec, s[2:3]
                                        ; implicit-def: $sgpr18_sgpr19
	s_cbranch_execz .LBB163_8
; %bb.7:
	v_lshlrev_b64 v[4:5], 3, v[2:3]
	v_mov_b32_e32 v1, s11
	v_add_co_u32_e32 v4, vcc, s10, v4
	v_addc_co_u32_e32 v5, vcc, v1, v5, vcc
	global_load_dwordx2 v[4:5], v[4:5], off
	s_mov_b64 s[0:1], exec
	s_mov_b32 s19, 0
	s_waitcnt vmcnt(0)
	v_subrev_co_u32_e32 v20, vcc, s16, v4
	v_subbrev_co_u32_e32 v21, vcc, 0, v5, vcc
.LBB163_8:
	s_or_b64 exec, exec, s[2:3]
	s_mov_b64 s[8:9], s[0:1]
.LBB163_9:
	s_and_b64 exec, exec, s[8:9]
	s_cbranch_execnz .LBB163_15
.LBB163_10:
	s_endpgm
.LBB163_11:
                                        ; implicit-def: $vgpr20_vgpr21
                                        ; implicit-def: $sgpr18_sgpr19
	s_cbranch_execz .LBB163_9
; %bb.12:
	s_load_dwordx2 s[0:1], s[4:5], 0x0
                                        ; implicit-def: $vgpr20_vgpr21
	s_waitcnt lgkmcnt(0)
	v_cmp_gt_i64_e32 vcc, s[0:1], v[2:3]
	s_and_saveexec_b64 s[0:1], vcc
                                        ; implicit-def: $sgpr18_sgpr19
; %bb.13:
	s_mov_b32 s19, 0
	s_or_b64 s[8:9], s[8:9], exec
	v_pk_mov_b32 v[20:21], v[2:3], v[2:3] op_sel:[0,1]
; %bb.14:
	s_or_b64 exec, exec, s[0:1]
	s_and_b64 exec, exec, s[8:9]
	s_cbranch_execz .LBB163_10
.LBB163_15:
	s_load_dwordx8 s[8:15], s[4:5], 0x28
	v_lshlrev_b64 v[4:5], 3, v[20:21]
	v_and_b32_e32 v22, 31, v0
	v_mov_b32_e32 v0, s19
	s_waitcnt lgkmcnt(0)
	v_mov_b32_e32 v1, s9
	v_add_co_u32_e32 v6, vcc, s8, v4
	v_addc_co_u32_e32 v7, vcc, v1, v5, vcc
	v_add_co_u32_e32 v1, vcc, 8, v6
	global_load_dwordx2 v[2:3], v[6:7], off
	v_addc_co_u32_e32 v6, vcc, 0, v7, vcc
	v_mov_b32_e32 v7, s11
	v_add_co_u32_e32 v4, vcc, s10, v4
	s_cmp_eq_u64 s[10:11], 0
	v_addc_co_u32_e32 v5, vcc, v7, v5, vcc
	s_cselect_b64 vcc, -1, 0
	v_cndmask_b32_e32 v5, v5, v6, vcc
	v_cndmask_b32_e32 v4, v4, v1, vcc
	global_load_dwordx2 v[4:5], v[4:5], off
	s_load_dword s0, s[4:5], 0x8
	s_load_dwordx2 s[6:7], s[4:5], 0x48
	v_mov_b32_e32 v6, s15
	s_waitcnt lgkmcnt(0)
	s_cmp_eq_u32 s0, 1
	s_waitcnt vmcnt(1)
	v_subrev_co_u32_e32 v1, vcc, s16, v2
	v_subb_co_u32_e32 v7, vcc, v3, v0, vcc
	v_add_co_u32_e32 v24, vcc, v1, v22
	v_addc_co_u32_e32 v25, vcc, 0, v7, vcc
	s_waitcnt vmcnt(0)
	v_subrev_co_u32_e32 v26, vcc, s16, v4
	v_subb_co_u32_e32 v27, vcc, v5, v0, vcc
	v_lshlrev_b64 v[0:1], 6, v[24:25]
	v_add_co_u32_e32 v28, vcc, s14, v0
	v_addc_co_u32_e32 v29, vcc, v6, v1, vcc
	v_cmp_lt_i64_e64 s[0:1], v[24:25], v[26:27]
	s_cbranch_scc1 .LBB163_27
; %bb.16:
	v_pk_mov_b32 v[30:31], 0, 0
	s_mov_b64 s[8:9], 0
	v_pk_mov_b32 v[32:33], v[30:31], v[30:31] op_sel:[0,1]
	v_pk_mov_b32 v[34:35], v[30:31], v[30:31] op_sel:[0,1]
	;; [unrolled: 1-line block ×3, first 2 shown]
	s_and_saveexec_b64 s[10:11], s[0:1]
	s_cbranch_execz .LBB163_26
; %bb.17:
	v_or_b32_e32 v0, 32, v22
	v_mov_b32_e32 v1, s19
	v_subrev_co_u32_e32 v0, vcc, s16, v0
	v_subb_co_u32_e32 v1, vcc, 0, v1, vcc
	v_add_co_u32_e32 v0, vcc, v0, v2
	v_addc_co_u32_e32 v1, vcc, v1, v3, vcc
	v_cmp_gt_i64_e32 vcc, v[0:1], v[26:27]
	v_cndmask_b32_e32 v1, v27, v1, vcc
	v_cndmask_b32_e32 v0, v26, v0, vcc
	v_mov_b32_e32 v6, s19
	v_sub_co_u32_e32 v7, vcc, s16, v22
	v_not_b32_e32 v5, v2
	v_subbrev_co_u32_e32 v6, vcc, 0, v6, vcc
	v_not_b32_e32 v4, v3
	v_add_co_u32_e32 v5, vcc, v7, v5
	v_addc_co_u32_e32 v4, vcc, v6, v4, vcc
	v_add_co_u32_e32 v6, vcc, v5, v0
	v_lshrrev_b32_e32 v0, 5, v6
	v_add_u32_e32 v0, 1, v0
	v_addc_co_u32_e32 v7, vcc, v4, v1, vcc
	v_and_b32_e32 v8, 3, v0
	v_pk_mov_b32 v[36:37], 0, 0
	v_cmp_ne_u32_e32 vcc, 0, v8
	s_mov_b64 s[20:21], 0
	v_pk_mov_b32 v[34:35], v[36:37], v[36:37] op_sel:[0,1]
	v_pk_mov_b32 v[32:33], v[36:37], v[36:37] op_sel:[0,1]
	;; [unrolled: 1-line block ×5, first 2 shown]
	s_and_saveexec_b64 s[14:15], vcc
	s_cbranch_execz .LBB163_21
; %bb.18:
	v_lshlrev_b64 v[0:1], 3, v[24:25]
	v_mov_b32_e32 v4, s13
	v_add_co_u32_e32 v10, vcc, s12, v0
	v_pk_mov_b32 v[30:31], 0, 0
	v_mov_b32_e32 v9, 0
	v_addc_co_u32_e32 v11, vcc, v4, v1, vcc
	v_lshlrev_b32_e32 v8, 3, v8
	s_movk_i32 s17, 0x800
	v_mov_b32_e32 v12, s19
	v_mov_b32_e32 v13, s7
	v_pk_mov_b32 v[4:5], v[28:29], v[28:29] op_sel:[0,1]
	v_pk_mov_b32 v[0:1], v[24:25], v[24:25] op_sel:[0,1]
	;; [unrolled: 1-line block ×5, first 2 shown]
.LBB163_19:                             ; =>This Inner Loop Header: Depth=1
	global_load_dwordx2 v[14:15], v[10:11], off
	global_load_dwordx4 v[38:41], v[4:5], off
	global_load_dwordx4 v[42:45], v[4:5], off offset:16
	global_load_dwordx4 v[46:49], v[4:5], off offset:48
	;; [unrolled: 1-line block ×3, first 2 shown]
	v_add_co_u32_e64 v0, s[2:3], 32, v0
	v_addc_co_u32_e64 v1, s[2:3], 0, v1, s[2:3]
	v_add_co_u32_e64 v8, s[2:3], -8, v8
	v_addc_co_u32_e64 v9, s[2:3], -1, v9, s[2:3]
	v_cmp_eq_u64_e64 s[2:3], 0, v[8:9]
	s_or_b64 s[20:21], s[2:3], s[20:21]
	s_waitcnt vmcnt(4)
	v_subrev_co_u32_e32 v14, vcc, s16, v14
	v_subb_co_u32_e32 v15, vcc, v15, v12, vcc
	v_lshlrev_b64 v[14:15], 5, v[14:15]
	v_add_co_u32_e32 v14, vcc, s6, v14
	v_addc_co_u32_e32 v15, vcc, v13, v15, vcc
	global_load_dwordx4 v[54:57], v[14:15], off
	global_load_dwordx4 v[58:61], v[14:15], off offset:16
	s_waitcnt vmcnt(5)
	v_cvt_f64_f32_e32 v[14:15], v38
	s_waitcnt vmcnt(4)
	v_cvt_f64_f32_e32 v[64:65], v42
	;; [unrolled: 2-line block ×3, first 2 shown]
	v_cvt_f64_f32_e32 v[72:73], v46
	v_add_co_u32_e32 v4, vcc, s17, v4
	v_cvt_f64_f32_e32 v[38:39], v39
	v_cvt_f64_f32_e32 v[42:43], v43
	;; [unrolled: 1-line block ×4, first 2 shown]
	v_addc_co_u32_e32 v5, vcc, 0, v5, vcc
	v_cvt_f64_f32_e32 v[62:63], v40
	v_cvt_f64_f32_e32 v[66:67], v44
	;; [unrolled: 1-line block ×4, first 2 shown]
	v_add_co_u32_e32 v10, vcc, 0x100, v10
	v_cvt_f64_f32_e32 v[40:41], v41
	v_cvt_f64_f32_e32 v[44:45], v45
	v_cvt_f64_f32_e32 v[52:53], v53
	v_cvt_f64_f32_e32 v[48:49], v49
	v_addc_co_u32_e32 v11, vcc, 0, v11, vcc
	s_waitcnt vmcnt(1)
	v_fmac_f64_e32 v[36:37], v[14:15], v[54:55]
	v_fmac_f64_e32 v[34:35], v[64:65], v[54:55]
	;; [unrolled: 1-line block ×8, first 2 shown]
	s_waitcnt vmcnt(0)
	v_fmac_f64_e32 v[36:37], v[62:63], v[58:59]
	v_fmac_f64_e32 v[34:35], v[66:67], v[58:59]
	;; [unrolled: 1-line block ×8, first 2 shown]
	s_andn2_b64 exec, exec, s[20:21]
	s_cbranch_execnz .LBB163_19
; %bb.20:
	s_or_b64 exec, exec, s[20:21]
.LBB163_21:
	s_or_b64 exec, exec, s[14:15]
	s_mov_b64 s[2:3], 0x5f
	v_cmp_lt_u64_e32 vcc, s[2:3], v[6:7]
	s_and_saveexec_b64 s[14:15], vcc
	s_cbranch_execz .LBB163_25
; %bb.22:
	v_lshlrev_b64 v[6:7], 3, v[0:1]
	v_mov_b32_e32 v8, s13
	v_add_co_u32_e32 v6, vcc, s12, v6
	v_addc_co_u32_e32 v7, vcc, v7, v8, vcc
	v_add_co_u32_e32 v6, vcc, 0x200, v6
	v_addc_co_u32_e32 v7, vcc, 0, v7, vcc
	s_mov_b64 s[20:21], 0
	v_mov_b32_e32 v10, s19
	v_mov_b32_e32 v11, s7
	s_movk_i32 s17, 0x1000
.LBB163_23:                             ; =>This Inner Loop Header: Depth=1
	global_load_dwordx2 v[8:9], v[6:7], off offset:-512
	global_load_dwordx4 v[12:15], v[4:5], off offset:48
	global_load_dwordx4 v[38:41], v[4:5], off offset:32
	;; [unrolled: 1-line block ×3, first 2 shown]
	global_load_dwordx4 v[46:49], v[4:5], off
	s_waitcnt vmcnt(4)
	v_subrev_co_u32_e32 v8, vcc, s16, v8
	v_subb_co_u32_e32 v9, vcc, v9, v10, vcc
	v_lshlrev_b64 v[8:9], 5, v[8:9]
	v_add_co_u32_e32 v8, vcc, s6, v8
	v_addc_co_u32_e32 v9, vcc, v11, v9, vcc
	global_load_dwordx4 v[50:53], v[8:9], off offset:16
	global_load_dwordx4 v[54:57], v[8:9], off
	s_waitcnt vmcnt(2)
	v_cvt_f64_f32_e32 v[58:59], v46
	v_cvt_f64_f32_e32 v[8:9], v47
	s_waitcnt vmcnt(0)
	v_fmac_f64_e32 v[36:37], v[58:59], v[54:55]
	v_fmac_f64_e32 v[36:37], v[8:9], v[56:57]
	v_cvt_f64_f32_e32 v[8:9], v48
	v_fmac_f64_e32 v[36:37], v[8:9], v[50:51]
	v_cvt_f64_f32_e32 v[8:9], v49
	;; [unrolled: 2-line block ×14, first 2 shown]
	v_fmac_f64_e32 v[30:31], v[8:9], v[52:53]
	global_load_dwordx2 v[8:9], v[6:7], off offset:-256
	global_load_dwordx4 v[12:15], v[4:5], off offset:2096
	global_load_dwordx4 v[38:41], v[4:5], off offset:2080
	;; [unrolled: 1-line block ×4, first 2 shown]
	s_waitcnt vmcnt(4)
	v_subrev_co_u32_e32 v8, vcc, s16, v8
	v_subb_co_u32_e32 v9, vcc, v9, v10, vcc
	v_lshlrev_b64 v[8:9], 5, v[8:9]
	v_add_co_u32_e32 v8, vcc, s6, v8
	v_addc_co_u32_e32 v9, vcc, v11, v9, vcc
	global_load_dwordx4 v[50:53], v[8:9], off offset:16
	global_load_dwordx4 v[54:57], v[8:9], off
	s_waitcnt vmcnt(2)
	v_cvt_f64_f32_e32 v[58:59], v46
	v_cvt_f64_f32_e32 v[8:9], v47
	s_waitcnt vmcnt(0)
	v_fmac_f64_e32 v[36:37], v[58:59], v[54:55]
	v_fmac_f64_e32 v[36:37], v[8:9], v[56:57]
	v_cvt_f64_f32_e32 v[8:9], v48
	v_fmac_f64_e32 v[36:37], v[8:9], v[50:51]
	v_cvt_f64_f32_e32 v[8:9], v49
	;; [unrolled: 2-line block ×12, first 2 shown]
	global_load_dwordx2 v[12:13], v[6:7], off
	v_fmac_f64_e32 v[30:31], v[8:9], v[56:57]
	v_cvt_f64_f32_e32 v[8:9], v14
	v_fmac_f64_e32 v[30:31], v[8:9], v[50:51]
	v_cvt_f64_f32_e32 v[8:9], v15
	v_fmac_f64_e32 v[30:31], v[8:9], v[52:53]
	v_add_co_u32_e32 v8, vcc, s17, v4
	v_addc_co_u32_e32 v9, vcc, 0, v5, vcc
	s_waitcnt vmcnt(0)
	v_subrev_co_u32_e32 v50, vcc, s16, v12
	v_subb_co_u32_e32 v51, vcc, v13, v10, vcc
	v_lshlrev_b64 v[50:51], 5, v[50:51]
	v_add_co_u32_e32 v60, vcc, s6, v50
	v_addc_co_u32_e32 v61, vcc, v11, v51, vcc
	global_load_dwordx4 v[12:15], v[8:9], off
	global_load_dwordx4 v[38:41], v[8:9], off offset:48
	global_load_dwordx4 v[42:45], v[8:9], off offset:32
	;; [unrolled: 1-line block ×4, first 2 shown]
	global_load_dwordx4 v[54:57], v[60:61], off
	s_waitcnt vmcnt(5)
	v_cvt_f64_f32_e32 v[58:59], v12
	v_cvt_f64_f32_e32 v[12:13], v13
	s_waitcnt vmcnt(0)
	v_fmac_f64_e32 v[36:37], v[58:59], v[54:55]
	v_fmac_f64_e32 v[36:37], v[12:13], v[56:57]
	v_cvt_f64_f32_e32 v[12:13], v14
	v_fmac_f64_e32 v[36:37], v[12:13], v[50:51]
	v_cvt_f64_f32_e32 v[12:13], v15
	;; [unrolled: 2-line block ×14, first 2 shown]
	v_fmac_f64_e32 v[30:31], v[12:13], v[52:53]
	global_load_dwordx2 v[12:13], v[6:7], off offset:256
	s_waitcnt vmcnt(0)
	v_subrev_co_u32_e32 v50, vcc, s16, v12
	v_subb_co_u32_e32 v51, vcc, v13, v10, vcc
	v_lshlrev_b64 v[50:51], 5, v[50:51]
	v_add_co_u32_e32 v58, vcc, s6, v50
	global_load_dwordx4 v[12:15], v[8:9], off offset:2096
	global_load_dwordx4 v[38:41], v[8:9], off offset:2080
	;; [unrolled: 1-line block ×4, first 2 shown]
	v_addc_co_u32_e32 v59, vcc, v11, v51, vcc
	global_load_dwordx4 v[50:53], v[58:59], off offset:16
	global_load_dwordx4 v[54:57], v[58:59], off
	v_add_co_u32_e32 v0, vcc, 0x80, v0
	v_addc_co_u32_e32 v1, vcc, 0, v1, vcc
	v_add_co_u32_e32 v6, vcc, 0x400, v6
	v_addc_co_u32_e32 v7, vcc, 0, v7, vcc
	v_cmp_ge_i64_e64 s[2:3], v[0:1], v[26:27]
	v_add_co_u32_e32 v4, vcc, 0x2000, v4
	v_addc_co_u32_e32 v5, vcc, 0, v5, vcc
	s_or_b64 s[20:21], s[2:3], s[20:21]
	s_waitcnt vmcnt(2)
	v_cvt_f64_f32_e32 v[8:9], v46
	s_waitcnt vmcnt(0)
	v_fmac_f64_e32 v[36:37], v[8:9], v[54:55]
	v_cvt_f64_f32_e32 v[8:9], v47
	v_fmac_f64_e32 v[36:37], v[8:9], v[56:57]
	v_cvt_f64_f32_e32 v[8:9], v48
	;; [unrolled: 2-line block ×15, first 2 shown]
	v_fmac_f64_e32 v[30:31], v[8:9], v[52:53]
	s_andn2_b64 exec, exec, s[20:21]
	s_cbranch_execnz .LBB163_23
; %bb.24:
	s_or_b64 exec, exec, s[20:21]
.LBB163_25:
	s_or_b64 exec, exec, s[14:15]
.LBB163_26:
	s_or_b64 exec, exec, s[10:11]
	s_andn2_b64 vcc, exec, s[8:9]
	s_cbranch_vccz .LBB163_28
	s_branch .LBB163_39
.LBB163_27:
                                        ; implicit-def: $vgpr30_vgpr31
                                        ; implicit-def: $vgpr32_vgpr33
                                        ; implicit-def: $vgpr34_vgpr35
                                        ; implicit-def: $vgpr36_vgpr37
.LBB163_28:
	v_pk_mov_b32 v[30:31], 0, 0
	v_pk_mov_b32 v[32:33], v[30:31], v[30:31] op_sel:[0,1]
	v_pk_mov_b32 v[34:35], v[30:31], v[30:31] op_sel:[0,1]
	;; [unrolled: 1-line block ×3, first 2 shown]
	s_and_saveexec_b64 s[8:9], s[0:1]
	s_cbranch_execz .LBB163_38
; %bb.29:
	v_or_b32_e32 v0, 32, v22
	v_mov_b32_e32 v1, s19
	v_subrev_co_u32_e32 v0, vcc, s16, v0
	v_subb_co_u32_e32 v1, vcc, 0, v1, vcc
	v_add_co_u32_e32 v0, vcc, v0, v2
	v_addc_co_u32_e32 v1, vcc, v1, v3, vcc
	v_cmp_gt_i64_e32 vcc, v[0:1], v[26:27]
	v_cndmask_b32_e32 v1, v27, v1, vcc
	v_cndmask_b32_e32 v0, v26, v0, vcc
	v_mov_b32_e32 v4, s19
	v_sub_co_u32_e32 v5, vcc, s16, v22
	v_not_b32_e32 v2, v2
	v_subbrev_co_u32_e32 v4, vcc, 0, v4, vcc
	v_not_b32_e32 v3, v3
	v_add_co_u32_e32 v2, vcc, v5, v2
	v_addc_co_u32_e32 v3, vcc, v4, v3, vcc
	v_add_co_u32_e32 v0, vcc, v2, v0
	v_lshrrev_b32_e32 v2, 5, v0
	v_add_u32_e32 v2, 1, v2
	v_addc_co_u32_e32 v1, vcc, v3, v1, vcc
	v_and_b32_e32 v2, 3, v2
	v_pk_mov_b32 v[36:37], 0, 0
	v_cmp_ne_u32_e32 vcc, 0, v2
	s_mov_b64 s[10:11], 0
	v_pk_mov_b32 v[34:35], v[36:37], v[36:37] op_sel:[0,1]
	v_pk_mov_b32 v[32:33], v[36:37], v[36:37] op_sel:[0,1]
	;; [unrolled: 1-line block ×3, first 2 shown]
	s_and_saveexec_b64 s[2:3], vcc
	s_cbranch_execz .LBB163_33
; %bb.30:
	v_lshlrev_b64 v[4:5], 3, v[24:25]
	v_mov_b32_e32 v6, s13
	v_add_co_u32_e32 v4, vcc, s12, v4
	v_pk_mov_b32 v[30:31], 0, 0
	v_mov_b32_e32 v3, 0
	v_addc_co_u32_e32 v5, vcc, v6, v5, vcc
	v_lshlrev_b32_e32 v2, 3, v2
	s_movk_i32 s14, 0x800
	v_mov_b32_e32 v6, s19
	v_mov_b32_e32 v7, s7
	v_pk_mov_b32 v[32:33], v[30:31], v[30:31] op_sel:[0,1]
	v_pk_mov_b32 v[34:35], v[30:31], v[30:31] op_sel:[0,1]
	;; [unrolled: 1-line block ×3, first 2 shown]
.LBB163_31:                             ; =>This Inner Loop Header: Depth=1
	global_load_dwordx2 v[42:43], v[4:5], off
	global_load_dwordx4 v[8:11], v[28:29], off offset:32
	global_load_dwordx4 v[12:15], v[28:29], off offset:16
	global_load_dwordx4 v[38:41], v[28:29], off
	v_add_co_u32_e64 v24, s[0:1], 32, v24
	v_addc_co_u32_e64 v25, s[0:1], 0, v25, s[0:1]
	v_add_co_u32_e64 v2, s[0:1], -8, v2
	v_addc_co_u32_e64 v3, s[0:1], -1, v3, s[0:1]
	v_cmp_eq_u64_e64 s[0:1], 0, v[2:3]
	s_or_b64 s[10:11], s[0:1], s[10:11]
	s_waitcnt vmcnt(3)
	v_subrev_co_u32_e32 v42, vcc, s16, v42
	v_subb_co_u32_e32 v43, vcc, v43, v6, vcc
	v_lshlrev_b64 v[42:43], 5, v[42:43]
	v_add_co_u32_e32 v54, vcc, s6, v42
	v_addc_co_u32_e32 v55, vcc, v7, v43, vcc
	global_load_dwordx4 v[42:45], v[54:55], off offset:16
	global_load_dwordx4 v[46:49], v[54:55], off
	global_load_dwordx4 v[50:53], v[28:29], off offset:48
	s_waitcnt vmcnt(3)
	v_cvt_f64_f32_e32 v[54:55], v38
	v_cvt_f64_f32_e32 v[38:39], v39
	;; [unrolled: 1-line block ×4, first 2 shown]
	v_add_co_u32_e32 v28, vcc, s14, v28
	v_cvt_f64_f32_e32 v[58:59], v12
	v_cvt_f64_f32_e32 v[12:13], v13
	;; [unrolled: 1-line block ×4, first 2 shown]
	v_addc_co_u32_e32 v29, vcc, 0, v29, vcc
	v_cvt_f64_f32_e32 v[62:63], v8
	v_cvt_f64_f32_e32 v[8:9], v9
	;; [unrolled: 1-line block ×4, first 2 shown]
	v_add_co_u32_e32 v4, vcc, 0x100, v4
	v_addc_co_u32_e32 v5, vcc, 0, v5, vcc
	s_waitcnt vmcnt(1)
	v_fmac_f64_e32 v[36:37], v[54:55], v[46:47]
	v_fmac_f64_e32 v[34:35], v[38:39], v[46:47]
	;; [unrolled: 1-line block ×8, first 2 shown]
	s_waitcnt vmcnt(0)
	v_cvt_f64_f32_e32 v[66:67], v50
	v_cvt_f64_f32_e32 v[50:51], v51
	;; [unrolled: 1-line block ×4, first 2 shown]
	v_fmac_f64_e32 v[36:37], v[62:63], v[42:43]
	v_fmac_f64_e32 v[34:35], v[8:9], v[42:43]
	;; [unrolled: 1-line block ×8, first 2 shown]
	s_andn2_b64 exec, exec, s[10:11]
	s_cbranch_execnz .LBB163_31
; %bb.32:
	s_or_b64 exec, exec, s[10:11]
.LBB163_33:
	s_or_b64 exec, exec, s[2:3]
	s_mov_b64 s[0:1], 0x5f
	v_cmp_lt_u64_e32 vcc, s[0:1], v[0:1]
	s_and_saveexec_b64 s[10:11], vcc
	s_cbranch_execz .LBB163_37
; %bb.34:
	v_lshlrev_b64 v[0:1], 3, v[24:25]
	v_mov_b32_e32 v2, s13
	v_add_co_u32_e32 v0, vcc, s12, v0
	v_addc_co_u32_e32 v1, vcc, v1, v2, vcc
	v_add_co_u32_e32 v38, vcc, 0x200, v0
	v_addc_co_u32_e32 v39, vcc, 0, v1, vcc
	s_mov_b64 s[12:13], 0
	v_mov_b32_e32 v23, s19
	v_mov_b32_e32 v76, s7
	s_movk_i32 s7, 0x1000
.LBB163_35:                             ; =>This Inner Loop Header: Depth=1
	global_load_dwordx2 v[42:43], v[38:39], off offset:-512
	global_load_dwordx4 v[12:15], v[28:29], off
	global_load_dwordx4 v[8:11], v[28:29], off offset:16
	global_load_dwordx4 v[4:7], v[28:29], off offset:32
	;; [unrolled: 1-line block ×6, first 2 shown]
	global_load_dwordx2 v[56:57], v[38:39], off offset:-256
	s_waitcnt vmcnt(8)
	v_subrev_co_u32_e32 v42, vcc, s16, v42
	v_subb_co_u32_e32 v43, vcc, v43, v23, vcc
	s_waitcnt vmcnt(4)
	v_cvt_f64_f32_e32 v[86:87], v0
	v_cvt_f64_f32_e32 v[88:89], v1
	v_lshlrev_b64 v[0:1], 5, v[42:43]
	v_add_co_u32_e32 v108, vcc, s6, v0
	v_addc_co_u32_e32 v109, vcc, v76, v1, vcc
	v_cvt_f64_f32_e32 v[90:91], v2
	v_cvt_f64_f32_e32 v[92:93], v3
	global_load_dwordx4 v[0:3], v[108:109], off
	v_cvt_f64_f32_e32 v[60:61], v13
	v_cvt_f64_f32_e32 v[58:59], v12
	;; [unrolled: 1-line block ×12, first 2 shown]
	s_waitcnt vmcnt(4)
	v_cvt_f64_f32_e32 v[98:99], v46
	v_cvt_f64_f32_e32 v[100:101], v47
	s_waitcnt vmcnt(3)
	v_cvt_f64_f32_e32 v[102:103], v48
	v_cvt_f64_f32_e32 v[104:105], v49
	global_load_dwordx4 v[4:7], v[28:29], off offset:2096
	v_cvt_f64_f32_e32 v[94:95], v44
	v_cvt_f64_f32_e32 v[96:97], v45
	global_load_dwordx2 v[42:43], v[38:39], off
	global_load_dwordx2 v[44:45], v[38:39], off offset:256
	v_cvt_f64_f32_e32 v[106:107], v50
	v_cvt_f64_f32_e32 v[64:65], v51
	s_waitcnt vmcnt(5)
	v_cvt_f64_f32_e32 v[10:11], v52
	v_cvt_f64_f32_e32 v[12:13], v53
	;; [unrolled: 1-line block ×4, first 2 shown]
	s_waitcnt vmcnt(3)
	v_fmac_f64_e32 v[34:35], v[60:61], v[0:1]
	v_add_co_u32_e32 v60, vcc, s7, v28
	v_fmac_f64_e32 v[36:37], v[58:59], v[0:1]
	v_fmac_f64_e32 v[32:33], v[62:63], v[0:1]
	;; [unrolled: 1-line block ×3, first 2 shown]
	v_addc_co_u32_e32 v61, vcc, 0, v29, vcc
	v_fmac_f64_e32 v[36:37], v[68:69], v[2:3]
	v_fmac_f64_e32 v[34:35], v[8:9], v[2:3]
	global_load_dwordx4 v[46:49], v[60:61], off
	v_fmac_f64_e32 v[32:33], v[70:71], v[2:3]
	v_fmac_f64_e32 v[30:31], v[72:73], v[2:3]
	global_load_dwordx4 v[0:3], v[60:61], off offset:16
	v_subrev_co_u32_e32 v110, vcc, s16, v56
	v_subb_co_u32_e32 v111, vcc, v57, v23, vcc
	s_waitcnt vmcnt(4)
	v_cvt_f64_f32_e32 v[112:113], v4
	v_cvt_f64_f32_e32 v[114:115], v5
	s_waitcnt vmcnt(3)
	v_subrev_co_u32_e64 v58, s[0:1], s16, v42
	s_waitcnt vmcnt(2)
	v_subrev_co_u32_e32 v56, vcc, s16, v44
	v_subb_co_u32_e32 v57, vcc, v45, v23, vcc
	v_subb_co_u32_e64 v59, s[0:1], v43, v23, s[0:1]
	v_cvt_f64_f32_e32 v[74:75], v6
	v_cvt_f64_f32_e32 v[62:63], v7
	global_load_dwordx4 v[6:9], v[60:61], off offset:32
	global_load_dwordx4 v[70:73], v[60:61], off offset:48
	s_waitcnt vmcnt(3)
	v_cvt_f64_f32_e32 v[42:43], v46
	v_cvt_f64_f32_e32 v[44:45], v47
	;; [unrolled: 1-line block ×3, first 2 shown]
	s_waitcnt vmcnt(2)
	v_cvt_f64_f32_e32 v[52:53], v0
	v_cvt_f64_f32_e32 v[54:55], v1
	;; [unrolled: 1-line block ×4, first 2 shown]
	global_load_dwordx4 v[2:5], v[108:109], off offset:16
	v_cvt_f64_f32_e32 v[48:49], v49
	s_waitcnt vmcnt(1)
	v_cvt_f64_f32_e32 v[66:67], v70
	v_cvt_f64_f32_e32 v[68:69], v71
	;; [unrolled: 1-line block ×4, first 2 shown]
	s_waitcnt vmcnt(0)
	v_fmac_f64_e32 v[36:37], v[78:79], v[2:3]
	v_lshlrev_b64 v[78:79], 5, v[110:111]
	v_fmac_f64_e32 v[36:37], v[86:87], v[4:5]
	v_add_co_u32_e32 v86, vcc, s6, v78
	v_addc_co_u32_e32 v87, vcc, v76, v79, vcc
	v_fmac_f64_e32 v[34:35], v[80:81], v[2:3]
	global_load_dwordx4 v[78:81], v[86:87], off
	v_fmac_f64_e32 v[32:33], v[82:83], v[2:3]
	v_fmac_f64_e32 v[30:31], v[84:85], v[2:3]
	;; [unrolled: 1-line block ×5, first 2 shown]
	global_load_dwordx4 v[82:85], v[60:61], off offset:2048
	v_cvt_f64_f32_e32 v[2:3], v6
	v_cvt_f64_f32_e32 v[4:5], v7
	;; [unrolled: 1-line block ×4, first 2 shown]
	s_waitcnt vmcnt(1)
	v_fmac_f64_e32 v[36:37], v[94:95], v[78:79]
	v_fmac_f64_e32 v[34:35], v[96:97], v[78:79]
	;; [unrolled: 1-line block ×8, first 2 shown]
	global_load_dwordx4 v[78:81], v[60:61], off offset:2064
	s_waitcnt vmcnt(1)
	v_cvt_f64_f32_e32 v[64:65], v82
	v_cvt_f64_f32_e32 v[88:89], v83
	;; [unrolled: 1-line block ×4, first 2 shown]
	global_load_dwordx4 v[82:85], v[60:61], off offset:2096
	s_waitcnt vmcnt(1)
	v_cvt_f64_f32_e32 v[94:95], v78
	v_cvt_f64_f32_e32 v[96:97], v79
	;; [unrolled: 1-line block ×4, first 2 shown]
	global_load_dwordx4 v[78:81], v[86:87], off offset:16
	s_waitcnt vmcnt(0)
	v_fmac_f64_e32 v[36:37], v[10:11], v[78:79]
	v_fmac_f64_e32 v[34:35], v[12:13], v[78:79]
	global_load_dwordx4 v[10:13], v[60:61], off offset:2080
	v_fmac_f64_e32 v[32:33], v[14:15], v[78:79]
	v_fmac_f64_e32 v[30:31], v[40:41], v[78:79]
	;; [unrolled: 1-line block ×6, first 2 shown]
	v_cvt_f64_f32_e32 v[78:79], v82
	v_cvt_f64_f32_e32 v[80:81], v83
	;; [unrolled: 1-line block ×4, first 2 shown]
	s_waitcnt vmcnt(0)
	v_cvt_f64_f32_e32 v[14:15], v10
	v_cvt_f64_f32_e32 v[60:61], v11
	v_lshlrev_b64 v[10:11], 5, v[58:59]
	v_add_co_u32_e32 v40, vcc, s6, v10
	v_addc_co_u32_e32 v41, vcc, v76, v11, vcc
	v_lshlrev_b64 v[10:11], 5, v[56:57]
	v_add_co_u32_e32 v56, vcc, s6, v10
	v_cvt_f64_f32_e32 v[62:63], v12
	v_cvt_f64_f32_e32 v[74:75], v13
	v_addc_co_u32_e32 v57, vcc, v76, v11, vcc
	global_load_dwordx4 v[10:13], v[40:41], off
	v_add_co_u32_e32 v24, vcc, 0x80, v24
	s_mov_b64 s[0:1], vcc
	v_add_co_u32_e32 v38, vcc, 0x400, v38
	s_mov_b64 s[2:3], vcc
	v_addc_co_u32_e64 v25, vcc, 0, v25, s[0:1]
	v_addc_co_u32_e64 v39, s[0:1], 0, v39, s[2:3]
	v_add_co_u32_e32 v28, vcc, 0x2000, v28
	v_cmp_ge_i64_e64 s[0:1], v[24:25], v[26:27]
	v_addc_co_u32_e32 v29, vcc, 0, v29, vcc
	s_or_b64 s[12:13], s[0:1], s[12:13]
	s_waitcnt vmcnt(0)
	v_fmac_f64_e32 v[36:37], v[42:43], v[10:11]
	global_load_dwordx4 v[40:43], v[40:41], off offset:16
	v_fmac_f64_e32 v[34:35], v[44:45], v[10:11]
	v_fmac_f64_e32 v[32:33], v[46:47], v[10:11]
	global_load_dwordx4 v[44:47], v[56:57], off
	v_fmac_f64_e32 v[30:31], v[48:49], v[10:11]
	v_fmac_f64_e32 v[32:33], v[50:51], v[12:13]
	global_load_dwordx4 v[48:51], v[56:57], off offset:16
	v_fmac_f64_e32 v[36:37], v[52:53], v[12:13]
	v_fmac_f64_e32 v[34:35], v[54:55], v[12:13]
	v_fmac_f64_e32 v[30:31], v[0:1], v[12:13]
	s_waitcnt vmcnt(2)
	v_fmac_f64_e32 v[36:37], v[2:3], v[40:41]
	v_fmac_f64_e32 v[34:35], v[4:5], v[40:41]
	v_fmac_f64_e32 v[32:33], v[6:7], v[40:41]
	v_fmac_f64_e32 v[30:31], v[8:9], v[40:41]
	v_fmac_f64_e32 v[36:37], v[66:67], v[42:43]
	v_fmac_f64_e32 v[34:35], v[68:69], v[42:43]
	v_fmac_f64_e32 v[32:33], v[70:71], v[42:43]
	v_fmac_f64_e32 v[30:31], v[72:73], v[42:43]
	s_waitcnt vmcnt(1)
	v_fmac_f64_e32 v[36:37], v[64:65], v[44:45]
	v_fmac_f64_e32 v[34:35], v[88:89], v[44:45]
	v_fmac_f64_e32 v[32:33], v[90:91], v[44:45]
	v_fmac_f64_e32 v[30:31], v[92:93], v[44:45]
	v_fmac_f64_e32 v[36:37], v[94:95], v[46:47]
	;; [unrolled: 9-line block ×3, first 2 shown]
	v_fmac_f64_e32 v[34:35], v[80:81], v[50:51]
	v_fmac_f64_e32 v[32:33], v[82:83], v[50:51]
	;; [unrolled: 1-line block ×3, first 2 shown]
	s_andn2_b64 exec, exec, s[12:13]
	s_cbranch_execnz .LBB163_35
; %bb.36:
	s_or_b64 exec, exec, s[12:13]
.LBB163_37:
	s_or_b64 exec, exec, s[10:11]
.LBB163_38:
	s_or_b64 exec, exec, s[8:9]
.LBB163_39:
	v_mov_b32_dpp v0, v36 row_shr:1 row_mask:0xf bank_mask:0xf
	v_mov_b32_dpp v1, v37 row_shr:1 row_mask:0xf bank_mask:0xf
	v_mov_b32_dpp v4, v34 row_shr:1 row_mask:0xf bank_mask:0xf
	v_mov_b32_dpp v5, v35 row_shr:1 row_mask:0xf bank_mask:0xf
	v_mov_b32_dpp v8, v32 row_shr:1 row_mask:0xf bank_mask:0xf
	v_mov_b32_dpp v9, v33 row_shr:1 row_mask:0xf bank_mask:0xf
	v_mov_b32_dpp v12, v30 row_shr:1 row_mask:0xf bank_mask:0xf
	v_mov_b32_dpp v13, v31 row_shr:1 row_mask:0xf bank_mask:0xf
	v_add_f64 v[0:1], v[36:37], v[0:1]
	v_add_f64 v[4:5], v[34:35], v[4:5]
	v_add_f64 v[8:9], v[32:33], v[8:9]
	v_add_f64 v[12:13], v[30:31], v[12:13]
	v_mov_b32_dpp v2, v0 row_shr:2 row_mask:0xf bank_mask:0xf
	v_mov_b32_dpp v3, v1 row_shr:2 row_mask:0xf bank_mask:0xf
	v_mov_b32_dpp v6, v4 row_shr:2 row_mask:0xf bank_mask:0xf
	v_mov_b32_dpp v7, v5 row_shr:2 row_mask:0xf bank_mask:0xf
	v_mov_b32_dpp v10, v8 row_shr:2 row_mask:0xf bank_mask:0xf
	v_mov_b32_dpp v11, v9 row_shr:2 row_mask:0xf bank_mask:0xf
	v_mov_b32_dpp v14, v12 row_shr:2 row_mask:0xf bank_mask:0xf
	v_mov_b32_dpp v15, v13 row_shr:2 row_mask:0xf bank_mask:0xf
	v_add_f64 v[0:1], v[0:1], v[2:3]
	v_add_f64 v[4:5], v[4:5], v[6:7]
	v_add_f64 v[8:9], v[8:9], v[10:11]
	v_add_f64 v[12:13], v[12:13], v[14:15]
	;; [unrolled: 12-line block ×4, first 2 shown]
	v_mov_b32_dpp v2, v0 row_bcast:15 row_mask:0xa bank_mask:0xf
	v_mov_b32_dpp v3, v1 row_bcast:15 row_mask:0xa bank_mask:0xf
	;; [unrolled: 1-line block ×8, first 2 shown]
	v_cmp_eq_u32_e32 vcc, 31, v22
	s_and_b64 exec, exec, vcc
	s_cbranch_execz .LBB163_10
; %bb.40:
	s_load_dwordx2 s[0:1], s[4:5], 0x58
	v_add_f64 v[0:1], v[0:1], v[2:3]
	v_add_f64 v[2:3], v[4:5], v[6:7]
	;; [unrolled: 1-line block ×4, first 2 shown]
	v_cmp_eq_f64_e32 vcc, 0, v[16:17]
	v_mul_f64 v[4:5], v[18:19], v[0:1]
	v_mul_f64 v[6:7], v[18:19], v[2:3]
	;; [unrolled: 1-line block ×4, first 2 shown]
	v_lshlrev_b64 v[8:9], 5, v[20:21]
	s_and_saveexec_b64 s[2:3], vcc
	s_xor_b64 s[2:3], exec, s[2:3]
	s_cbranch_execz .LBB163_42
; %bb.41:
	s_waitcnt lgkmcnt(0)
	v_mov_b32_e32 v10, s1
	v_add_co_u32_e32 v8, vcc, s0, v8
	v_addc_co_u32_e32 v9, vcc, v10, v9, vcc
	global_store_dwordx4 v[8:9], v[4:7], off
	global_store_dwordx4 v[8:9], v[0:3], off offset:16
                                        ; implicit-def: $vgpr8_vgpr9
                                        ; implicit-def: $vgpr16_vgpr17
                                        ; implicit-def: $vgpr4_vgpr5
                                        ; implicit-def: $vgpr0_vgpr1
.LBB163_42:
	s_andn2_saveexec_b64 s[2:3], s[2:3]
	s_cbranch_execz .LBB163_10
; %bb.43:
	s_waitcnt lgkmcnt(0)
	v_mov_b32_e32 v10, s1
	v_add_co_u32_e32 v18, vcc, s0, v8
	v_addc_co_u32_e32 v19, vcc, v10, v9, vcc
	global_load_dwordx4 v[8:11], v[18:19], off
	global_load_dwordx4 v[12:15], v[18:19], off offset:16
	s_waitcnt vmcnt(1)
	v_fmac_f64_e32 v[4:5], v[16:17], v[8:9]
	v_fmac_f64_e32 v[6:7], v[16:17], v[10:11]
	s_waitcnt vmcnt(0)
	v_fmac_f64_e32 v[0:1], v[16:17], v[12:13]
	v_fmac_f64_e32 v[2:3], v[16:17], v[14:15]
	global_store_dwordx4 v[18:19], v[4:7], off
	global_store_dwordx4 v[18:19], v[0:3], off offset:16
	s_endpgm
	.section	.rodata,"a",@progbits
	.p2align	6, 0x0
	.amdhsa_kernel _ZN9rocsparseL18bsrxmvn_4x4_kernelILj128ELj32EdllfddEEvT3_20rocsparse_direction_NS_24const_host_device_scalarIT1_EES1_PKS1_PKT2_SA_S7_PKT4_PKT5_S5_PT6_21rocsparse_index_base_b
		.amdhsa_group_segment_fixed_size 0
		.amdhsa_private_segment_fixed_size 0
		.amdhsa_kernarg_size 104
		.amdhsa_user_sgpr_count 6
		.amdhsa_user_sgpr_private_segment_buffer 1
		.amdhsa_user_sgpr_dispatch_ptr 0
		.amdhsa_user_sgpr_queue_ptr 0
		.amdhsa_user_sgpr_kernarg_segment_ptr 1
		.amdhsa_user_sgpr_dispatch_id 0
		.amdhsa_user_sgpr_flat_scratch_init 0
		.amdhsa_user_sgpr_kernarg_preload_length 0
		.amdhsa_user_sgpr_kernarg_preload_offset 0
		.amdhsa_user_sgpr_private_segment_size 0
		.amdhsa_uses_dynamic_stack 0
		.amdhsa_system_sgpr_private_segment_wavefront_offset 0
		.amdhsa_system_sgpr_workgroup_id_x 1
		.amdhsa_system_sgpr_workgroup_id_y 0
		.amdhsa_system_sgpr_workgroup_id_z 0
		.amdhsa_system_sgpr_workgroup_info 0
		.amdhsa_system_vgpr_workitem_id 0
		.amdhsa_next_free_vgpr 116
		.amdhsa_next_free_sgpr 22
		.amdhsa_accum_offset 116
		.amdhsa_reserve_vcc 1
		.amdhsa_reserve_flat_scratch 0
		.amdhsa_float_round_mode_32 0
		.amdhsa_float_round_mode_16_64 0
		.amdhsa_float_denorm_mode_32 3
		.amdhsa_float_denorm_mode_16_64 3
		.amdhsa_dx10_clamp 1
		.amdhsa_ieee_mode 1
		.amdhsa_fp16_overflow 0
		.amdhsa_tg_split 0
		.amdhsa_exception_fp_ieee_invalid_op 0
		.amdhsa_exception_fp_denorm_src 0
		.amdhsa_exception_fp_ieee_div_zero 0
		.amdhsa_exception_fp_ieee_overflow 0
		.amdhsa_exception_fp_ieee_underflow 0
		.amdhsa_exception_fp_ieee_inexact 0
		.amdhsa_exception_int_div_zero 0
	.end_amdhsa_kernel
	.section	.text._ZN9rocsparseL18bsrxmvn_4x4_kernelILj128ELj32EdllfddEEvT3_20rocsparse_direction_NS_24const_host_device_scalarIT1_EES1_PKS1_PKT2_SA_S7_PKT4_PKT5_S5_PT6_21rocsparse_index_base_b,"axG",@progbits,_ZN9rocsparseL18bsrxmvn_4x4_kernelILj128ELj32EdllfddEEvT3_20rocsparse_direction_NS_24const_host_device_scalarIT1_EES1_PKS1_PKT2_SA_S7_PKT4_PKT5_S5_PT6_21rocsparse_index_base_b,comdat
.Lfunc_end163:
	.size	_ZN9rocsparseL18bsrxmvn_4x4_kernelILj128ELj32EdllfddEEvT3_20rocsparse_direction_NS_24const_host_device_scalarIT1_EES1_PKS1_PKT2_SA_S7_PKT4_PKT5_S5_PT6_21rocsparse_index_base_b, .Lfunc_end163-_ZN9rocsparseL18bsrxmvn_4x4_kernelILj128ELj32EdllfddEEvT3_20rocsparse_direction_NS_24const_host_device_scalarIT1_EES1_PKS1_PKT2_SA_S7_PKT4_PKT5_S5_PT6_21rocsparse_index_base_b
                                        ; -- End function
	.section	.AMDGPU.csdata,"",@progbits
; Kernel info:
; codeLenInByte = 4428
; NumSgprs: 26
; NumVgprs: 116
; NumAgprs: 0
; TotalNumVgprs: 116
; ScratchSize: 0
; MemoryBound: 0
; FloatMode: 240
; IeeeMode: 1
; LDSByteSize: 0 bytes/workgroup (compile time only)
; SGPRBlocks: 3
; VGPRBlocks: 14
; NumSGPRsForWavesPerEU: 26
; NumVGPRsForWavesPerEU: 116
; AccumOffset: 116
; Occupancy: 4
; WaveLimiterHint : 1
; COMPUTE_PGM_RSRC2:SCRATCH_EN: 0
; COMPUTE_PGM_RSRC2:USER_SGPR: 6
; COMPUTE_PGM_RSRC2:TRAP_HANDLER: 0
; COMPUTE_PGM_RSRC2:TGID_X_EN: 1
; COMPUTE_PGM_RSRC2:TGID_Y_EN: 0
; COMPUTE_PGM_RSRC2:TGID_Z_EN: 0
; COMPUTE_PGM_RSRC2:TIDIG_COMP_CNT: 0
; COMPUTE_PGM_RSRC3_GFX90A:ACCUM_OFFSET: 28
; COMPUTE_PGM_RSRC3_GFX90A:TG_SPLIT: 0
	.section	.text._ZN9rocsparseL18bsrxmvn_4x4_kernelILj128ELj64EdllfddEEvT3_20rocsparse_direction_NS_24const_host_device_scalarIT1_EES1_PKS1_PKT2_SA_S7_PKT4_PKT5_S5_PT6_21rocsparse_index_base_b,"axG",@progbits,_ZN9rocsparseL18bsrxmvn_4x4_kernelILj128ELj64EdllfddEEvT3_20rocsparse_direction_NS_24const_host_device_scalarIT1_EES1_PKS1_PKT2_SA_S7_PKT4_PKT5_S5_PT6_21rocsparse_index_base_b,comdat
	.globl	_ZN9rocsparseL18bsrxmvn_4x4_kernelILj128ELj64EdllfddEEvT3_20rocsparse_direction_NS_24const_host_device_scalarIT1_EES1_PKS1_PKT2_SA_S7_PKT4_PKT5_S5_PT6_21rocsparse_index_base_b ; -- Begin function _ZN9rocsparseL18bsrxmvn_4x4_kernelILj128ELj64EdllfddEEvT3_20rocsparse_direction_NS_24const_host_device_scalarIT1_EES1_PKS1_PKT2_SA_S7_PKT4_PKT5_S5_PT6_21rocsparse_index_base_b
	.p2align	8
	.type	_ZN9rocsparseL18bsrxmvn_4x4_kernelILj128ELj64EdllfddEEvT3_20rocsparse_direction_NS_24const_host_device_scalarIT1_EES1_PKS1_PKT2_SA_S7_PKT4_PKT5_S5_PT6_21rocsparse_index_base_b,@function
_ZN9rocsparseL18bsrxmvn_4x4_kernelILj128ELj64EdllfddEEvT3_20rocsparse_direction_NS_24const_host_device_scalarIT1_EES1_PKS1_PKT2_SA_S7_PKT4_PKT5_S5_PT6_21rocsparse_index_base_b: ; @_ZN9rocsparseL18bsrxmvn_4x4_kernelILj128ELj64EdllfddEEvT3_20rocsparse_direction_NS_24const_host_device_scalarIT1_EES1_PKS1_PKT2_SA_S7_PKT4_PKT5_S5_PT6_21rocsparse_index_base_b
; %bb.0:
	s_load_dwordx2 s[16:17], s[4:5], 0x60
	s_load_dwordx4 s[0:3], s[4:5], 0x10
	s_load_dwordx2 s[8:9], s[4:5], 0x50
	s_waitcnt lgkmcnt(0)
	s_bitcmp1_b32 s17, 0
	s_cselect_b64 s[12:13], -1, 0
	s_xor_b64 s[10:11], s[12:13], -1
	s_and_b64 vcc, exec, s[12:13]
	v_pk_mov_b32 v[18:19], s[0:1], s[0:1] op_sel:[0,1]
	s_cbranch_vccnz .LBB164_2
; %bb.1:
	v_pk_mov_b32 v[2:3], s[0:1], s[0:1] op_sel:[0,1]
	flat_load_dwordx2 v[18:19], v[2:3]
.LBB164_2:
	s_andn2_b64 vcc, exec, s[10:11]
	v_pk_mov_b32 v[16:17], s[8:9], s[8:9] op_sel:[0,1]
	s_cbranch_vccnz .LBB164_4
; %bb.3:
	v_pk_mov_b32 v[2:3], s[8:9], s[8:9] op_sel:[0,1]
	flat_load_dwordx2 v[16:17], v[2:3]
.LBB164_4:
	s_waitcnt vmcnt(0) lgkmcnt(0)
	v_cmp_neq_f64_e32 vcc, 0, v[18:19]
	v_cmp_neq_f64_e64 s[0:1], 1.0, v[16:17]
	s_mov_b64 s[8:9], 0
	s_or_b64 s[0:1], vcc, s[0:1]
	s_and_saveexec_b64 s[10:11], s[0:1]
	s_cbranch_execz .LBB164_10
; %bb.5:
	s_load_dwordx2 s[10:11], s[4:5], 0x20
	v_lshrrev_b32_e32 v1, 6, v0
	v_lshl_or_b32 v2, s6, 1, v1
	v_mov_b32_e32 v3, 0
	s_mov_b64 s[0:1], 0
	s_waitcnt lgkmcnt(0)
	s_cmp_lg_u64 s[10:11], 0
	s_cbranch_scc0 .LBB164_11
; %bb.6:
	v_cmp_gt_i64_e32 vcc, s[2:3], v[2:3]
                                        ; implicit-def: $vgpr20_vgpr21
	s_and_saveexec_b64 s[2:3], vcc
	s_xor_b64 s[2:3], exec, s[2:3]
                                        ; implicit-def: $sgpr6_sgpr7
	s_cbranch_execz .LBB164_8
; %bb.7:
	v_lshlrev_b64 v[4:5], 3, v[2:3]
	v_mov_b32_e32 v1, s11
	v_add_co_u32_e32 v4, vcc, s10, v4
	v_addc_co_u32_e32 v5, vcc, v1, v5, vcc
	global_load_dwordx2 v[4:5], v[4:5], off
	s_mov_b64 s[0:1], exec
	s_mov_b32 s7, 0
	s_waitcnt vmcnt(0)
	v_subrev_co_u32_e32 v20, vcc, s16, v4
	v_subbrev_co_u32_e32 v21, vcc, 0, v5, vcc
.LBB164_8:
	s_or_b64 exec, exec, s[2:3]
	s_mov_b64 s[8:9], s[0:1]
.LBB164_9:
	s_and_b64 exec, exec, s[8:9]
	s_cbranch_execnz .LBB164_15
.LBB164_10:
	s_endpgm
.LBB164_11:
                                        ; implicit-def: $vgpr20_vgpr21
                                        ; implicit-def: $sgpr6_sgpr7
	s_cbranch_execz .LBB164_9
; %bb.12:
	s_load_dwordx2 s[0:1], s[4:5], 0x0
                                        ; implicit-def: $vgpr20_vgpr21
	s_waitcnt lgkmcnt(0)
	v_cmp_gt_i64_e32 vcc, s[0:1], v[2:3]
	s_and_saveexec_b64 s[0:1], vcc
                                        ; implicit-def: $sgpr6_sgpr7
; %bb.13:
	s_mov_b32 s7, 0
	s_or_b64 s[8:9], s[8:9], exec
	v_pk_mov_b32 v[20:21], v[2:3], v[2:3] op_sel:[0,1]
; %bb.14:
	s_or_b64 exec, exec, s[0:1]
	s_and_b64 exec, exec, s[8:9]
	s_cbranch_execz .LBB164_10
.LBB164_15:
	s_load_dwordx8 s[8:15], s[4:5], 0x28
	v_lshlrev_b64 v[4:5], 3, v[20:21]
	v_and_b32_e32 v22, 63, v0
	v_mov_b32_e32 v0, s7
	s_waitcnt lgkmcnt(0)
	v_mov_b32_e32 v1, s9
	v_add_co_u32_e32 v6, vcc, s8, v4
	v_addc_co_u32_e32 v7, vcc, v1, v5, vcc
	v_add_co_u32_e32 v1, vcc, 8, v6
	global_load_dwordx2 v[2:3], v[6:7], off
	v_addc_co_u32_e32 v6, vcc, 0, v7, vcc
	v_mov_b32_e32 v7, s11
	v_add_co_u32_e32 v4, vcc, s10, v4
	s_cmp_eq_u64 s[10:11], 0
	v_addc_co_u32_e32 v5, vcc, v7, v5, vcc
	s_cselect_b64 vcc, -1, 0
	v_cndmask_b32_e32 v5, v5, v6, vcc
	v_cndmask_b32_e32 v4, v4, v1, vcc
	global_load_dwordx2 v[4:5], v[4:5], off
	s_load_dword s0, s[4:5], 0x8
	s_load_dwordx2 s[8:9], s[4:5], 0x48
	v_mov_b32_e32 v6, s15
	s_waitcnt lgkmcnt(0)
	s_cmp_eq_u32 s0, 1
	s_waitcnt vmcnt(1)
	v_subrev_co_u32_e32 v1, vcc, s16, v2
	v_subb_co_u32_e32 v7, vcc, v3, v0, vcc
	v_add_co_u32_e32 v26, vcc, v1, v22
	v_addc_co_u32_e32 v27, vcc, 0, v7, vcc
	s_waitcnt vmcnt(0)
	v_subrev_co_u32_e32 v28, vcc, s16, v4
	v_subb_co_u32_e32 v29, vcc, v5, v0, vcc
	v_lshlrev_b64 v[0:1], 6, v[26:27]
	v_add_co_u32_e32 v30, vcc, s14, v0
	v_addc_co_u32_e32 v31, vcc, v6, v1, vcc
	v_cmp_lt_i64_e64 s[0:1], v[26:27], v[28:29]
	s_cbranch_scc1 .LBB164_27
; %bb.16:
	v_pk_mov_b32 v[24:25], 0, 0
	s_mov_b64 s[10:11], 0
	v_pk_mov_b32 v[32:33], v[24:25], v[24:25] op_sel:[0,1]
	v_pk_mov_b32 v[34:35], v[24:25], v[24:25] op_sel:[0,1]
	;; [unrolled: 1-line block ×3, first 2 shown]
	s_and_saveexec_b64 s[14:15], s[0:1]
	s_cbranch_execz .LBB164_26
; %bb.17:
	v_or_b32_e32 v0, 64, v22
	v_mov_b32_e32 v1, s7
	v_subrev_co_u32_e32 v0, vcc, s16, v0
	v_subb_co_u32_e32 v1, vcc, 0, v1, vcc
	v_add_co_u32_e32 v0, vcc, v0, v2
	v_addc_co_u32_e32 v1, vcc, v1, v3, vcc
	v_cmp_gt_i64_e32 vcc, v[0:1], v[28:29]
	v_cndmask_b32_e32 v1, v29, v1, vcc
	v_cndmask_b32_e32 v0, v28, v0, vcc
	v_mov_b32_e32 v6, s7
	v_sub_co_u32_e32 v7, vcc, s16, v22
	v_not_b32_e32 v5, v2
	v_subbrev_co_u32_e32 v6, vcc, 0, v6, vcc
	v_not_b32_e32 v4, v3
	v_add_co_u32_e32 v5, vcc, v7, v5
	v_addc_co_u32_e32 v4, vcc, v6, v4, vcc
	v_add_co_u32_e32 v6, vcc, v5, v0
	v_lshrrev_b32_e32 v0, 6, v6
	v_add_u32_e32 v0, 1, v0
	v_addc_co_u32_e32 v7, vcc, v4, v1, vcc
	v_and_b32_e32 v8, 3, v0
	v_pk_mov_b32 v[36:37], 0, 0
	v_cmp_ne_u32_e32 vcc, 0, v8
	s_mov_b64 s[20:21], 0
	v_pk_mov_b32 v[34:35], v[36:37], v[36:37] op_sel:[0,1]
	v_pk_mov_b32 v[32:33], v[36:37], v[36:37] op_sel:[0,1]
	;; [unrolled: 1-line block ×5, first 2 shown]
	s_and_saveexec_b64 s[18:19], vcc
	s_cbranch_execz .LBB164_21
; %bb.18:
	v_lshlrev_b64 v[0:1], 3, v[26:27]
	v_mov_b32_e32 v4, s13
	v_add_co_u32_e32 v10, vcc, s12, v0
	v_pk_mov_b32 v[24:25], 0, 0
	v_mov_b32_e32 v9, 0
	v_addc_co_u32_e32 v11, vcc, v4, v1, vcc
	v_lshlrev_b32_e32 v8, 3, v8
	s_movk_i32 s6, 0x1000
	v_mov_b32_e32 v12, s7
	v_mov_b32_e32 v13, s9
	v_pk_mov_b32 v[4:5], v[30:31], v[30:31] op_sel:[0,1]
	v_pk_mov_b32 v[0:1], v[26:27], v[26:27] op_sel:[0,1]
	v_pk_mov_b32 v[32:33], v[24:25], v[24:25] op_sel:[0,1]
	v_pk_mov_b32 v[34:35], v[24:25], v[24:25] op_sel:[0,1]
	v_pk_mov_b32 v[36:37], v[24:25], v[24:25] op_sel:[0,1]
.LBB164_19:                             ; =>This Inner Loop Header: Depth=1
	global_load_dwordx2 v[14:15], v[10:11], off
	global_load_dwordx4 v[38:41], v[4:5], off
	global_load_dwordx4 v[42:45], v[4:5], off offset:16
	global_load_dwordx4 v[46:49], v[4:5], off offset:48
	;; [unrolled: 1-line block ×3, first 2 shown]
	v_add_co_u32_e64 v0, s[2:3], 64, v0
	v_addc_co_u32_e64 v1, s[2:3], 0, v1, s[2:3]
	v_add_co_u32_e64 v8, s[2:3], -8, v8
	v_addc_co_u32_e64 v9, s[2:3], -1, v9, s[2:3]
	v_cmp_eq_u64_e64 s[2:3], 0, v[8:9]
	s_or_b64 s[20:21], s[2:3], s[20:21]
	s_waitcnt vmcnt(4)
	v_subrev_co_u32_e32 v14, vcc, s16, v14
	v_subb_co_u32_e32 v15, vcc, v15, v12, vcc
	v_lshlrev_b64 v[14:15], 5, v[14:15]
	v_add_co_u32_e32 v14, vcc, s8, v14
	v_addc_co_u32_e32 v15, vcc, v13, v15, vcc
	global_load_dwordx4 v[54:57], v[14:15], off
	global_load_dwordx4 v[58:61], v[14:15], off offset:16
	s_waitcnt vmcnt(5)
	v_cvt_f64_f32_e32 v[14:15], v38
	s_waitcnt vmcnt(4)
	v_cvt_f64_f32_e32 v[64:65], v42
	s_waitcnt vmcnt(2)
	v_cvt_f64_f32_e32 v[68:69], v50
	v_cvt_f64_f32_e32 v[72:73], v46
	v_add_co_u32_e32 v4, vcc, s6, v4
	v_cvt_f64_f32_e32 v[38:39], v39
	v_cvt_f64_f32_e32 v[42:43], v43
	;; [unrolled: 1-line block ×4, first 2 shown]
	v_addc_co_u32_e32 v5, vcc, 0, v5, vcc
	v_cvt_f64_f32_e32 v[62:63], v40
	v_cvt_f64_f32_e32 v[66:67], v44
	;; [unrolled: 1-line block ×4, first 2 shown]
	v_add_co_u32_e32 v10, vcc, 0x200, v10
	v_cvt_f64_f32_e32 v[40:41], v41
	v_cvt_f64_f32_e32 v[44:45], v45
	;; [unrolled: 1-line block ×4, first 2 shown]
	v_addc_co_u32_e32 v11, vcc, 0, v11, vcc
	s_waitcnt vmcnt(1)
	v_fmac_f64_e32 v[36:37], v[14:15], v[54:55]
	v_fmac_f64_e32 v[34:35], v[64:65], v[54:55]
	;; [unrolled: 1-line block ×8, first 2 shown]
	s_waitcnt vmcnt(0)
	v_fmac_f64_e32 v[36:37], v[62:63], v[58:59]
	v_fmac_f64_e32 v[34:35], v[66:67], v[58:59]
	;; [unrolled: 1-line block ×8, first 2 shown]
	s_andn2_b64 exec, exec, s[20:21]
	s_cbranch_execnz .LBB164_19
; %bb.20:
	s_or_b64 exec, exec, s[20:21]
.LBB164_21:
	s_or_b64 exec, exec, s[18:19]
	s_mov_b64 s[2:3], 0xbf
	v_cmp_lt_u64_e32 vcc, s[2:3], v[6:7]
	s_and_saveexec_b64 s[18:19], vcc
	s_cbranch_execz .LBB164_25
; %bb.22:
	v_lshlrev_b64 v[6:7], 3, v[0:1]
	v_mov_b32_e32 v8, s13
	v_add_co_u32_e32 v6, vcc, s12, v6
	v_addc_co_u32_e32 v7, vcc, v7, v8, vcc
	v_add_co_u32_e32 v6, vcc, 0x400, v6
	v_addc_co_u32_e32 v7, vcc, 0, v7, vcc
	s_mov_b64 s[20:21], 0
	v_mov_b32_e32 v8, s7
	v_mov_b32_e32 v9, s9
	s_movk_i32 s6, 0x1000
	s_movk_i32 s17, 0x2000
	;; [unrolled: 1-line block ×3, first 2 shown]
.LBB164_23:                             ; =>This Inner Loop Header: Depth=1
	global_load_dwordx2 v[10:11], v[6:7], off offset:-1024
	s_waitcnt vmcnt(0)
	v_subrev_co_u32_e32 v14, vcc, s16, v10
	v_subb_co_u32_e32 v15, vcc, v11, v8, vcc
	v_lshlrev_b64 v[14:15], 5, v[14:15]
	v_add_co_u32_e32 v14, vcc, s8, v14
	global_load_dwordx4 v[10:13], v[4:5], off offset:48
	global_load_dwordx4 v[38:41], v[4:5], off offset:32
	;; [unrolled: 1-line block ×3, first 2 shown]
	global_load_dwordx4 v[46:49], v[4:5], off
	v_addc_co_u32_e32 v15, vcc, v9, v15, vcc
	global_load_dwordx4 v[50:53], v[14:15], off offset:16
	global_load_dwordx4 v[54:57], v[14:15], off
	s_waitcnt vmcnt(2)
	v_cvt_f64_f32_e32 v[58:59], v46
	v_cvt_f64_f32_e32 v[14:15], v47
	s_waitcnt vmcnt(0)
	v_fmac_f64_e32 v[36:37], v[58:59], v[54:55]
	v_fmac_f64_e32 v[36:37], v[14:15], v[56:57]
	v_cvt_f64_f32_e32 v[14:15], v48
	v_fmac_f64_e32 v[36:37], v[14:15], v[50:51]
	v_cvt_f64_f32_e32 v[14:15], v49
	;; [unrolled: 2-line block ×14, first 2 shown]
	v_fmac_f64_e32 v[24:25], v[10:11], v[52:53]
	global_load_dwordx2 v[10:11], v[6:7], off offset:-512
	v_add_co_u32_e32 v14, vcc, s6, v4
	v_addc_co_u32_e32 v15, vcc, 0, v5, vcc
	s_waitcnt vmcnt(0)
	v_subrev_co_u32_e32 v50, vcc, s16, v10
	v_subb_co_u32_e32 v51, vcc, v11, v8, vcc
	v_add_co_u32_e32 v58, vcc, s17, v4
	v_addc_co_u32_e32 v59, vcc, 0, v5, vcc
	v_lshlrev_b64 v[50:51], 5, v[50:51]
	v_add_co_u32_e32 v60, vcc, s8, v50
	v_addc_co_u32_e32 v61, vcc, v9, v51, vcc
	global_load_dwordx4 v[10:13], v[58:59], off offset:-4096
	global_load_dwordx4 v[38:41], v[14:15], off offset:48
	global_load_dwordx4 v[42:45], v[14:15], off offset:32
	;; [unrolled: 1-line block ×4, first 2 shown]
	global_load_dwordx4 v[54:57], v[60:61], off
	s_waitcnt vmcnt(5)
	v_cvt_f64_f32_e32 v[14:15], v10
	v_cvt_f64_f32_e32 v[10:11], v11
	s_waitcnt vmcnt(0)
	v_fmac_f64_e32 v[36:37], v[14:15], v[54:55]
	v_fmac_f64_e32 v[36:37], v[10:11], v[56:57]
	v_cvt_f64_f32_e32 v[10:11], v12
	v_fmac_f64_e32 v[36:37], v[10:11], v[50:51]
	v_cvt_f64_f32_e32 v[10:11], v13
	;; [unrolled: 2-line block ×14, first 2 shown]
	v_fmac_f64_e32 v[24:25], v[10:11], v[52:53]
	global_load_dwordx2 v[10:11], v[6:7], off
	s_waitcnt vmcnt(0)
	v_subrev_co_u32_e32 v14, vcc, s16, v10
	v_subb_co_u32_e32 v15, vcc, v11, v8, vcc
	v_lshlrev_b64 v[14:15], 5, v[14:15]
	v_add_co_u32_e32 v14, vcc, s8, v14
	v_addc_co_u32_e32 v15, vcc, v9, v15, vcc
	global_load_dwordx4 v[10:13], v[58:59], off
	global_load_dwordx4 v[38:41], v[58:59], off offset:48
	global_load_dwordx4 v[42:45], v[58:59], off offset:32
	;; [unrolled: 1-line block ×4, first 2 shown]
	global_load_dwordx4 v[54:57], v[14:15], off
	s_waitcnt vmcnt(5)
	v_cvt_f64_f32_e32 v[58:59], v10
	v_cvt_f64_f32_e32 v[10:11], v11
	s_waitcnt vmcnt(0)
	v_fmac_f64_e32 v[36:37], v[58:59], v[54:55]
	v_fmac_f64_e32 v[36:37], v[10:11], v[56:57]
	v_cvt_f64_f32_e32 v[10:11], v12
	v_fmac_f64_e32 v[36:37], v[10:11], v[50:51]
	v_cvt_f64_f32_e32 v[10:11], v13
	;; [unrolled: 2-line block ×14, first 2 shown]
	v_fmac_f64_e32 v[24:25], v[10:11], v[52:53]
	global_load_dwordx2 v[10:11], v[6:7], off offset:512
	s_waitcnt vmcnt(0)
	v_subrev_co_u32_e32 v14, vcc, s16, v10
	v_subb_co_u32_e32 v15, vcc, v11, v8, vcc
	v_add_co_u32_e32 v50, vcc, s22, v4
	v_addc_co_u32_e32 v51, vcc, 0, v5, vcc
	v_lshlrev_b64 v[14:15], 5, v[14:15]
	v_add_co_u32_e32 v14, vcc, s8, v14
	v_addc_co_u32_e32 v15, vcc, v9, v15, vcc
	global_load_dwordx4 v[10:13], v[50:51], off
	global_load_dwordx4 v[38:41], v[50:51], off offset:48
	global_load_dwordx4 v[42:45], v[50:51], off offset:32
	;; [unrolled: 1-line block ×3, first 2 shown]
	s_nop 0
	global_load_dwordx4 v[50:53], v[14:15], off offset:16
	global_load_dwordx4 v[54:57], v[14:15], off
	v_add_co_u32_e32 v0, vcc, 0x100, v0
	v_addc_co_u32_e32 v1, vcc, 0, v1, vcc
	v_add_co_u32_e32 v6, vcc, 0x800, v6
	v_addc_co_u32_e32 v7, vcc, 0, v7, vcc
	v_cmp_ge_i64_e64 s[2:3], v[0:1], v[28:29]
	v_add_co_u32_e32 v4, vcc, 0x4000, v4
	v_addc_co_u32_e32 v5, vcc, 0, v5, vcc
	s_or_b64 s[20:21], s[2:3], s[20:21]
	s_waitcnt vmcnt(5)
	v_cvt_f64_f32_e32 v[58:59], v10
	v_cvt_f64_f32_e32 v[10:11], v11
	s_waitcnt vmcnt(0)
	v_fmac_f64_e32 v[36:37], v[58:59], v[54:55]
	v_fmac_f64_e32 v[36:37], v[10:11], v[56:57]
	v_cvt_f64_f32_e32 v[10:11], v12
	v_fmac_f64_e32 v[36:37], v[10:11], v[50:51]
	v_cvt_f64_f32_e32 v[10:11], v13
	;; [unrolled: 2-line block ×14, first 2 shown]
	v_fmac_f64_e32 v[24:25], v[10:11], v[52:53]
	s_andn2_b64 exec, exec, s[20:21]
	s_cbranch_execnz .LBB164_23
; %bb.24:
	s_or_b64 exec, exec, s[20:21]
.LBB164_25:
	s_or_b64 exec, exec, s[18:19]
.LBB164_26:
	s_or_b64 exec, exec, s[14:15]
	s_andn2_b64 vcc, exec, s[10:11]
	s_cbranch_vccz .LBB164_28
	s_branch .LBB164_39
.LBB164_27:
                                        ; implicit-def: $vgpr24_vgpr25
                                        ; implicit-def: $vgpr32_vgpr33
                                        ; implicit-def: $vgpr34_vgpr35
                                        ; implicit-def: $vgpr36_vgpr37
.LBB164_28:
	v_pk_mov_b32 v[24:25], 0, 0
	v_pk_mov_b32 v[32:33], v[24:25], v[24:25] op_sel:[0,1]
	v_pk_mov_b32 v[34:35], v[24:25], v[24:25] op_sel:[0,1]
	;; [unrolled: 1-line block ×3, first 2 shown]
	s_and_saveexec_b64 s[10:11], s[0:1]
	s_cbranch_execz .LBB164_38
; %bb.29:
	v_or_b32_e32 v0, 64, v22
	v_mov_b32_e32 v1, s7
	v_subrev_co_u32_e32 v0, vcc, s16, v0
	v_subb_co_u32_e32 v1, vcc, 0, v1, vcc
	v_add_co_u32_e32 v0, vcc, v0, v2
	v_addc_co_u32_e32 v1, vcc, v1, v3, vcc
	v_cmp_gt_i64_e32 vcc, v[0:1], v[28:29]
	v_cndmask_b32_e32 v1, v29, v1, vcc
	v_cndmask_b32_e32 v0, v28, v0, vcc
	v_mov_b32_e32 v4, s7
	v_sub_co_u32_e32 v5, vcc, s16, v22
	v_not_b32_e32 v2, v2
	v_subbrev_co_u32_e32 v4, vcc, 0, v4, vcc
	v_not_b32_e32 v3, v3
	v_add_co_u32_e32 v2, vcc, v5, v2
	v_addc_co_u32_e32 v3, vcc, v4, v3, vcc
	v_add_co_u32_e32 v0, vcc, v2, v0
	v_lshrrev_b32_e32 v2, 6, v0
	v_add_u32_e32 v2, 1, v2
	v_addc_co_u32_e32 v1, vcc, v3, v1, vcc
	v_and_b32_e32 v2, 3, v2
	v_pk_mov_b32 v[36:37], 0, 0
	v_cmp_ne_u32_e32 vcc, 0, v2
	s_mov_b64 s[14:15], 0
	v_pk_mov_b32 v[34:35], v[36:37], v[36:37] op_sel:[0,1]
	v_pk_mov_b32 v[32:33], v[36:37], v[36:37] op_sel:[0,1]
	;; [unrolled: 1-line block ×3, first 2 shown]
	s_and_saveexec_b64 s[2:3], vcc
	s_cbranch_execz .LBB164_33
; %bb.30:
	v_lshlrev_b64 v[4:5], 3, v[26:27]
	v_mov_b32_e32 v6, s13
	v_add_co_u32_e32 v4, vcc, s12, v4
	v_pk_mov_b32 v[24:25], 0, 0
	v_mov_b32_e32 v3, 0
	v_addc_co_u32_e32 v5, vcc, v6, v5, vcc
	v_lshlrev_b32_e32 v2, 3, v2
	s_movk_i32 s6, 0x1000
	v_mov_b32_e32 v6, s7
	v_mov_b32_e32 v7, s9
	v_pk_mov_b32 v[32:33], v[24:25], v[24:25] op_sel:[0,1]
	v_pk_mov_b32 v[34:35], v[24:25], v[24:25] op_sel:[0,1]
	;; [unrolled: 1-line block ×3, first 2 shown]
.LBB164_31:                             ; =>This Inner Loop Header: Depth=1
	global_load_dwordx2 v[42:43], v[4:5], off
	global_load_dwordx4 v[8:11], v[30:31], off offset:32
	global_load_dwordx4 v[12:15], v[30:31], off offset:16
	global_load_dwordx4 v[38:41], v[30:31], off
	v_add_co_u32_e64 v26, s[0:1], 64, v26
	v_addc_co_u32_e64 v27, s[0:1], 0, v27, s[0:1]
	v_add_co_u32_e64 v2, s[0:1], -8, v2
	v_addc_co_u32_e64 v3, s[0:1], -1, v3, s[0:1]
	v_cmp_eq_u64_e64 s[0:1], 0, v[2:3]
	s_or_b64 s[14:15], s[0:1], s[14:15]
	s_waitcnt vmcnt(3)
	v_subrev_co_u32_e32 v42, vcc, s16, v42
	v_subb_co_u32_e32 v43, vcc, v43, v6, vcc
	v_lshlrev_b64 v[42:43], 5, v[42:43]
	v_add_co_u32_e32 v54, vcc, s8, v42
	v_addc_co_u32_e32 v55, vcc, v7, v43, vcc
	global_load_dwordx4 v[42:45], v[54:55], off offset:16
	global_load_dwordx4 v[46:49], v[54:55], off
	global_load_dwordx4 v[50:53], v[30:31], off offset:48
	s_waitcnt vmcnt(3)
	v_cvt_f64_f32_e32 v[54:55], v38
	v_cvt_f64_f32_e32 v[38:39], v39
	;; [unrolled: 1-line block ×4, first 2 shown]
	v_add_co_u32_e32 v30, vcc, s6, v30
	v_cvt_f64_f32_e32 v[58:59], v12
	v_cvt_f64_f32_e32 v[12:13], v13
	;; [unrolled: 1-line block ×4, first 2 shown]
	v_addc_co_u32_e32 v31, vcc, 0, v31, vcc
	v_cvt_f64_f32_e32 v[62:63], v8
	v_cvt_f64_f32_e32 v[8:9], v9
	;; [unrolled: 1-line block ×4, first 2 shown]
	v_add_co_u32_e32 v4, vcc, 0x200, v4
	v_addc_co_u32_e32 v5, vcc, 0, v5, vcc
	s_waitcnt vmcnt(1)
	v_fmac_f64_e32 v[36:37], v[54:55], v[46:47]
	v_fmac_f64_e32 v[34:35], v[38:39], v[46:47]
	;; [unrolled: 1-line block ×8, first 2 shown]
	s_waitcnt vmcnt(0)
	v_cvt_f64_f32_e32 v[66:67], v50
	v_cvt_f64_f32_e32 v[50:51], v51
	;; [unrolled: 1-line block ×4, first 2 shown]
	v_fmac_f64_e32 v[36:37], v[62:63], v[42:43]
	v_fmac_f64_e32 v[34:35], v[8:9], v[42:43]
	;; [unrolled: 1-line block ×8, first 2 shown]
	s_andn2_b64 exec, exec, s[14:15]
	s_cbranch_execnz .LBB164_31
; %bb.32:
	s_or_b64 exec, exec, s[14:15]
.LBB164_33:
	s_or_b64 exec, exec, s[2:3]
	s_mov_b64 s[0:1], 0xbf
	v_cmp_lt_u64_e32 vcc, s[0:1], v[0:1]
	s_and_saveexec_b64 s[14:15], vcc
	s_cbranch_execz .LBB164_37
; %bb.34:
	v_lshlrev_b64 v[0:1], 3, v[26:27]
	v_mov_b32_e32 v2, s13
	v_add_co_u32_e32 v0, vcc, s12, v0
	v_addc_co_u32_e32 v1, vcc, v1, v2, vcc
	v_add_co_u32_e32 v38, vcc, 0x400, v0
	v_addc_co_u32_e32 v39, vcc, 0, v1, vcc
	s_mov_b64 s[12:13], 0
	v_mov_b32_e32 v23, s7
	v_mov_b32_e32 v72, s9
	s_movk_i32 s9, 0x1000
	s_movk_i32 s17, 0x2000
	s_movk_i32 s18, 0x3000
.LBB164_35:                             ; =>This Inner Loop Header: Depth=1
	global_load_dwordx2 v[40:41], v[38:39], off offset:-1024
	global_load_dwordx4 v[12:15], v[30:31], off
	global_load_dwordx4 v[8:11], v[30:31], off offset:16
	global_load_dwordx4 v[4:7], v[30:31], off offset:32
	;; [unrolled: 1-line block ×3, first 2 shown]
	global_load_dwordx2 v[54:55], v[38:39], off offset:-512
	global_load_dwordx2 v[56:57], v[38:39], off
	global_load_dwordx2 v[58:59], v[38:39], off offset:512
	v_add_co_u32_e32 v62, vcc, s17, v30
	v_add_co_u32_e64 v60, s[0:1], s9, v30
	v_addc_co_u32_e32 v63, vcc, 0, v31, vcc
	v_addc_co_u32_e64 v61, vcc, 0, v31, s[0:1]
	global_load_dwordx4 v[42:45], v[62:63], off offset:-4096
	global_load_dwordx4 v[46:49], v[60:61], off offset:16
	global_load_dwordx4 v[50:53], v[60:61], off offset:32
	s_waitcnt vmcnt(10)
	v_subrev_co_u32_e32 v40, vcc, s16, v40
	v_subb_co_u32_e32 v41, vcc, v41, v23, vcc
	s_waitcnt vmcnt(6)
	v_cvt_f64_f32_e32 v[86:87], v0
	v_cvt_f64_f32_e32 v[90:91], v2
	s_waitcnt vmcnt(5)
	v_subrev_co_u32_e64 v94, s[0:1], s16, v54
	s_waitcnt vmcnt(4)
	v_subrev_co_u32_e64 v2, s[2:3], s16, v56
	;; [unrolled: 2-line block ×3, first 2 shown]
	v_cvt_f64_f32_e32 v[78:79], v4
	v_cvt_f64_f32_e32 v[80:81], v5
	;; [unrolled: 1-line block ×4, first 2 shown]
	v_subb_co_u32_e64 v95, vcc, v55, v23, s[0:1]
	v_subb_co_u32_e64 v3, vcc, v57, v23, s[2:3]
	;; [unrolled: 1-line block ×3, first 2 shown]
	v_lshlrev_b64 v[4:5], 5, v[40:41]
	v_add_co_u32_e32 v112, vcc, s8, v4
	v_addc_co_u32_e32 v113, vcc, v72, v5, vcc
	v_cvt_f64_f32_e32 v[82:83], v6
	v_cvt_f64_f32_e32 v[84:85], v7
	global_load_dwordx4 v[4:7], v[112:113], off
	v_cvt_f64_f32_e32 v[64:65], v12
	v_cvt_f64_f32_e32 v[12:13], v13
	;; [unrolled: 1-line block ×8, first 2 shown]
	global_load_dwordx4 v[8:11], v[60:61], off offset:48
	s_waitcnt vmcnt(4)
	v_cvt_f64_f32_e32 v[96:97], v42
	v_cvt_f64_f32_e32 v[98:99], v43
	;; [unrolled: 1-line block ×4, first 2 shown]
	global_load_dwordx4 v[42:45], v[62:63], off
	s_waitcnt vmcnt(4)
	v_cvt_f64_f32_e32 v[104:105], v46
	v_cvt_f64_f32_e32 v[106:107], v47
	;; [unrolled: 1-line block ×4, first 2 shown]
	s_waitcnt vmcnt(3)
	v_cvt_f64_f32_e32 v[46:47], v50
	v_cvt_f64_f32_e32 v[48:49], v51
	v_cvt_f64_f32_e32 v[50:51], v52
	v_cvt_f64_f32_e32 v[52:53], v53
	v_lshlrev_b64 v[2:3], 5, v[2:3]
	v_lshlrev_b64 v[0:1], 5, v[0:1]
	s_waitcnt vmcnt(2)
	v_fmac_f64_e32 v[36:37], v[64:65], v[4:5]
	v_fmac_f64_e32 v[34:35], v[12:13], v[4:5]
	;; [unrolled: 1-line block ×8, first 2 shown]
	global_load_dwordx4 v[4:7], v[62:63], off offset:16
	s_waitcnt vmcnt(2)
	v_cvt_f64_f32_e32 v[114:115], v8
	v_cvt_f64_f32_e32 v[116:117], v9
	;; [unrolled: 1-line block ×4, first 2 shown]
	global_load_dwordx4 v[10:13], v[62:63], off offset:32
	v_lshlrev_b64 v[74:75], 5, v[94:95]
	s_waitcnt vmcnt(2)
	v_cvt_f64_f32_e32 v[14:15], v42
	v_cvt_f64_f32_e32 v[40:41], v43
	;; [unrolled: 1-line block ×3, first 2 shown]
	global_load_dwordx4 v[66:69], v[62:63], off offset:48
	v_cvt_f64_f32_e32 v[44:45], v45
	s_waitcnt vmcnt(2)
	v_cvt_f64_f32_e32 v[56:57], v4
	v_cvt_f64_f32_e32 v[58:59], v5
	;; [unrolled: 1-line block ×4, first 2 shown]
	global_load_dwordx4 v[6:9], v[112:113], off offset:16
	s_waitcnt vmcnt(1)
	v_cvt_f64_f32_e32 v[62:63], v66
	v_cvt_f64_f32_e32 v[64:65], v67
	;; [unrolled: 1-line block ×4, first 2 shown]
	s_waitcnt vmcnt(0)
	v_fmac_f64_e32 v[32:33], v[82:83], v[6:7]
	v_add_co_u32_e32 v82, vcc, s8, v74
	v_addc_co_u32_e32 v83, vcc, v72, v75, vcc
	global_load_dwordx4 v[74:77], v[82:83], off
	v_fmac_f64_e32 v[36:37], v[78:79], v[6:7]
	v_fmac_f64_e32 v[34:35], v[80:81], v[6:7]
	;; [unrolled: 1-line block ×7, first 2 shown]
	v_add_co_u32_e32 v84, vcc, s18, v30
	v_addc_co_u32_e32 v85, vcc, 0, v31, vcc
	global_load_dwordx4 v[78:81], v[84:85], off
	v_cvt_f64_f32_e32 v[6:7], v10
	v_cvt_f64_f32_e32 v[8:9], v11
	;; [unrolled: 1-line block ×4, first 2 shown]
	s_waitcnt vmcnt(1)
	v_fmac_f64_e32 v[36:37], v[96:97], v[74:75]
	v_fmac_f64_e32 v[34:35], v[98:99], v[74:75]
	;; [unrolled: 1-line block ×8, first 2 shown]
	global_load_dwordx4 v[74:77], v[84:85], off offset:16
	s_waitcnt vmcnt(1)
	v_cvt_f64_f32_e32 v[86:87], v78
	v_cvt_f64_f32_e32 v[78:79], v79
	;; [unrolled: 1-line block ×4, first 2 shown]
	s_waitcnt vmcnt(0)
	v_cvt_f64_f32_e32 v[90:91], v74
	v_cvt_f64_f32_e32 v[92:93], v75
	;; [unrolled: 1-line block ×4, first 2 shown]
	global_load_dwordx4 v[74:77], v[82:83], off offset:16
	s_waitcnt vmcnt(0)
	v_fmac_f64_e32 v[36:37], v[46:47], v[74:75]
	v_fmac_f64_e32 v[34:35], v[48:49], v[74:75]
	global_load_dwordx4 v[46:49], v[84:85], off offset:32
	v_fmac_f64_e32 v[24:25], v[52:53], v[74:75]
	v_fmac_f64_e32 v[32:33], v[50:51], v[74:75]
	global_load_dwordx4 v[50:53], v[84:85], off offset:48
	v_fmac_f64_e32 v[24:25], v[60:61], v[76:77]
	v_fmac_f64_e32 v[32:33], v[70:71], v[76:77]
	;; [unrolled: 1-line block ×4, first 2 shown]
	s_waitcnt vmcnt(1)
	v_cvt_f64_f32_e32 v[60:61], v46
	v_add_co_u32_e32 v46, vcc, s8, v2
	v_cvt_f64_f32_e32 v[70:71], v47
	v_addc_co_u32_e32 v47, vcc, v72, v3, vcc
	v_cvt_f64_f32_e32 v[74:75], v48
	v_add_co_u32_e32 v48, vcc, s8, v0
	v_cvt_f64_f32_e32 v[76:77], v49
	v_addc_co_u32_e32 v49, vcc, v72, v1, vcc
	global_load_dwordx4 v[0:3], v[46:47], off
	s_waitcnt vmcnt(1)
	v_cvt_f64_f32_e32 v[82:83], v50
	v_cvt_f64_f32_e32 v[84:85], v51
	v_add_co_u32_e32 v26, vcc, 0x100, v26
	s_mov_b64 s[0:1], vcc
	v_add_co_u32_e32 v38, vcc, 0x800, v38
	s_mov_b64 s[2:3], vcc
	v_addc_co_u32_e64 v27, vcc, 0, v27, s[0:1]
	v_addc_co_u32_e64 v39, s[0:1], 0, v39, s[2:3]
	v_cvt_f64_f32_e32 v[98:99], v52
	v_cvt_f64_f32_e32 v[52:53], v53
	v_add_co_u32_e32 v30, vcc, 0x4000, v30
	v_cmp_ge_i64_e64 s[0:1], v[26:27], v[28:29]
	v_addc_co_u32_e32 v31, vcc, 0, v31, vcc
	s_or_b64 s[12:13], s[0:1], s[12:13]
	s_waitcnt vmcnt(0)
	v_fmac_f64_e32 v[34:35], v[40:41], v[0:1]
	v_fmac_f64_e32 v[32:33], v[42:43], v[0:1]
	global_load_dwordx4 v[40:43], v[46:47], off offset:16
	v_fmac_f64_e32 v[24:25], v[44:45], v[0:1]
	global_load_dwordx4 v[44:47], v[48:49], off
	v_fmac_f64_e32 v[36:37], v[14:15], v[0:1]
	global_load_dwordx4 v[48:51], v[48:49], off offset:16
	v_fmac_f64_e32 v[36:37], v[56:57], v[2:3]
	v_fmac_f64_e32 v[34:35], v[58:59], v[2:3]
	v_fmac_f64_e32 v[32:33], v[54:55], v[2:3]
	v_fmac_f64_e32 v[24:25], v[4:5], v[2:3]
	s_waitcnt vmcnt(2)
	v_fmac_f64_e32 v[36:37], v[6:7], v[40:41]
	v_fmac_f64_e32 v[34:35], v[8:9], v[40:41]
	v_fmac_f64_e32 v[32:33], v[10:11], v[40:41]
	v_fmac_f64_e32 v[24:25], v[12:13], v[40:41]
	v_fmac_f64_e32 v[36:37], v[62:63], v[42:43]
	v_fmac_f64_e32 v[34:35], v[64:65], v[42:43]
	v_fmac_f64_e32 v[32:33], v[66:67], v[42:43]
	v_fmac_f64_e32 v[24:25], v[68:69], v[42:43]
	s_waitcnt vmcnt(1)
	v_fmac_f64_e32 v[36:37], v[86:87], v[44:45]
	v_fmac_f64_e32 v[34:35], v[78:79], v[44:45]
	v_fmac_f64_e32 v[32:33], v[88:89], v[44:45]
	v_fmac_f64_e32 v[24:25], v[80:81], v[44:45]
	;; [unrolled: 9-line block ×3, first 2 shown]
	v_fmac_f64_e32 v[36:37], v[82:83], v[50:51]
	v_fmac_f64_e32 v[34:35], v[84:85], v[50:51]
	;; [unrolled: 1-line block ×4, first 2 shown]
	s_andn2_b64 exec, exec, s[12:13]
	s_cbranch_execnz .LBB164_35
; %bb.36:
	s_or_b64 exec, exec, s[12:13]
.LBB164_37:
	s_or_b64 exec, exec, s[14:15]
.LBB164_38:
	s_or_b64 exec, exec, s[10:11]
.LBB164_39:
	v_mov_b32_dpp v0, v36 row_shr:1 row_mask:0xf bank_mask:0xf
	v_mov_b32_dpp v1, v37 row_shr:1 row_mask:0xf bank_mask:0xf
	v_mov_b32_dpp v4, v34 row_shr:1 row_mask:0xf bank_mask:0xf
	v_mov_b32_dpp v5, v35 row_shr:1 row_mask:0xf bank_mask:0xf
	v_mov_b32_dpp v8, v32 row_shr:1 row_mask:0xf bank_mask:0xf
	v_mov_b32_dpp v9, v33 row_shr:1 row_mask:0xf bank_mask:0xf
	v_mov_b32_dpp v12, v24 row_shr:1 row_mask:0xf bank_mask:0xf
	v_mov_b32_dpp v13, v25 row_shr:1 row_mask:0xf bank_mask:0xf
	v_add_f64 v[0:1], v[36:37], v[0:1]
	v_add_f64 v[4:5], v[34:35], v[4:5]
	v_add_f64 v[8:9], v[32:33], v[8:9]
	v_add_f64 v[12:13], v[24:25], v[12:13]
	v_mov_b32_dpp v2, v0 row_shr:2 row_mask:0xf bank_mask:0xf
	v_mov_b32_dpp v3, v1 row_shr:2 row_mask:0xf bank_mask:0xf
	v_mov_b32_dpp v6, v4 row_shr:2 row_mask:0xf bank_mask:0xf
	v_mov_b32_dpp v7, v5 row_shr:2 row_mask:0xf bank_mask:0xf
	v_mov_b32_dpp v10, v8 row_shr:2 row_mask:0xf bank_mask:0xf
	v_mov_b32_dpp v11, v9 row_shr:2 row_mask:0xf bank_mask:0xf
	v_mov_b32_dpp v14, v12 row_shr:2 row_mask:0xf bank_mask:0xf
	v_mov_b32_dpp v15, v13 row_shr:2 row_mask:0xf bank_mask:0xf
	v_add_f64 v[0:1], v[0:1], v[2:3]
	v_add_f64 v[4:5], v[4:5], v[6:7]
	v_add_f64 v[8:9], v[8:9], v[10:11]
	v_add_f64 v[12:13], v[12:13], v[14:15]
	;; [unrolled: 12-line block ×4, first 2 shown]
	v_mov_b32_dpp v2, v0 row_bcast:15 row_mask:0xa bank_mask:0xf
	v_mov_b32_dpp v3, v1 row_bcast:15 row_mask:0xa bank_mask:0xf
	;; [unrolled: 1-line block ×8, first 2 shown]
	v_add_f64 v[0:1], v[0:1], v[2:3]
	v_add_f64 v[4:5], v[4:5], v[6:7]
	;; [unrolled: 1-line block ×4, first 2 shown]
	v_mov_b32_dpp v2, v0 row_bcast:31 row_mask:0xc bank_mask:0xf
	v_mov_b32_dpp v3, v1 row_bcast:31 row_mask:0xc bank_mask:0xf
	;; [unrolled: 1-line block ×8, first 2 shown]
	v_cmp_eq_u32_e32 vcc, 63, v22
	s_and_b64 exec, exec, vcc
	s_cbranch_execz .LBB164_10
; %bb.40:
	s_load_dwordx2 s[0:1], s[4:5], 0x58
	v_add_f64 v[0:1], v[0:1], v[2:3]
	v_add_f64 v[2:3], v[4:5], v[6:7]
	;; [unrolled: 1-line block ×4, first 2 shown]
	v_cmp_eq_f64_e32 vcc, 0, v[16:17]
	v_mul_f64 v[4:5], v[18:19], v[0:1]
	v_mul_f64 v[6:7], v[18:19], v[2:3]
	;; [unrolled: 1-line block ×4, first 2 shown]
	v_lshlrev_b64 v[8:9], 5, v[20:21]
	s_and_saveexec_b64 s[2:3], vcc
	s_xor_b64 s[2:3], exec, s[2:3]
	s_cbranch_execz .LBB164_42
; %bb.41:
	s_waitcnt lgkmcnt(0)
	v_mov_b32_e32 v10, s1
	v_add_co_u32_e32 v8, vcc, s0, v8
	v_addc_co_u32_e32 v9, vcc, v10, v9, vcc
	global_store_dwordx4 v[8:9], v[4:7], off
	global_store_dwordx4 v[8:9], v[0:3], off offset:16
                                        ; implicit-def: $vgpr8_vgpr9
                                        ; implicit-def: $vgpr16_vgpr17
                                        ; implicit-def: $vgpr4_vgpr5
                                        ; implicit-def: $vgpr0_vgpr1
.LBB164_42:
	s_andn2_saveexec_b64 s[2:3], s[2:3]
	s_cbranch_execz .LBB164_10
; %bb.43:
	s_waitcnt lgkmcnt(0)
	v_mov_b32_e32 v10, s1
	v_add_co_u32_e32 v18, vcc, s0, v8
	v_addc_co_u32_e32 v19, vcc, v10, v9, vcc
	global_load_dwordx4 v[8:11], v[18:19], off
	global_load_dwordx4 v[12:15], v[18:19], off offset:16
	s_waitcnt vmcnt(1)
	v_fmac_f64_e32 v[4:5], v[16:17], v[8:9]
	v_fmac_f64_e32 v[6:7], v[16:17], v[10:11]
	s_waitcnt vmcnt(0)
	v_fmac_f64_e32 v[0:1], v[16:17], v[12:13]
	v_fmac_f64_e32 v[2:3], v[16:17], v[14:15]
	global_store_dwordx4 v[18:19], v[4:7], off
	global_store_dwordx4 v[18:19], v[0:3], off offset:16
	s_endpgm
	.section	.rodata,"a",@progbits
	.p2align	6, 0x0
	.amdhsa_kernel _ZN9rocsparseL18bsrxmvn_4x4_kernelILj128ELj64EdllfddEEvT3_20rocsparse_direction_NS_24const_host_device_scalarIT1_EES1_PKS1_PKT2_SA_S7_PKT4_PKT5_S5_PT6_21rocsparse_index_base_b
		.amdhsa_group_segment_fixed_size 0
		.amdhsa_private_segment_fixed_size 0
		.amdhsa_kernarg_size 104
		.amdhsa_user_sgpr_count 6
		.amdhsa_user_sgpr_private_segment_buffer 1
		.amdhsa_user_sgpr_dispatch_ptr 0
		.amdhsa_user_sgpr_queue_ptr 0
		.amdhsa_user_sgpr_kernarg_segment_ptr 1
		.amdhsa_user_sgpr_dispatch_id 0
		.amdhsa_user_sgpr_flat_scratch_init 0
		.amdhsa_user_sgpr_kernarg_preload_length 0
		.amdhsa_user_sgpr_kernarg_preload_offset 0
		.amdhsa_user_sgpr_private_segment_size 0
		.amdhsa_uses_dynamic_stack 0
		.amdhsa_system_sgpr_private_segment_wavefront_offset 0
		.amdhsa_system_sgpr_workgroup_id_x 1
		.amdhsa_system_sgpr_workgroup_id_y 0
		.amdhsa_system_sgpr_workgroup_id_z 0
		.amdhsa_system_sgpr_workgroup_info 0
		.amdhsa_system_vgpr_workitem_id 0
		.amdhsa_next_free_vgpr 118
		.amdhsa_next_free_sgpr 23
		.amdhsa_accum_offset 120
		.amdhsa_reserve_vcc 1
		.amdhsa_reserve_flat_scratch 0
		.amdhsa_float_round_mode_32 0
		.amdhsa_float_round_mode_16_64 0
		.amdhsa_float_denorm_mode_32 3
		.amdhsa_float_denorm_mode_16_64 3
		.amdhsa_dx10_clamp 1
		.amdhsa_ieee_mode 1
		.amdhsa_fp16_overflow 0
		.amdhsa_tg_split 0
		.amdhsa_exception_fp_ieee_invalid_op 0
		.amdhsa_exception_fp_denorm_src 0
		.amdhsa_exception_fp_ieee_div_zero 0
		.amdhsa_exception_fp_ieee_overflow 0
		.amdhsa_exception_fp_ieee_underflow 0
		.amdhsa_exception_fp_ieee_inexact 0
		.amdhsa_exception_int_div_zero 0
	.end_amdhsa_kernel
	.section	.text._ZN9rocsparseL18bsrxmvn_4x4_kernelILj128ELj64EdllfddEEvT3_20rocsparse_direction_NS_24const_host_device_scalarIT1_EES1_PKS1_PKT2_SA_S7_PKT4_PKT5_S5_PT6_21rocsparse_index_base_b,"axG",@progbits,_ZN9rocsparseL18bsrxmvn_4x4_kernelILj128ELj64EdllfddEEvT3_20rocsparse_direction_NS_24const_host_device_scalarIT1_EES1_PKS1_PKT2_SA_S7_PKT4_PKT5_S5_PT6_21rocsparse_index_base_b,comdat
.Lfunc_end164:
	.size	_ZN9rocsparseL18bsrxmvn_4x4_kernelILj128ELj64EdllfddEEvT3_20rocsparse_direction_NS_24const_host_device_scalarIT1_EES1_PKS1_PKT2_SA_S7_PKT4_PKT5_S5_PT6_21rocsparse_index_base_b, .Lfunc_end164-_ZN9rocsparseL18bsrxmvn_4x4_kernelILj128ELj64EdllfddEEvT3_20rocsparse_direction_NS_24const_host_device_scalarIT1_EES1_PKS1_PKT2_SA_S7_PKT4_PKT5_S5_PT6_21rocsparse_index_base_b
                                        ; -- End function
	.section	.AMDGPU.csdata,"",@progbits
; Kernel info:
; codeLenInByte = 4608
; NumSgprs: 27
; NumVgprs: 118
; NumAgprs: 0
; TotalNumVgprs: 118
; ScratchSize: 0
; MemoryBound: 0
; FloatMode: 240
; IeeeMode: 1
; LDSByteSize: 0 bytes/workgroup (compile time only)
; SGPRBlocks: 3
; VGPRBlocks: 14
; NumSGPRsForWavesPerEU: 27
; NumVGPRsForWavesPerEU: 118
; AccumOffset: 120
; Occupancy: 4
; WaveLimiterHint : 1
; COMPUTE_PGM_RSRC2:SCRATCH_EN: 0
; COMPUTE_PGM_RSRC2:USER_SGPR: 6
; COMPUTE_PGM_RSRC2:TRAP_HANDLER: 0
; COMPUTE_PGM_RSRC2:TGID_X_EN: 1
; COMPUTE_PGM_RSRC2:TGID_Y_EN: 0
; COMPUTE_PGM_RSRC2:TGID_Z_EN: 0
; COMPUTE_PGM_RSRC2:TIDIG_COMP_CNT: 0
; COMPUTE_PGM_RSRC3_GFX90A:ACCUM_OFFSET: 29
; COMPUTE_PGM_RSRC3_GFX90A:TG_SPLIT: 0
	.section	.text._ZN9rocsparseL18bsrxmvn_4x4_kernelILj128ELj4E21rocsparse_complex_numIdEiiS1_IfES2_S2_EEvT3_20rocsparse_direction_NS_24const_host_device_scalarIT1_EES4_PKS4_PKT2_SD_SA_PKT4_PKT5_S8_PT6_21rocsparse_index_base_b,"axG",@progbits,_ZN9rocsparseL18bsrxmvn_4x4_kernelILj128ELj4E21rocsparse_complex_numIdEiiS1_IfES2_S2_EEvT3_20rocsparse_direction_NS_24const_host_device_scalarIT1_EES4_PKS4_PKT2_SD_SA_PKT4_PKT5_S8_PT6_21rocsparse_index_base_b,comdat
	.globl	_ZN9rocsparseL18bsrxmvn_4x4_kernelILj128ELj4E21rocsparse_complex_numIdEiiS1_IfES2_S2_EEvT3_20rocsparse_direction_NS_24const_host_device_scalarIT1_EES4_PKS4_PKT2_SD_SA_PKT4_PKT5_S8_PT6_21rocsparse_index_base_b ; -- Begin function _ZN9rocsparseL18bsrxmvn_4x4_kernelILj128ELj4E21rocsparse_complex_numIdEiiS1_IfES2_S2_EEvT3_20rocsparse_direction_NS_24const_host_device_scalarIT1_EES4_PKS4_PKT2_SD_SA_PKT4_PKT5_S8_PT6_21rocsparse_index_base_b
	.p2align	8
	.type	_ZN9rocsparseL18bsrxmvn_4x4_kernelILj128ELj4E21rocsparse_complex_numIdEiiS1_IfES2_S2_EEvT3_20rocsparse_direction_NS_24const_host_device_scalarIT1_EES4_PKS4_PKT2_SD_SA_PKT4_PKT5_S8_PT6_21rocsparse_index_base_b,@function
_ZN9rocsparseL18bsrxmvn_4x4_kernelILj128ELj4E21rocsparse_complex_numIdEiiS1_IfES2_S2_EEvT3_20rocsparse_direction_NS_24const_host_device_scalarIT1_EES4_PKS4_PKT2_SD_SA_PKT4_PKT5_S8_PT6_21rocsparse_index_base_b: ; @_ZN9rocsparseL18bsrxmvn_4x4_kernelILj128ELj4E21rocsparse_complex_numIdEiiS1_IfES2_S2_EEvT3_20rocsparse_direction_NS_24const_host_device_scalarIT1_EES4_PKS4_PKT2_SD_SA_PKT4_PKT5_S8_PT6_21rocsparse_index_base_b
; %bb.0:
	s_load_dwordx2 s[20:21], s[6:7], 0x68
	s_load_dwordx4 s[12:15], s[6:7], 0x8
	s_load_dwordx2 s[10:11], s[4:5], 0x4
	s_load_dwordx4 s[16:19], s[6:7], 0x50
	s_mov_b64 s[2:3], src_shared_base
	v_bfe_u32 v2, v0, 10, 10
	s_waitcnt lgkmcnt(0)
	s_bitcmp1_b32 s21, 0
	s_cselect_b64 s[0:1], -1, 0
	s_and_b64 vcc, s[0:1], exec
	s_cselect_b32 s2, s3, s13
	s_lshr_b32 s4, s10, 16
	v_and_b32_e32 v1, 0x3ff, v0
	s_mul_i32 s4, s4, s11
	v_mul_u32_u24_e32 v2, s11, v2
	v_mad_u32_u24 v2, s4, v1, v2
	v_bfe_u32 v0, v0, 20, 10
	v_add_lshl_u32 v0, v2, v0, 3
	v_mov_b32_e32 v6, s12
	v_add_u32_e32 v7, 0x400, v0
	v_pk_mov_b32 v[2:3], s[12:13], s[12:13] op_sel:[0,1]
	v_pk_mov_b32 v[4:5], s[16:17], s[16:17] op_sel:[0,1]
	ds_write2st64_b64 v0, v[4:5], v[2:3] offset1:2
	v_cndmask_b32_e64 v2, v6, v7, s[0:1]
	v_mov_b32_e32 v3, s2
	flat_load_dwordx2 v[32:33], v[2:3]
	s_xor_b64 s[4:5], s[0:1], -1
	v_pk_mov_b32 v[34:35], s[14:15], s[14:15] op_sel:[0,1]
	s_cbranch_vccnz .LBB165_2
; %bb.1:
	v_pk_mov_b32 v[2:3], s[12:13], s[12:13] op_sel:[0,1]
	flat_load_dwordx2 v[34:35], v[2:3] offset:8
.LBB165_2:
	s_and_b64 s[10:11], s[0:1], exec
	s_cselect_b32 s2, s3, s17
	v_mov_b32_e32 v2, s16
	v_cndmask_b32_e64 v2, v2, v0, s[0:1]
	v_mov_b32_e32 v3, s2
	flat_load_dwordx2 v[28:29], v[2:3]
	s_andn2_b64 vcc, exec, s[4:5]
	v_pk_mov_b32 v[30:31], s[18:19], s[18:19] op_sel:[0,1]
	s_cbranch_vccnz .LBB165_4
; %bb.3:
	v_pk_mov_b32 v[2:3], s[16:17], s[16:17] op_sel:[0,1]
	flat_load_dwordx2 v[30:31], v[2:3] offset:8
.LBB165_4:
	s_waitcnt vmcnt(0) lgkmcnt(0)
	v_cmp_eq_f64_e32 vcc, 0, v[32:33]
	v_cmp_eq_f64_e64 s[0:1], 0, v[34:35]
	s_and_b64 s[4:5], vcc, s[0:1]
	s_mov_b64 s[0:1], -1
	s_and_saveexec_b64 s[2:3], s[4:5]
; %bb.5:
	v_cmp_neq_f64_e32 vcc, 1.0, v[28:29]
	v_cmp_neq_f64_e64 s[0:1], 0, v[30:31]
	s_or_b64 s[0:1], vcc, s[0:1]
	s_orn2_b64 s[0:1], s[0:1], exec
; %bb.6:
	s_or_b64 exec, exec, s[2:3]
	s_and_saveexec_b64 s[2:3], s[0:1]
	s_cbranch_execz .LBB165_12
; %bb.7:
	s_load_dwordx2 s[4:5], s[6:7], 0x20
	s_load_dwordx2 s[0:1], s[6:7], 0x0
	v_lshrrev_b32_e32 v0, 2, v1
	v_lshl_or_b32 v36, s8, 5, v0
	s_mov_b64 s[2:3], 0
	s_waitcnt lgkmcnt(0)
	s_cmp_lg_u64 s[4:5], 0
	s_cbranch_scc0 .LBB165_13
; %bb.8:
	s_load_dword s8, s[6:7], 0x18
                                        ; implicit-def: $vgpr0
	s_waitcnt lgkmcnt(0)
	v_cmp_gt_i32_e32 vcc, s8, v36
	s_and_saveexec_b64 s[8:9], vcc
	s_xor_b64 s[8:9], exec, s[8:9]
	s_cbranch_execz .LBB165_10
; %bb.9:
	v_ashrrev_i32_e32 v37, 31, v36
	v_lshlrev_b64 v[2:3], 2, v[36:37]
	v_mov_b32_e32 v0, s5
	v_add_co_u32_e32 v2, vcc, s4, v2
	v_addc_co_u32_e32 v3, vcc, v0, v3, vcc
	global_load_dword v0, v[2:3], off
	s_mov_b64 s[2:3], exec
	s_waitcnt vmcnt(0)
	v_subrev_u32_e32 v0, s20, v0
.LBB165_10:
	s_or_b64 exec, exec, s[8:9]
	s_branch .LBB165_14
.LBB165_11:
	v_cmp_gt_i32_e32 vcc, s0, v36
	s_andn2_b64 s[2:3], s[2:3], exec
	s_and_b64 s[4:5], vcc, exec
	s_or_b64 s[2:3], s[2:3], s[4:5]
	s_and_b64 exec, exec, s[2:3]
	s_cbranch_execnz .LBB165_15
.LBB165_12:
	s_endpgm
.LBB165_13:
                                        ; implicit-def: $vgpr0
	s_cbranch_execnz .LBB165_11
.LBB165_14:
	v_mov_b32_e32 v36, v0
	s_and_b64 exec, exec, s[2:3]
	s_cbranch_execz .LBB165_12
.LBB165_15:
	s_load_dwordx8 s[8:15], s[6:7], 0x28
	v_ashrrev_i32_e32 v37, 31, v36
	v_lshlrev_b64 v[2:3], 2, v[36:37]
	v_and_b32_e32 v37, 3, v1
	s_load_dwordx2 s[4:5], s[6:7], 0x48
	s_waitcnt lgkmcnt(0)
	v_mov_b32_e32 v0, s9
	v_add_co_u32_e32 v4, vcc, s8, v2
	v_addc_co_u32_e32 v5, vcc, v0, v3, vcc
	v_add_co_u32_e32 v0, vcc, 4, v4
	global_load_dword v63, v[4:5], off
	v_addc_co_u32_e32 v4, vcc, 0, v5, vcc
	v_mov_b32_e32 v5, s11
	v_add_co_u32_e32 v2, vcc, s10, v2
	s_cmp_eq_u64 s[10:11], 0
	v_addc_co_u32_e32 v3, vcc, v5, v3, vcc
	s_cselect_b64 vcc, -1, 0
	v_cndmask_b32_e32 v3, v3, v4, vcc
	v_cndmask_b32_e32 v2, v2, v0, vcc
	global_load_dword v0, v[2:3], off
	v_mov_b32_e32 v2, s15
	s_cmp_eq_u32 s1, 1
	s_waitcnt vmcnt(1)
	v_subrev_u32_e32 v1, s20, v63
	v_add_u32_e32 v40, v1, v37
	v_ashrrev_i32_e32 v41, 31, v40
	s_waitcnt vmcnt(0)
	v_subrev_u32_e32 v62, s20, v0
	v_lshlrev_b64 v[0:1], 7, v[40:41]
	v_add_co_u32_e32 v42, vcc, s14, v0
	v_addc_co_u32_e32 v43, vcc, v2, v1, vcc
	v_cmp_lt_i32_e64 s[0:1], v40, v62
	s_cbranch_scc1 .LBB165_27
; %bb.16:
	v_pk_mov_b32 v[44:45], 0, 0
	s_mov_b64 s[8:9], 0
	v_pk_mov_b32 v[54:55], v[44:45], v[44:45] op_sel:[0,1]
	v_pk_mov_b32 v[48:49], v[44:45], v[44:45] op_sel:[0,1]
	;; [unrolled: 1-line block ×7, first 2 shown]
	s_and_saveexec_b64 s[10:11], s[0:1]
	s_cbranch_execz .LBB165_26
; %bb.17:
	v_add_u32_e32 v0, v63, v37
	v_subrev_u32_e32 v0, s20, v0
	v_add_u32_e32 v0, 4, v0
	v_max_i32_e32 v0, v0, v62
	v_not_b32_e32 v1, v63
	v_add3_u32 v0, v0, s20, v1
	v_sub_u32_e32 v12, v0, v37
	v_lshrrev_b32_e32 v0, 2, v12
	v_add_u32_e32 v0, 1, v0
	v_and_b32_e32 v0, 3, v0
	v_pk_mov_b32 v[16:17], 0, 0
	v_cmp_ne_u32_e32 vcc, 0, v0
	v_pk_mov_b32 v[38:39], v[16:17], v[16:17] op_sel:[0,1]
	v_pk_mov_b32 v[56:57], v[16:17], v[16:17] op_sel:[0,1]
	;; [unrolled: 1-line block ×8, first 2 shown]
	v_mov_b32_e32 v50, v40
	s_and_saveexec_b64 s[14:15], vcc
	s_cbranch_execz .LBB165_21
; %bb.18:
	v_pk_mov_b32 v[44:45], 0, 0
	v_lshlrev_b32_e32 v13, 7, v0
	s_mov_b64 s[16:17], 0
	v_mov_b32_e32 v14, s13
	v_mov_b32_e32 v15, s5
	;; [unrolled: 1-line block ×3, first 2 shown]
	v_pk_mov_b32 v[52:53], v[42:43], v[42:43] op_sel:[0,1]
	v_pk_mov_b32 v[54:55], v[44:45], v[44:45] op_sel:[0,1]
	v_pk_mov_b32 v[48:49], v[44:45], v[44:45] op_sel:[0,1]
	v_pk_mov_b32 v[58:59], v[44:45], v[44:45] op_sel:[0,1]
	v_pk_mov_b32 v[46:47], v[44:45], v[44:45] op_sel:[0,1]
	v_pk_mov_b32 v[56:57], v[44:45], v[44:45] op_sel:[0,1]
	v_pk_mov_b32 v[38:39], v[44:45], v[44:45] op_sel:[0,1]
	v_pk_mov_b32 v[16:17], v[44:45], v[44:45] op_sel:[0,1]
.LBB165_19:                             ; =>This Inner Loop Header: Depth=1
	v_ashrrev_i32_e32 v51, 31, v50
	v_lshlrev_b64 v[26:27], 2, v[50:51]
	v_add_co_u32_e64 v26, s[2:3], s12, v26
	v_addc_co_u32_e64 v27, s[2:3], v14, v27, s[2:3]
	global_load_dwordx4 v[8:11], v[52:53], off
	global_load_dwordx4 v[4:7], v[52:53], off offset:16
	global_load_dwordx4 v[0:3], v[52:53], off offset:32
	;; [unrolled: 1-line block ×7, first 2 shown]
	global_load_dword v41, v[26:27], off
	v_add_co_u32_e32 v52, vcc, 0x200, v52
	v_add_u32_e32 v13, 0xffffff80, v13
	v_addc_co_u32_e32 v53, vcc, 0, v53, vcc
	v_cmp_eq_u32_e32 vcc, 0, v13
	s_or_b64 s[16:17], vcc, s[16:17]
	v_add_u32_e32 v50, 4, v50
	s_waitcnt vmcnt(6)
	v_cvt_f64_f32_e32 v[92:93], v0
	v_cvt_f64_f32_e32 v[94:95], v1
	;; [unrolled: 1-line block ×6, first 2 shown]
	s_waitcnt vmcnt(0)
	v_subrev_u32_e32 v0, s20, v41
	v_lshlrev_b32_e32 v0, 2, v0
	v_ashrrev_i32_e32 v1, 31, v0
	v_lshlrev_b64 v[0:1], 4, v[0:1]
	v_add_co_u32_e32 v104, vcc, s4, v0
	v_addc_co_u32_e32 v105, vcc, v15, v1, vcc
	v_cvt_f64_f32_e32 v[82:83], v11
	v_cvt_f64_f32_e32 v[84:85], v4
	;; [unrolled: 1-line block ×6, first 2 shown]
	global_load_dwordx4 v[0:3], v[104:105], off
	global_load_dwordx4 v[4:7], v[104:105], off offset:16
	global_load_dwordx4 v[8:11], v[104:105], off offset:32
	;; [unrolled: 1-line block ×3, first 2 shown]
	v_cvt_f64_f32_e32 v[100:101], v22
	v_cvt_f64_f32_e32 v[22:23], v23
	;; [unrolled: 1-line block ×20, first 2 shown]
	s_waitcnt vmcnt(3)
	v_fmac_f64_e32 v[54:55], v[26:27], v[0:1]
	v_fmac_f64_e32 v[44:45], v[60:61], v[0:1]
	v_fmac_f64_e32 v[58:59], v[92:93], v[0:1]
	v_fmac_f64_e32 v[48:49], v[94:95], v[0:1]
	v_fmac_f64_e32 v[56:57], v[100:101], v[0:1]
	v_fmac_f64_e32 v[46:47], v[22:23], v[0:1]
	v_fmac_f64_e32 v[16:17], v[102:103], v[0:1]
	v_fmac_f64_e32 v[38:39], v[68:69], v[0:1]
	v_fma_f64 v[0:1], -v[60:61], v[2:3], v[54:55]
	v_fmac_f64_e32 v[44:45], v[26:27], v[2:3]
	v_fma_f64 v[26:27], -v[94:95], v[2:3], v[58:59]
	v_fmac_f64_e32 v[48:49], v[92:93], v[2:3]
	v_fma_f64 v[22:23], -v[22:23], v[2:3], v[56:57]
	v_fmac_f64_e32 v[46:47], v[100:101], v[2:3]
	v_fma_f64 v[16:17], -v[68:69], v[2:3], v[16:17]
	v_fmac_f64_e32 v[38:39], v[102:103], v[2:3]
	s_waitcnt vmcnt(2)
	v_fmac_f64_e32 v[0:1], v[80:81], v[4:5]
	v_fmac_f64_e32 v[44:45], v[82:83], v[4:5]
	v_fmac_f64_e32 v[26:27], v[96:97], v[4:5]
	v_fmac_f64_e32 v[48:49], v[98:99], v[4:5]
	v_fmac_f64_e32 v[22:23], v[108:109], v[4:5]
	v_fmac_f64_e32 v[46:47], v[24:25], v[4:5]
	v_fmac_f64_e32 v[16:17], v[114:115], v[4:5]
	v_fmac_f64_e32 v[38:39], v[70:71], v[4:5]
	v_fma_f64 v[0:1], -v[82:83], v[6:7], v[0:1]
	v_fmac_f64_e32 v[44:45], v[80:81], v[6:7]
	v_fma_f64 v[2:3], -v[98:99], v[6:7], v[26:27]
	v_fmac_f64_e32 v[48:49], v[96:97], v[6:7]
	v_fma_f64 v[4:5], -v[24:25], v[6:7], v[22:23]
	v_fmac_f64_e32 v[46:47], v[108:109], v[6:7]
	v_fma_f64 v[16:17], -v[70:71], v[6:7], v[16:17]
	v_fmac_f64_e32 v[38:39], v[114:115], v[6:7]
	;; [unrolled: 17-line block ×4, first 2 shown]
	s_andn2_b64 exec, exec, s[16:17]
	s_cbranch_execnz .LBB165_19
; %bb.20:
	s_or_b64 exec, exec, s[16:17]
.LBB165_21:
	s_or_b64 exec, exec, s[14:15]
	v_cmp_lt_u32_e32 vcc, 11, v12
	s_and_saveexec_b64 s[2:3], vcc
	s_cbranch_execz .LBB165_25
; %bb.22:
	s_mov_b64 s[14:15], 0
	v_mov_b32_e32 v41, s13
	v_mov_b32_e32 v64, s5
.LBB165_23:                             ; =>This Inner Loop Header: Depth=1
	v_ashrrev_i32_e32 v51, 31, v50
	v_lshlrev_b64 v[0:1], 2, v[50:51]
	v_add_co_u32_e32 v18, vcc, s12, v0
	v_addc_co_u32_e32 v19, vcc, v41, v1, vcc
	global_load_dword v0, v[18:19], off
	global_load_dwordx4 v[24:27], v[52:53], off offset:48
	global_load_dwordx4 v[66:69], v[52:53], off offset:32
	;; [unrolled: 1-line block ×3, first 2 shown]
	global_load_dwordx4 v[70:73], v[52:53], off
	v_add_u32_e32 v50, 16, v50
	s_waitcnt vmcnt(4)
	v_subrev_u32_e32 v0, s20, v0
	v_lshlrev_b32_e32 v0, 2, v0
	v_ashrrev_i32_e32 v1, 31, v0
	v_lshlrev_b64 v[0:1], 4, v[0:1]
	v_add_co_u32_e32 v74, vcc, s4, v0
	v_addc_co_u32_e32 v75, vcc, v64, v1, vcc
	global_load_dwordx4 v[0:3], v[74:75], off offset:48
	global_load_dwordx4 v[4:7], v[74:75], off offset:32
	;; [unrolled: 1-line block ×3, first 2 shown]
	global_load_dwordx4 v[12:15], v[74:75], off
	s_waitcnt vmcnt(4)
	v_cvt_f64_f32_e32 v[60:61], v70
	v_cvt_f64_f32_e32 v[70:71], v71
	s_waitcnt vmcnt(0)
	v_fmac_f64_e32 v[54:55], v[60:61], v[12:13]
	v_fmac_f64_e32 v[44:45], v[70:71], v[12:13]
	v_fma_f64 v[54:55], -v[70:71], v[14:15], v[54:55]
	v_fmac_f64_e32 v[44:45], v[60:61], v[14:15]
	v_cvt_f64_f32_e32 v[60:61], v72
	v_cvt_f64_f32_e32 v[70:71], v73
	v_fmac_f64_e32 v[54:55], v[60:61], v[8:9]
	v_fmac_f64_e32 v[44:45], v[70:71], v[8:9]
	v_fma_f64 v[54:55], -v[70:71], v[10:11], v[54:55]
	v_fmac_f64_e32 v[44:45], v[60:61], v[10:11]
	v_cvt_f64_f32_e32 v[60:61], v20
	v_cvt_f64_f32_e32 v[20:21], v21
	;; [unrolled: 6-line block ×7, first 2 shown]
	v_fmac_f64_e32 v[54:55], v[24:25], v[0:1]
	v_fmac_f64_e32 v[48:49], v[26:27], v[0:1]
	v_fma_f64 v[20:21], -v[26:27], v[2:3], v[54:55]
	v_fmac_f64_e32 v[48:49], v[24:25], v[2:3]
	global_load_dwordx4 v[58:61], v[52:53], off offset:112
	global_load_dwordx4 v[66:69], v[52:53], off offset:96
	;; [unrolled: 1-line block ×4, first 2 shown]
	s_waitcnt vmcnt(0)
	v_cvt_f64_f32_e32 v[54:55], v70
	v_cvt_f64_f32_e32 v[70:71], v71
	v_fmac_f64_e32 v[56:57], v[54:55], v[12:13]
	v_fmac_f64_e32 v[46:47], v[70:71], v[12:13]
	v_fma_f64 v[56:57], -v[70:71], v[14:15], v[56:57]
	v_fmac_f64_e32 v[46:47], v[54:55], v[14:15]
	v_cvt_f64_f32_e32 v[54:55], v72
	v_cvt_f64_f32_e32 v[70:71], v73
	v_fmac_f64_e32 v[56:57], v[54:55], v[8:9]
	v_fmac_f64_e32 v[46:47], v[70:71], v[8:9]
	v_fma_f64 v[56:57], -v[70:71], v[10:11], v[56:57]
	v_fmac_f64_e32 v[46:47], v[54:55], v[10:11]
	;; [unrolled: 6-line block ×7, first 2 shown]
	v_cvt_f64_f32_e32 v[4:5], v60
	v_cvt_f64_f32_e32 v[6:7], v61
	v_fmac_f64_e32 v[12:13], v[4:5], v[0:1]
	v_fmac_f64_e32 v[38:39], v[6:7], v[0:1]
	global_load_dword v0, v[18:19], off offset:16
	v_fma_f64 v[12:13], -v[6:7], v[2:3], v[12:13]
	v_fmac_f64_e32 v[38:39], v[4:5], v[2:3]
	s_waitcnt vmcnt(0)
	v_subrev_u32_e32 v0, s20, v0
	v_lshlrev_b32_e32 v26, 2, v0
	v_ashrrev_i32_e32 v27, 31, v26
	v_lshlrev_b64 v[26:27], 4, v[26:27]
	v_add_co_u32_e32 v26, vcc, s4, v26
	global_load_dwordx4 v[0:3], v[52:53], off offset:560
	global_load_dwordx4 v[4:7], v[52:53], off offset:544
	global_load_dwordx4 v[8:11], v[52:53], off offset:528
	global_load_dwordx4 v[14:17], v[52:53], off offset:512
	v_addc_co_u32_e32 v27, vcc, v64, v27, vcc
	global_load_dwordx4 v[54:57], v[26:27], off offset:48
	global_load_dwordx4 v[58:61], v[26:27], off offset:32
	;; [unrolled: 1-line block ×3, first 2 shown]
	global_load_dwordx4 v[70:73], v[26:27], off
	s_waitcnt vmcnt(4)
	v_cvt_f64_f32_e32 v[74:75], v14
	v_cvt_f64_f32_e32 v[14:15], v15
	s_waitcnt vmcnt(0)
	v_fmac_f64_e32 v[22:23], v[74:75], v[70:71]
	v_fmac_f64_e32 v[44:45], v[14:15], v[70:71]
	v_fma_f64 v[22:23], -v[14:15], v[72:73], v[22:23]
	v_fmac_f64_e32 v[44:45], v[74:75], v[72:73]
	v_cvt_f64_f32_e32 v[14:15], v16
	v_cvt_f64_f32_e32 v[16:17], v17
	v_fmac_f64_e32 v[22:23], v[14:15], v[66:67]
	v_fmac_f64_e32 v[44:45], v[16:17], v[66:67]
	v_fma_f64 v[22:23], -v[16:17], v[68:69], v[22:23]
	v_fmac_f64_e32 v[44:45], v[14:15], v[68:69]
	v_cvt_f64_f32_e32 v[14:15], v8
	v_cvt_f64_f32_e32 v[8:9], v9
	;; [unrolled: 6-line block ×3, first 2 shown]
	v_fmac_f64_e32 v[16:17], v[14:15], v[54:55]
	v_fma_f64 v[8:9], -v[10:11], v[56:57], v[16:17]
	v_fmac_f64_e32 v[44:45], v[10:11], v[54:55]
	v_cvt_f64_f32_e32 v[10:11], v4
	v_cvt_f64_f32_e32 v[4:5], v5
	v_fmac_f64_e32 v[20:21], v[10:11], v[70:71]
	v_fmac_f64_e32 v[48:49], v[4:5], v[70:71]
	;; [unrolled: 1-line block ×3, first 2 shown]
	v_fma_f64 v[14:15], -v[4:5], v[72:73], v[20:21]
	v_fmac_f64_e32 v[48:49], v[10:11], v[72:73]
	v_cvt_f64_f32_e32 v[4:5], v6
	v_cvt_f64_f32_e32 v[6:7], v7
	v_fmac_f64_e32 v[14:15], v[4:5], v[66:67]
	v_fmac_f64_e32 v[48:49], v[6:7], v[66:67]
	v_fma_f64 v[10:11], -v[6:7], v[68:69], v[14:15]
	v_fmac_f64_e32 v[48:49], v[4:5], v[68:69]
	v_cvt_f64_f32_e32 v[4:5], v0
	v_cvt_f64_f32_e32 v[0:1], v1
	v_fmac_f64_e32 v[10:11], v[4:5], v[58:59]
	v_fmac_f64_e32 v[48:49], v[0:1], v[58:59]
	;; [unrolled: 6-line block ×3, first 2 shown]
	v_fma_f64 v[74:75], -v[2:3], v[56:57], v[6:7]
	v_fmac_f64_e32 v[48:49], v[0:1], v[56:57]
	global_load_dwordx4 v[0:3], v[52:53], off offset:624
	global_load_dwordx4 v[4:7], v[52:53], off offset:608
	;; [unrolled: 1-line block ×4, first 2 shown]
	s_waitcnt vmcnt(0)
	v_cvt_f64_f32_e32 v[10:11], v20
	v_cvt_f64_f32_e32 v[20:21], v21
	v_fmac_f64_e32 v[24:25], v[10:11], v[70:71]
	v_fmac_f64_e32 v[46:47], v[20:21], v[70:71]
	v_fma_f64 v[24:25], -v[20:21], v[72:73], v[24:25]
	v_fmac_f64_e32 v[46:47], v[10:11], v[72:73]
	v_cvt_f64_f32_e32 v[10:11], v22
	v_cvt_f64_f32_e32 v[20:21], v23
	v_fmac_f64_e32 v[24:25], v[10:11], v[66:67]
	v_fmac_f64_e32 v[46:47], v[20:21], v[66:67]
	v_fma_f64 v[22:23], -v[20:21], v[68:69], v[24:25]
	v_fmac_f64_e32 v[46:47], v[10:11], v[68:69]
	;; [unrolled: 6-line block ×3, first 2 shown]
	v_cvt_f64_f32_e32 v[14:15], v17
	v_cvt_f64_f32_e32 v[10:11], v16
	v_fmac_f64_e32 v[46:47], v[14:15], v[54:55]
	v_fmac_f64_e32 v[20:21], v[10:11], v[54:55]
	;; [unrolled: 1-line block ×3, first 2 shown]
	v_cvt_f64_f32_e32 v[10:11], v4
	v_cvt_f64_f32_e32 v[4:5], v5
	v_fmac_f64_e32 v[12:13], v[10:11], v[70:71]
	v_fmac_f64_e32 v[38:39], v[4:5], v[70:71]
	v_fma_f64 v[12:13], -v[4:5], v[72:73], v[12:13]
	v_fmac_f64_e32 v[38:39], v[10:11], v[72:73]
	v_cvt_f64_f32_e32 v[4:5], v6
	v_cvt_f64_f32_e32 v[6:7], v7
	v_fmac_f64_e32 v[12:13], v[4:5], v[66:67]
	v_fmac_f64_e32 v[38:39], v[6:7], v[66:67]
	v_fma_f64 v[10:11], -v[6:7], v[68:69], v[12:13]
	v_fmac_f64_e32 v[38:39], v[4:5], v[68:69]
	;; [unrolled: 6-line block ×3, first 2 shown]
	v_cvt_f64_f32_e32 v[0:1], v2
	v_cvt_f64_f32_e32 v[2:3], v3
	v_fmac_f64_e32 v[38:39], v[2:3], v[54:55]
	v_fmac_f64_e32 v[6:7], v[0:1], v[54:55]
	;; [unrolled: 1-line block ×3, first 2 shown]
	global_load_dword v0, v[18:19], off offset:32
	v_fma_f64 v[76:77], -v[14:15], v[56:57], v[20:21]
	v_fma_f64 v[60:61], -v[2:3], v[56:57], v[6:7]
	s_waitcnt vmcnt(0)
	v_subrev_u32_e32 v0, s20, v0
	v_lshlrev_b32_e32 v20, 2, v0
	v_ashrrev_i32_e32 v21, 31, v20
	v_lshlrev_b64 v[20:21], 4, v[20:21]
	v_add_co_u32_e32 v56, vcc, s4, v20
	global_load_dwordx4 v[0:3], v[52:53], off offset:1072
	global_load_dwordx4 v[4:7], v[52:53], off offset:1056
	;; [unrolled: 1-line block ×4, first 2 shown]
	v_addc_co_u32_e32 v57, vcc, v64, v21, vcc
	global_load_dwordx4 v[20:23], v[56:57], off offset:48
	global_load_dwordx4 v[24:27], v[56:57], off offset:32
	;; [unrolled: 1-line block ×3, first 2 shown]
	global_load_dwordx4 v[70:73], v[56:57], off
	s_waitcnt vmcnt(4)
	v_cvt_f64_f32_e32 v[54:55], v14
	v_cvt_f64_f32_e32 v[14:15], v15
	s_waitcnt vmcnt(0)
	v_fmac_f64_e32 v[8:9], v[54:55], v[70:71]
	v_fmac_f64_e32 v[44:45], v[14:15], v[70:71]
	v_fma_f64 v[8:9], -v[14:15], v[72:73], v[8:9]
	v_fmac_f64_e32 v[44:45], v[54:55], v[72:73]
	v_cvt_f64_f32_e32 v[14:15], v16
	v_cvt_f64_f32_e32 v[16:17], v17
	v_fmac_f64_e32 v[8:9], v[14:15], v[66:67]
	v_fmac_f64_e32 v[44:45], v[16:17], v[66:67]
	v_fma_f64 v[8:9], -v[16:17], v[68:69], v[8:9]
	v_fmac_f64_e32 v[44:45], v[14:15], v[68:69]
	v_cvt_f64_f32_e32 v[14:15], v10
	v_cvt_f64_f32_e32 v[10:11], v11
	v_fmac_f64_e32 v[8:9], v[14:15], v[24:25]
	v_fma_f64 v[8:9], -v[10:11], v[26:27], v[8:9]
	v_fmac_f64_e32 v[44:45], v[10:11], v[24:25]
	v_cvt_f64_f32_e32 v[10:11], v12
	v_cvt_f64_f32_e32 v[12:13], v13
	v_fmac_f64_e32 v[8:9], v[10:11], v[20:21]
	v_fmac_f64_e32 v[44:45], v[14:15], v[26:27]
	v_fma_f64 v[54:55], -v[12:13], v[22:23], v[8:9]
	v_cvt_f64_f32_e32 v[8:9], v4
	v_cvt_f64_f32_e32 v[4:5], v5
	v_fmac_f64_e32 v[44:45], v[12:13], v[20:21]
	v_fmac_f64_e32 v[74:75], v[8:9], v[70:71]
	;; [unrolled: 1-line block ×4, first 2 shown]
	v_fma_f64 v[10:11], -v[4:5], v[72:73], v[74:75]
	v_fmac_f64_e32 v[48:49], v[8:9], v[72:73]
	v_cvt_f64_f32_e32 v[4:5], v6
	v_cvt_f64_f32_e32 v[6:7], v7
	v_fmac_f64_e32 v[10:11], v[4:5], v[66:67]
	v_fmac_f64_e32 v[48:49], v[6:7], v[66:67]
	v_fma_f64 v[8:9], -v[6:7], v[68:69], v[10:11]
	v_fmac_f64_e32 v[48:49], v[4:5], v[68:69]
	v_cvt_f64_f32_e32 v[4:5], v0
	v_cvt_f64_f32_e32 v[0:1], v1
	v_fmac_f64_e32 v[8:9], v[4:5], v[24:25]
	v_fmac_f64_e32 v[48:49], v[0:1], v[24:25]
	;; [unrolled: 6-line block ×3, first 2 shown]
	v_fma_f64 v[58:59], -v[2:3], v[22:23], v[6:7]
	v_fmac_f64_e32 v[48:49], v[0:1], v[22:23]
	global_load_dwordx4 v[0:3], v[52:53], off offset:1136
	global_load_dwordx4 v[4:7], v[52:53], off offset:1120
	;; [unrolled: 1-line block ×4, first 2 shown]
	s_waitcnt vmcnt(0)
	v_cvt_f64_f32_e32 v[16:17], v12
	v_cvt_f64_f32_e32 v[12:13], v13
	v_fmac_f64_e32 v[76:77], v[16:17], v[70:71]
	v_fmac_f64_e32 v[46:47], v[12:13], v[70:71]
	v_fma_f64 v[56:57], -v[12:13], v[72:73], v[76:77]
	v_fmac_f64_e32 v[46:47], v[16:17], v[72:73]
	v_cvt_f64_f32_e32 v[12:13], v14
	v_cvt_f64_f32_e32 v[14:15], v15
	v_fmac_f64_e32 v[56:57], v[12:13], v[66:67]
	v_fmac_f64_e32 v[46:47], v[14:15], v[66:67]
	v_fma_f64 v[16:17], -v[14:15], v[68:69], v[56:57]
	v_fmac_f64_e32 v[46:47], v[12:13], v[68:69]
	;; [unrolled: 6-line block ×3, first 2 shown]
	v_cvt_f64_f32_e32 v[8:9], v10
	v_cvt_f64_f32_e32 v[10:11], v11
	v_fmac_f64_e32 v[46:47], v[10:11], v[20:21]
	v_fmac_f64_e32 v[14:15], v[8:9], v[20:21]
	;; [unrolled: 1-line block ×3, first 2 shown]
	v_cvt_f64_f32_e32 v[8:9], v4
	v_cvt_f64_f32_e32 v[4:5], v5
	v_fmac_f64_e32 v[60:61], v[8:9], v[70:71]
	v_fmac_f64_e32 v[38:39], v[4:5], v[70:71]
	v_fma_f64 v[56:57], -v[10:11], v[22:23], v[14:15]
	v_fma_f64 v[10:11], -v[4:5], v[72:73], v[60:61]
	v_fmac_f64_e32 v[38:39], v[8:9], v[72:73]
	v_cvt_f64_f32_e32 v[4:5], v6
	v_cvt_f64_f32_e32 v[6:7], v7
	v_fmac_f64_e32 v[10:11], v[4:5], v[66:67]
	v_fmac_f64_e32 v[38:39], v[6:7], v[66:67]
	v_fma_f64 v[8:9], -v[6:7], v[68:69], v[10:11]
	v_fmac_f64_e32 v[38:39], v[4:5], v[68:69]
	v_cvt_f64_f32_e32 v[4:5], v0
	v_cvt_f64_f32_e32 v[0:1], v1
	v_fmac_f64_e32 v[8:9], v[4:5], v[24:25]
	v_fmac_f64_e32 v[38:39], v[0:1], v[24:25]
	;; [unrolled: 6-line block ×3, first 2 shown]
	v_fmac_f64_e32 v[38:39], v[0:1], v[22:23]
	global_load_dword v0, v[18:19], off offset:48
	v_fma_f64 v[60:61], -v[2:3], v[22:23], v[6:7]
	s_waitcnt vmcnt(0)
	v_subrev_u32_e32 v0, s20, v0
	v_lshlrev_b32_e32 v12, 2, v0
	v_ashrrev_i32_e32 v13, 31, v12
	v_lshlrev_b64 v[12:13], 4, v[12:13]
	v_add_co_u32_e32 v72, vcc, s4, v12
	global_load_dwordx4 v[0:3], v[52:53], off offset:1584
	global_load_dwordx4 v[4:7], v[52:53], off offset:1568
	;; [unrolled: 1-line block ×4, first 2 shown]
	v_addc_co_u32_e32 v73, vcc, v64, v13, vcc
	global_load_dwordx4 v[12:15], v[72:73], off offset:48
	global_load_dwordx4 v[16:19], v[72:73], off offset:32
	;; [unrolled: 1-line block ×3, first 2 shown]
	global_load_dwordx4 v[24:27], v[72:73], off
	s_waitcnt vmcnt(4)
	v_cvt_f64_f32_e32 v[70:71], v66
	v_cvt_f64_f32_e32 v[66:67], v67
	s_waitcnt vmcnt(0)
	v_fmac_f64_e32 v[54:55], v[70:71], v[24:25]
	v_fmac_f64_e32 v[44:45], v[66:67], v[24:25]
	v_fma_f64 v[54:55], -v[66:67], v[26:27], v[54:55]
	v_fmac_f64_e32 v[44:45], v[70:71], v[26:27]
	v_cvt_f64_f32_e32 v[66:67], v68
	v_cvt_f64_f32_e32 v[68:69], v69
	v_fmac_f64_e32 v[54:55], v[66:67], v[20:21]
	v_fmac_f64_e32 v[44:45], v[68:69], v[20:21]
	v_fma_f64 v[54:55], -v[68:69], v[22:23], v[54:55]
	v_fmac_f64_e32 v[44:45], v[66:67], v[22:23]
	v_cvt_f64_f32_e32 v[66:67], v8
	v_cvt_f64_f32_e32 v[8:9], v9
	;; [unrolled: 6-line block ×3, first 2 shown]
	v_fmac_f64_e32 v[44:45], v[10:11], v[12:13]
	v_fmac_f64_e32 v[54:55], v[8:9], v[12:13]
	;; [unrolled: 1-line block ×3, first 2 shown]
	v_cvt_f64_f32_e32 v[8:9], v4
	v_cvt_f64_f32_e32 v[4:5], v5
	v_fmac_f64_e32 v[58:59], v[8:9], v[24:25]
	v_fmac_f64_e32 v[48:49], v[4:5], v[24:25]
	v_fma_f64 v[54:55], -v[10:11], v[14:15], v[54:55]
	v_fma_f64 v[10:11], -v[4:5], v[26:27], v[58:59]
	v_fmac_f64_e32 v[48:49], v[8:9], v[26:27]
	v_cvt_f64_f32_e32 v[4:5], v6
	v_cvt_f64_f32_e32 v[6:7], v7
	v_fmac_f64_e32 v[10:11], v[4:5], v[20:21]
	v_fmac_f64_e32 v[48:49], v[6:7], v[20:21]
	v_fma_f64 v[8:9], -v[6:7], v[22:23], v[10:11]
	v_fmac_f64_e32 v[48:49], v[4:5], v[22:23]
	v_cvt_f64_f32_e32 v[4:5], v0
	v_cvt_f64_f32_e32 v[0:1], v1
	v_fmac_f64_e32 v[8:9], v[4:5], v[16:17]
	v_fmac_f64_e32 v[48:49], v[0:1], v[16:17]
	;; [unrolled: 6-line block ×3, first 2 shown]
	v_fma_f64 v[58:59], -v[2:3], v[14:15], v[6:7]
	v_fmac_f64_e32 v[48:49], v[0:1], v[14:15]
	global_load_dwordx4 v[0:3], v[52:53], off offset:1648
	global_load_dwordx4 v[4:7], v[52:53], off offset:1632
	;; [unrolled: 1-line block ×4, first 2 shown]
	v_add_co_u32_e32 v52, vcc, 0x800, v52
	v_addc_co_u32_e32 v53, vcc, 0, v53, vcc
	v_cmp_ge_i32_e32 vcc, v50, v62
	s_or_b64 s[14:15], vcc, s[14:15]
	s_waitcnt vmcnt(0)
	v_cvt_f64_f32_e32 v[70:71], v66
	v_cvt_f64_f32_e32 v[66:67], v67
	v_fmac_f64_e32 v[56:57], v[70:71], v[24:25]
	v_fmac_f64_e32 v[46:47], v[66:67], v[24:25]
	v_fma_f64 v[56:57], -v[66:67], v[26:27], v[56:57]
	v_fmac_f64_e32 v[46:47], v[70:71], v[26:27]
	v_cvt_f64_f32_e32 v[66:67], v68
	v_cvt_f64_f32_e32 v[68:69], v69
	v_fmac_f64_e32 v[56:57], v[66:67], v[20:21]
	v_fmac_f64_e32 v[46:47], v[68:69], v[20:21]
	v_fma_f64 v[56:57], -v[68:69], v[22:23], v[56:57]
	v_fmac_f64_e32 v[46:47], v[66:67], v[22:23]
	;; [unrolled: 6-line block ×3, first 2 shown]
	v_cvt_f64_f32_e32 v[8:9], v10
	v_cvt_f64_f32_e32 v[10:11], v11
	v_fmac_f64_e32 v[46:47], v[10:11], v[12:13]
	v_fmac_f64_e32 v[56:57], v[8:9], v[12:13]
	;; [unrolled: 1-line block ×3, first 2 shown]
	v_cvt_f64_f32_e32 v[8:9], v4
	v_cvt_f64_f32_e32 v[4:5], v5
	v_fmac_f64_e32 v[60:61], v[8:9], v[24:25]
	v_fmac_f64_e32 v[38:39], v[4:5], v[24:25]
	v_fma_f64 v[56:57], -v[10:11], v[14:15], v[56:57]
	v_fma_f64 v[10:11], -v[4:5], v[26:27], v[60:61]
	v_fmac_f64_e32 v[38:39], v[8:9], v[26:27]
	v_cvt_f64_f32_e32 v[4:5], v6
	v_cvt_f64_f32_e32 v[6:7], v7
	v_fmac_f64_e32 v[10:11], v[4:5], v[20:21]
	v_fmac_f64_e32 v[38:39], v[6:7], v[20:21]
	v_fma_f64 v[8:9], -v[6:7], v[22:23], v[10:11]
	v_fmac_f64_e32 v[38:39], v[4:5], v[22:23]
	v_cvt_f64_f32_e32 v[4:5], v0
	v_cvt_f64_f32_e32 v[0:1], v1
	v_fmac_f64_e32 v[8:9], v[4:5], v[16:17]
	v_fmac_f64_e32 v[38:39], v[0:1], v[16:17]
	;; [unrolled: 6-line block ×3, first 2 shown]
	v_fma_f64 v[16:17], -v[2:3], v[14:15], v[6:7]
	v_fmac_f64_e32 v[38:39], v[0:1], v[14:15]
	s_andn2_b64 exec, exec, s[14:15]
	s_cbranch_execnz .LBB165_23
; %bb.24:
	s_or_b64 exec, exec, s[14:15]
.LBB165_25:
	s_or_b64 exec, exec, s[2:3]
.LBB165_26:
	s_or_b64 exec, exec, s[10:11]
	s_andn2_b64 vcc, exec, s[8:9]
	s_cbranch_vccz .LBB165_28
	s_branch .LBB165_39
.LBB165_27:
                                        ; implicit-def: $vgpr44_vgpr45
                                        ; implicit-def: $vgpr54_vgpr55
                                        ; implicit-def: $vgpr48_vgpr49
                                        ; implicit-def: $vgpr58_vgpr59
                                        ; implicit-def: $vgpr46_vgpr47
                                        ; implicit-def: $vgpr56_vgpr57
                                        ; implicit-def: $vgpr38_vgpr39
                                        ; implicit-def: $vgpr16_vgpr17
.LBB165_28:
	v_pk_mov_b32 v[44:45], 0, 0
	v_pk_mov_b32 v[54:55], v[44:45], v[44:45] op_sel:[0,1]
	v_pk_mov_b32 v[48:49], v[44:45], v[44:45] op_sel:[0,1]
	;; [unrolled: 1-line block ×7, first 2 shown]
	s_and_saveexec_b64 s[2:3], s[0:1]
	s_cbranch_execz .LBB165_38
; %bb.29:
	v_add_u32_e32 v0, v63, v37
	v_subrev_u32_e32 v0, s20, v0
	v_add_u32_e32 v0, 4, v0
	v_max_i32_e32 v0, v0, v62
	v_not_b32_e32 v1, v63
	v_add3_u32 v0, v0, s20, v1
	v_sub_u32_e32 v18, v0, v37
	v_lshrrev_b32_e32 v0, 2, v18
	v_add_u32_e32 v0, 1, v0
	v_and_b32_e32 v0, 3, v0
	v_pk_mov_b32 v[16:17], 0, 0
	v_cmp_ne_u32_e32 vcc, 0, v0
	v_pk_mov_b32 v[38:39], v[16:17], v[16:17] op_sel:[0,1]
	v_pk_mov_b32 v[56:57], v[16:17], v[16:17] op_sel:[0,1]
	v_pk_mov_b32 v[46:47], v[16:17], v[16:17] op_sel:[0,1]
	v_pk_mov_b32 v[58:59], v[16:17], v[16:17] op_sel:[0,1]
	v_pk_mov_b32 v[48:49], v[16:17], v[16:17] op_sel:[0,1]
	v_pk_mov_b32 v[54:55], v[16:17], v[16:17] op_sel:[0,1]
	v_pk_mov_b32 v[44:45], v[16:17], v[16:17] op_sel:[0,1]
	s_and_saveexec_b64 s[8:9], vcc
	s_cbranch_execz .LBB165_33
; %bb.30:
	v_pk_mov_b32 v[44:45], 0, 0
	v_lshlrev_b32_e32 v19, 7, v0
	s_mov_b64 s[10:11], 0
	v_mov_b32_e32 v20, s13
	v_mov_b32_e32 v21, s5
	v_pk_mov_b32 v[54:55], v[44:45], v[44:45] op_sel:[0,1]
	v_pk_mov_b32 v[48:49], v[44:45], v[44:45] op_sel:[0,1]
	;; [unrolled: 1-line block ×7, first 2 shown]
.LBB165_31:                             ; =>This Inner Loop Header: Depth=1
	v_ashrrev_i32_e32 v41, 31, v40
	v_lshlrev_b64 v[26:27], 2, v[40:41]
	v_add_co_u32_e64 v26, s[0:1], s12, v26
	v_addc_co_u32_e64 v27, s[0:1], v20, v27, s[0:1]
	global_load_dwordx4 v[12:15], v[42:43], off
	global_load_dwordx4 v[8:11], v[42:43], off offset:16
	global_load_dwordx4 v[4:7], v[42:43], off offset:32
	;; [unrolled: 1-line block ×7, first 2 shown]
	global_load_dword v41, v[26:27], off
	v_add_co_u32_e32 v42, vcc, 0x200, v42
	v_addc_co_u32_e32 v43, vcc, 0, v43, vcc
	v_add_u32_e32 v19, 0xffffff80, v19
	v_cmp_eq_u32_e64 s[0:1], 0, v19
	v_add_u32_e32 v40, 4, v40
	s_or_b64 s[10:11], s[0:1], s[10:11]
	s_waitcnt vmcnt(8)
	v_cvt_f64_f32_e32 v[26:27], v12
	v_cvt_f64_f32_e32 v[60:61], v13
	s_waitcnt vmcnt(6)
	v_cvt_f64_f32_e32 v[88:89], v4
	s_waitcnt vmcnt(5)
	v_cvt_f64_f32_e32 v[98:99], v2
	v_cvt_f64_f32_e32 v[90:91], v5
	;; [unrolled: 1-line block ×4, first 2 shown]
	s_waitcnt vmcnt(0)
	v_subrev_u32_e32 v2, s20, v41
	v_lshlrev_b32_e32 v4, 2, v2
	v_ashrrev_i32_e32 v5, 31, v4
	v_lshlrev_b64 v[4:5], 4, v[4:5]
	v_add_co_u32_e32 v100, vcc, s4, v4
	v_addc_co_u32_e32 v101, vcc, v21, v5, vcc
	v_cvt_f64_f32_e32 v[80:81], v8
	v_cvt_f64_f32_e32 v[82:83], v9
	v_cvt_f64_f32_e32 v[84:85], v10
	v_cvt_f64_f32_e32 v[86:87], v11
	v_cvt_f64_f32_e32 v[92:93], v6
	v_cvt_f64_f32_e32 v[94:95], v7
	global_load_dwordx4 v[4:7], v[100:101], off
	global_load_dwordx4 v[8:11], v[100:101], off offset:16
	global_load_dwordx4 v[12:15], v[100:101], off offset:32
	;; [unrolled: 1-line block ×3, first 2 shown]
	v_cvt_f64_f32_e32 v[96:97], v0
	v_cvt_f64_f32_e32 v[0:1], v1
	;; [unrolled: 1-line block ×19, first 2 shown]
	s_waitcnt vmcnt(3)
	v_fmac_f64_e32 v[54:55], v[26:27], v[4:5]
	v_fmac_f64_e32 v[44:45], v[60:61], v[4:5]
	v_fmac_f64_e32 v[58:59], v[76:77], v[4:5]
	v_fmac_f64_e32 v[48:49], v[78:79], v[4:5]
	v_fmac_f64_e32 v[56:57], v[80:81], v[4:5]
	v_fmac_f64_e32 v[46:47], v[82:83], v[4:5]
	v_fmac_f64_e32 v[16:17], v[84:85], v[4:5]
	v_fmac_f64_e32 v[38:39], v[86:87], v[4:5]
	v_fma_f64 v[4:5], -v[60:61], v[6:7], v[54:55]
	v_fmac_f64_e32 v[44:45], v[26:27], v[6:7]
	v_fma_f64 v[26:27], -v[78:79], v[6:7], v[58:59]
	v_fmac_f64_e32 v[48:49], v[76:77], v[6:7]
	v_fma_f64 v[54:55], -v[82:83], v[6:7], v[56:57]
	v_fmac_f64_e32 v[46:47], v[80:81], v[6:7]
	v_fma_f64 v[16:17], -v[86:87], v[6:7], v[16:17]
	v_fmac_f64_e32 v[38:39], v[84:85], v[6:7]
	s_waitcnt vmcnt(2)
	v_fmac_f64_e32 v[4:5], v[88:89], v[8:9]
	v_fmac_f64_e32 v[44:45], v[90:91], v[8:9]
	v_fmac_f64_e32 v[26:27], v[92:93], v[8:9]
	v_fmac_f64_e32 v[48:49], v[94:95], v[8:9]
	v_fmac_f64_e32 v[54:55], v[96:97], v[8:9]
	v_fmac_f64_e32 v[46:47], v[0:1], v[8:9]
	v_fmac_f64_e32 v[16:17], v[98:99], v[8:9]
	v_fmac_f64_e32 v[38:39], v[2:3], v[8:9]
	v_fma_f64 v[4:5], -v[90:91], v[10:11], v[4:5]
	v_fmac_f64_e32 v[44:45], v[88:89], v[10:11]
	v_fma_f64 v[6:7], -v[94:95], v[10:11], v[26:27]
	v_fmac_f64_e32 v[48:49], v[92:93], v[10:11]
	v_fma_f64 v[0:1], -v[0:1], v[10:11], v[54:55]
	v_fmac_f64_e32 v[46:47], v[96:97], v[10:11]
	v_fma_f64 v[2:3], -v[2:3], v[10:11], v[16:17]
	v_fmac_f64_e32 v[38:39], v[98:99], v[10:11]
	s_waitcnt vmcnt(1)
	v_fmac_f64_e32 v[4:5], v[100:101], v[12:13]
	v_fmac_f64_e32 v[44:45], v[22:23], v[12:13]
	v_fmac_f64_e32 v[6:7], v[102:103], v[12:13]
	v_fmac_f64_e32 v[48:49], v[24:25], v[12:13]
	v_fmac_f64_e32 v[0:1], v[104:105], v[12:13]
	v_fmac_f64_e32 v[46:47], v[50:51], v[12:13]
	v_fmac_f64_e32 v[2:3], v[106:107], v[12:13]
	v_fmac_f64_e32 v[38:39], v[52:53], v[12:13]
	v_fma_f64 v[4:5], -v[22:23], v[14:15], v[4:5]
	v_fmac_f64_e32 v[44:45], v[100:101], v[14:15]
	v_fma_f64 v[6:7], -v[24:25], v[14:15], v[6:7]
	v_fmac_f64_e32 v[48:49], v[102:103], v[14:15]
	v_fma_f64 v[0:1], -v[50:51], v[14:15], v[0:1]
	v_fmac_f64_e32 v[46:47], v[104:105], v[14:15]
	v_fma_f64 v[2:3], -v[52:53], v[14:15], v[2:3]
	v_fmac_f64_e32 v[38:39], v[106:107], v[14:15]
	s_waitcnt vmcnt(0)
	v_fmac_f64_e32 v[4:5], v[108:109], v[72:73]
	v_fmac_f64_e32 v[44:45], v[64:65], v[72:73]
	v_fmac_f64_e32 v[6:7], v[110:111], v[72:73]
	v_fmac_f64_e32 v[48:49], v[66:67], v[72:73]
	v_fmac_f64_e32 v[0:1], v[112:113], v[72:73]
	v_fmac_f64_e32 v[46:47], v[68:69], v[72:73]
	v_fmac_f64_e32 v[2:3], v[114:115], v[72:73]
	v_fmac_f64_e32 v[38:39], v[70:71], v[72:73]
	v_fma_f64 v[54:55], -v[64:65], v[74:75], v[4:5]
	v_fmac_f64_e32 v[44:45], v[108:109], v[74:75]
	v_fma_f64 v[58:59], -v[66:67], v[74:75], v[6:7]
	v_fmac_f64_e32 v[48:49], v[110:111], v[74:75]
	v_fma_f64 v[56:57], -v[68:69], v[74:75], v[0:1]
	v_fmac_f64_e32 v[46:47], v[112:113], v[74:75]
	v_fma_f64 v[16:17], -v[70:71], v[74:75], v[2:3]
	v_fmac_f64_e32 v[38:39], v[114:115], v[74:75]
	s_andn2_b64 exec, exec, s[10:11]
	s_cbranch_execnz .LBB165_31
; %bb.32:
	s_or_b64 exec, exec, s[10:11]
.LBB165_33:
	s_or_b64 exec, exec, s[8:9]
	v_cmp_lt_u32_e32 vcc, 11, v18
	s_and_saveexec_b64 s[0:1], vcc
	s_cbranch_execz .LBB165_37
; %bb.34:
	s_mov_b64 s[8:9], 0
	v_mov_b32_e32 v50, s13
	v_mov_b32_e32 v51, s5
.LBB165_35:                             ; =>This Inner Loop Header: Depth=1
	v_ashrrev_i32_e32 v41, 31, v40
	v_lshlrev_b64 v[0:1], 2, v[40:41]
	v_add_co_u32_e32 v12, vcc, s12, v0
	v_addc_co_u32_e32 v13, vcc, v50, v1, vcc
	global_load_dword v0, v[12:13], off
	global_load_dwordx4 v[8:11], v[42:43], off offset:48
	global_load_dwordx4 v[18:21], v[42:43], off offset:32
	;; [unrolled: 1-line block ×3, first 2 shown]
	global_load_dwordx4 v[64:67], v[42:43], off
	v_add_u32_e32 v40, 16, v40
	s_waitcnt vmcnt(4)
	v_subrev_u32_e32 v0, s20, v0
	v_lshlrev_b32_e32 v0, 2, v0
	v_ashrrev_i32_e32 v1, 31, v0
	v_lshlrev_b64 v[0:1], 4, v[0:1]
	v_add_co_u32_e32 v52, vcc, s4, v0
	v_addc_co_u32_e32 v53, vcc, v51, v1, vcc
	global_load_dwordx4 v[0:3], v[52:53], off offset:48
	global_load_dwordx4 v[4:7], v[52:53], off offset:32
	;; [unrolled: 1-line block ×3, first 2 shown]
	global_load_dwordx4 v[72:75], v[52:53], off
	s_waitcnt vmcnt(4)
	v_cvt_f64_f32_e32 v[14:15], v64
	v_cvt_f64_f32_e32 v[26:27], v65
	s_waitcnt vmcnt(0)
	v_fmac_f64_e32 v[54:55], v[14:15], v[72:73]
	v_fma_f64 v[52:53], -v[26:27], v[74:75], v[54:55]
	v_fmac_f64_e32 v[44:45], v[26:27], v[72:73]
	v_cvt_f64_f32_e32 v[26:27], v67
	v_fmac_f64_e32 v[44:45], v[14:15], v[74:75]
	v_cvt_f64_f32_e32 v[14:15], v66
	v_fmac_f64_e32 v[48:49], v[26:27], v[72:73]
	v_fmac_f64_e32 v[58:59], v[14:15], v[72:73]
	;; [unrolled: 1-line block ×3, first 2 shown]
	v_cvt_f64_f32_e32 v[14:15], v22
	v_cvt_f64_f32_e32 v[22:23], v23
	v_fmac_f64_e32 v[56:57], v[14:15], v[72:73]
	v_fma_f64 v[54:55], -v[26:27], v[74:75], v[58:59]
	v_fma_f64 v[26:27], -v[22:23], v[74:75], v[56:57]
	v_fmac_f64_e32 v[46:47], v[22:23], v[72:73]
	v_cvt_f64_f32_e32 v[22:23], v25
	v_fmac_f64_e32 v[46:47], v[14:15], v[74:75]
	v_cvt_f64_f32_e32 v[14:15], v24
	v_fmac_f64_e32 v[38:39], v[22:23], v[72:73]
	v_fmac_f64_e32 v[16:17], v[14:15], v[72:73]
	;; [unrolled: 1-line block ×3, first 2 shown]
	v_cvt_f64_f32_e32 v[14:15], v18
	v_cvt_f64_f32_e32 v[18:19], v19
	v_fmac_f64_e32 v[52:53], v[14:15], v[68:69]
	v_fma_f64 v[52:53], -v[18:19], v[70:71], v[52:53]
	v_fmac_f64_e32 v[44:45], v[18:19], v[68:69]
	v_cvt_f64_f32_e32 v[18:19], v21
	v_fmac_f64_e32 v[44:45], v[14:15], v[70:71]
	v_cvt_f64_f32_e32 v[14:15], v20
	v_fmac_f64_e32 v[48:49], v[18:19], v[68:69]
	v_fmac_f64_e32 v[54:55], v[14:15], v[68:69]
	;; [unrolled: 1-line block ×3, first 2 shown]
	v_cvt_f64_f32_e32 v[14:15], v8
	v_cvt_f64_f32_e32 v[8:9], v9
	v_fmac_f64_e32 v[26:27], v[14:15], v[68:69]
	v_fma_f64 v[16:17], -v[22:23], v[74:75], v[16:17]
	v_fma_f64 v[26:27], -v[8:9], v[70:71], v[26:27]
	v_fmac_f64_e32 v[46:47], v[8:9], v[68:69]
	v_cvt_f64_f32_e32 v[8:9], v10
	v_cvt_f64_f32_e32 v[10:11], v11
	v_fmac_f64_e32 v[16:17], v[8:9], v[68:69]
	v_fmac_f64_e32 v[38:39], v[10:11], v[68:69]
	v_fma_f64 v[54:55], -v[18:19], v[70:71], v[54:55]
	v_fmac_f64_e32 v[46:47], v[14:15], v[70:71]
	v_fma_f64 v[56:57], -v[10:11], v[70:71], v[16:17]
	v_fmac_f64_e32 v[38:39], v[8:9], v[70:71]
	global_load_dwordx4 v[8:11], v[42:43], off offset:112
	global_load_dwordx4 v[14:17], v[42:43], off offset:96
	;; [unrolled: 1-line block ×4, first 2 shown]
	s_waitcnt vmcnt(0)
	v_cvt_f64_f32_e32 v[58:59], v22
	v_cvt_f64_f32_e32 v[22:23], v23
	v_fmac_f64_e32 v[52:53], v[58:59], v[4:5]
	v_fma_f64 v[52:53], -v[22:23], v[6:7], v[52:53]
	v_fmac_f64_e32 v[44:45], v[22:23], v[4:5]
	v_cvt_f64_f32_e32 v[22:23], v24
	v_cvt_f64_f32_e32 v[24:25], v25
	v_fmac_f64_e32 v[48:49], v[24:25], v[4:5]
	v_fmac_f64_e32 v[54:55], v[22:23], v[4:5]
	;; [unrolled: 1-line block ×3, first 2 shown]
	v_cvt_f64_f32_e32 v[22:23], v18
	v_cvt_f64_f32_e32 v[18:19], v19
	v_fmac_f64_e32 v[26:27], v[22:23], v[4:5]
	v_fma_f64 v[54:55], -v[24:25], v[6:7], v[54:55]
	v_fma_f64 v[24:25], -v[18:19], v[6:7], v[26:27]
	v_fmac_f64_e32 v[46:47], v[18:19], v[4:5]
	v_cvt_f64_f32_e32 v[18:19], v20
	v_cvt_f64_f32_e32 v[20:21], v21
	v_fmac_f64_e32 v[56:57], v[18:19], v[4:5]
	v_fmac_f64_e32 v[38:39], v[20:21], v[4:5]
	;; [unrolled: 1-line block ×4, first 2 shown]
	v_fma_f64 v[22:23], -v[20:21], v[6:7], v[56:57]
	v_fmac_f64_e32 v[38:39], v[18:19], v[6:7]
	v_cvt_f64_f32_e32 v[4:5], v14
	v_cvt_f64_f32_e32 v[6:7], v15
	v_fmac_f64_e32 v[52:53], v[4:5], v[0:1]
	v_fmac_f64_e32 v[44:45], v[6:7], v[0:1]
	v_fma_f64 v[20:21], -v[6:7], v[2:3], v[52:53]
	v_fmac_f64_e32 v[44:45], v[4:5], v[2:3]
	v_cvt_f64_f32_e32 v[4:5], v16
	v_cvt_f64_f32_e32 v[6:7], v17
	v_fmac_f64_e32 v[54:55], v[4:5], v[0:1]
	v_fmac_f64_e32 v[48:49], v[6:7], v[0:1]
	;; [unrolled: 6-line block ×4, first 2 shown]
	global_load_dword v0, v[12:13], off offset:16
	v_fma_f64 v[14:15], -v[6:7], v[2:3], v[22:23]
	v_fmac_f64_e32 v[38:39], v[4:5], v[2:3]
	s_waitcnt vmcnt(0)
	v_subrev_u32_e32 v0, s20, v0
	v_lshlrev_b32_e32 v26, 2, v0
	v_ashrrev_i32_e32 v27, 31, v26
	v_lshlrev_b64 v[26:27], 4, v[26:27]
	v_add_co_u32_e32 v26, vcc, s4, v26
	global_load_dwordx4 v[0:3], v[42:43], off offset:560
	global_load_dwordx4 v[4:7], v[42:43], off offset:544
	;; [unrolled: 1-line block ×4, first 2 shown]
	v_addc_co_u32_e32 v27, vcc, v51, v27, vcc
	global_load_dwordx4 v[52:55], v[26:27], off offset:48
	global_load_dwordx4 v[56:59], v[26:27], off offset:32
	;; [unrolled: 1-line block ×3, first 2 shown]
	global_load_dwordx4 v[68:71], v[26:27], off
	s_waitcnt vmcnt(4)
	v_cvt_f64_f32_e32 v[60:61], v22
	v_cvt_f64_f32_e32 v[22:23], v23
	s_waitcnt vmcnt(0)
	v_fmac_f64_e32 v[20:21], v[60:61], v[68:69]
	v_fma_f64 v[20:21], -v[22:23], v[70:71], v[20:21]
	v_fmac_f64_e32 v[44:45], v[22:23], v[68:69]
	v_cvt_f64_f32_e32 v[22:23], v24
	v_cvt_f64_f32_e32 v[24:25], v25
	v_fmac_f64_e32 v[48:49], v[24:25], v[68:69]
	v_fmac_f64_e32 v[18:19], v[22:23], v[68:69]
	;; [unrolled: 1-line block ×3, first 2 shown]
	v_cvt_f64_f32_e32 v[22:23], v8
	v_cvt_f64_f32_e32 v[8:9], v9
	v_fmac_f64_e32 v[16:17], v[22:23], v[68:69]
	v_fma_f64 v[16:17], -v[8:9], v[70:71], v[16:17]
	v_fmac_f64_e32 v[46:47], v[8:9], v[68:69]
	v_cvt_f64_f32_e32 v[8:9], v10
	v_cvt_f64_f32_e32 v[10:11], v11
	v_fmac_f64_e32 v[38:39], v[10:11], v[68:69]
	v_fmac_f64_e32 v[14:15], v[8:9], v[68:69]
	;; [unrolled: 1-line block ×3, first 2 shown]
	v_cvt_f64_f32_e32 v[8:9], v4
	v_fmac_f64_e32 v[44:45], v[60:61], v[70:71]
	v_cvt_f64_f32_e32 v[4:5], v5
	v_fmac_f64_e32 v[20:21], v[8:9], v[64:65]
	v_fma_f64 v[20:21], -v[4:5], v[66:67], v[20:21]
	v_fmac_f64_e32 v[44:45], v[4:5], v[64:65]
	v_cvt_f64_f32_e32 v[4:5], v6
	v_cvt_f64_f32_e32 v[6:7], v7
	v_fma_f64 v[18:19], -v[24:25], v[70:71], v[18:19]
	v_fmac_f64_e32 v[48:49], v[6:7], v[64:65]
	v_fmac_f64_e32 v[18:19], v[4:5], v[64:65]
	;; [unrolled: 1-line block ×3, first 2 shown]
	v_cvt_f64_f32_e32 v[4:5], v0
	v_fmac_f64_e32 v[46:47], v[22:23], v[70:71]
	v_cvt_f64_f32_e32 v[0:1], v1
	v_fmac_f64_e32 v[16:17], v[4:5], v[64:65]
	v_fma_f64 v[14:15], -v[10:11], v[70:71], v[14:15]
	v_fma_f64 v[22:23], -v[0:1], v[66:67], v[16:17]
	v_fmac_f64_e32 v[46:47], v[0:1], v[64:65]
	v_cvt_f64_f32_e32 v[0:1], v2
	v_cvt_f64_f32_e32 v[2:3], v3
	v_fmac_f64_e32 v[14:15], v[0:1], v[64:65]
	v_fmac_f64_e32 v[38:39], v[2:3], v[64:65]
	;; [unrolled: 1-line block ×3, first 2 shown]
	v_fma_f64 v[18:19], -v[6:7], v[66:67], v[18:19]
	v_fmac_f64_e32 v[46:47], v[4:5], v[66:67]
	v_fma_f64 v[24:25], -v[2:3], v[66:67], v[14:15]
	v_fmac_f64_e32 v[38:39], v[0:1], v[66:67]
	global_load_dwordx4 v[0:3], v[42:43], off offset:624
	global_load_dwordx4 v[4:7], v[42:43], off offset:608
	;; [unrolled: 1-line block ×4, first 2 shown]
	s_waitcnt vmcnt(0)
	v_cvt_f64_f32_e32 v[26:27], v14
	v_cvt_f64_f32_e32 v[14:15], v15
	v_fmac_f64_e32 v[20:21], v[26:27], v[56:57]
	v_fma_f64 v[20:21], -v[14:15], v[58:59], v[20:21]
	v_fmac_f64_e32 v[44:45], v[14:15], v[56:57]
	v_cvt_f64_f32_e32 v[14:15], v16
	v_cvt_f64_f32_e32 v[16:17], v17
	v_fmac_f64_e32 v[48:49], v[16:17], v[56:57]
	v_fmac_f64_e32 v[18:19], v[14:15], v[56:57]
	;; [unrolled: 1-line block ×3, first 2 shown]
	v_cvt_f64_f32_e32 v[14:15], v8
	v_cvt_f64_f32_e32 v[8:9], v9
	v_fmac_f64_e32 v[22:23], v[14:15], v[56:57]
	v_fma_f64 v[18:19], -v[16:17], v[58:59], v[18:19]
	v_fma_f64 v[16:17], -v[8:9], v[58:59], v[22:23]
	v_fmac_f64_e32 v[46:47], v[8:9], v[56:57]
	v_cvt_f64_f32_e32 v[8:9], v10
	v_cvt_f64_f32_e32 v[10:11], v11
	v_fmac_f64_e32 v[38:39], v[10:11], v[56:57]
	v_fmac_f64_e32 v[24:25], v[8:9], v[56:57]
	;; [unrolled: 1-line block ×3, first 2 shown]
	v_cvt_f64_f32_e32 v[8:9], v4
	v_fmac_f64_e32 v[44:45], v[26:27], v[58:59]
	v_cvt_f64_f32_e32 v[4:5], v5
	v_fmac_f64_e32 v[20:21], v[8:9], v[52:53]
	v_fma_f64 v[26:27], -v[4:5], v[54:55], v[20:21]
	v_fmac_f64_e32 v[44:45], v[4:5], v[52:53]
	v_cvt_f64_f32_e32 v[4:5], v6
	v_cvt_f64_f32_e32 v[6:7], v7
	v_fmac_f64_e32 v[48:49], v[6:7], v[52:53]
	v_fmac_f64_e32 v[18:19], v[4:5], v[52:53]
	;; [unrolled: 1-line block ×3, first 2 shown]
	v_cvt_f64_f32_e32 v[4:5], v0
	v_fmac_f64_e32 v[46:47], v[14:15], v[58:59]
	v_cvt_f64_f32_e32 v[0:1], v1
	v_fmac_f64_e32 v[16:17], v[4:5], v[52:53]
	v_fma_f64 v[64:65], -v[0:1], v[54:55], v[16:17]
	v_fmac_f64_e32 v[46:47], v[0:1], v[52:53]
	v_cvt_f64_f32_e32 v[0:1], v2
	v_cvt_f64_f32_e32 v[2:3], v3
	v_fma_f64 v[14:15], -v[10:11], v[58:59], v[24:25]
	v_fmac_f64_e32 v[38:39], v[2:3], v[52:53]
	v_fmac_f64_e32 v[14:15], v[0:1], v[52:53]
	;; [unrolled: 1-line block ×3, first 2 shown]
	global_load_dword v0, v[12:13], off offset:32
	v_fma_f64 v[60:61], -v[6:7], v[54:55], v[18:19]
	v_fmac_f64_e32 v[44:45], v[8:9], v[54:55]
	v_fmac_f64_e32 v[46:47], v[4:5], v[54:55]
	v_fma_f64 v[66:67], -v[2:3], v[54:55], v[14:15]
	s_waitcnt vmcnt(0)
	v_subrev_u32_e32 v0, s20, v0
	v_lshlrev_b32_e32 v18, 2, v0
	v_ashrrev_i32_e32 v19, 31, v18
	v_lshlrev_b64 v[18:19], 4, v[18:19]
	v_add_co_u32_e32 v70, vcc, s4, v18
	global_load_dwordx4 v[0:3], v[42:43], off offset:1072
	global_load_dwordx4 v[4:7], v[42:43], off offset:1056
	;; [unrolled: 1-line block ×4, first 2 shown]
	v_addc_co_u32_e32 v71, vcc, v51, v19, vcc
	global_load_dwordx4 v[52:55], v[70:71], off offset:48
	global_load_dwordx4 v[18:21], v[70:71], off offset:32
	;; [unrolled: 1-line block ×3, first 2 shown]
	global_load_dwordx4 v[56:59], v[70:71], off
	s_waitcnt vmcnt(4)
	v_cvt_f64_f32_e32 v[68:69], v14
	v_cvt_f64_f32_e32 v[14:15], v15
	s_waitcnt vmcnt(0)
	v_fmac_f64_e32 v[26:27], v[68:69], v[56:57]
	v_fma_f64 v[26:27], -v[14:15], v[58:59], v[26:27]
	v_fmac_f64_e32 v[44:45], v[14:15], v[56:57]
	v_cvt_f64_f32_e32 v[14:15], v16
	v_cvt_f64_f32_e32 v[16:17], v17
	v_fmac_f64_e32 v[48:49], v[16:17], v[56:57]
	v_fmac_f64_e32 v[60:61], v[14:15], v[56:57]
	;; [unrolled: 1-line block ×3, first 2 shown]
	v_cvt_f64_f32_e32 v[14:15], v8
	v_cvt_f64_f32_e32 v[8:9], v9
	v_fmac_f64_e32 v[64:65], v[14:15], v[56:57]
	v_fma_f64 v[60:61], -v[16:17], v[58:59], v[60:61]
	v_fma_f64 v[16:17], -v[8:9], v[58:59], v[64:65]
	v_fmac_f64_e32 v[46:47], v[8:9], v[56:57]
	v_cvt_f64_f32_e32 v[8:9], v10
	v_cvt_f64_f32_e32 v[10:11], v11
	v_fmac_f64_e32 v[38:39], v[10:11], v[56:57]
	v_fmac_f64_e32 v[66:67], v[8:9], v[56:57]
	v_fmac_f64_e32 v[38:39], v[8:9], v[58:59]
	v_cvt_f64_f32_e32 v[8:9], v4
	v_fmac_f64_e32 v[44:45], v[68:69], v[58:59]
	v_cvt_f64_f32_e32 v[4:5], v5
	v_fmac_f64_e32 v[26:27], v[8:9], v[22:23]
	v_fma_f64 v[26:27], -v[4:5], v[24:25], v[26:27]
	v_fmac_f64_e32 v[44:45], v[4:5], v[22:23]
	v_cvt_f64_f32_e32 v[4:5], v6
	v_cvt_f64_f32_e32 v[6:7], v7
	v_fmac_f64_e32 v[48:49], v[6:7], v[22:23]
	v_fmac_f64_e32 v[60:61], v[4:5], v[22:23]
	;; [unrolled: 1-line block ×3, first 2 shown]
	v_cvt_f64_f32_e32 v[4:5], v0
	v_fmac_f64_e32 v[46:47], v[14:15], v[58:59]
	v_cvt_f64_f32_e32 v[0:1], v1
	v_fmac_f64_e32 v[16:17], v[4:5], v[22:23]
	v_fma_f64 v[14:15], -v[10:11], v[58:59], v[66:67]
	v_fma_f64 v[58:59], -v[0:1], v[24:25], v[16:17]
	v_fmac_f64_e32 v[46:47], v[0:1], v[22:23]
	v_cvt_f64_f32_e32 v[0:1], v2
	v_cvt_f64_f32_e32 v[2:3], v3
	v_fmac_f64_e32 v[14:15], v[0:1], v[22:23]
	v_fmac_f64_e32 v[38:39], v[2:3], v[22:23]
	;; [unrolled: 1-line block ×3, first 2 shown]
	v_fma_f64 v[56:57], -v[6:7], v[24:25], v[60:61]
	v_fmac_f64_e32 v[46:47], v[4:5], v[24:25]
	v_fma_f64 v[60:61], -v[2:3], v[24:25], v[14:15]
	v_fmac_f64_e32 v[38:39], v[0:1], v[24:25]
	global_load_dwordx4 v[0:3], v[42:43], off offset:1136
	global_load_dwordx4 v[4:7], v[42:43], off offset:1120
	;; [unrolled: 1-line block ×4, first 2 shown]
	s_waitcnt vmcnt(0)
	v_cvt_f64_f32_e32 v[22:23], v14
	v_cvt_f64_f32_e32 v[14:15], v15
	v_fmac_f64_e32 v[26:27], v[22:23], v[18:19]
	v_fma_f64 v[24:25], -v[14:15], v[20:21], v[26:27]
	v_fmac_f64_e32 v[44:45], v[14:15], v[18:19]
	v_cvt_f64_f32_e32 v[14:15], v16
	v_cvt_f64_f32_e32 v[16:17], v17
	v_fmac_f64_e32 v[48:49], v[16:17], v[18:19]
	v_fmac_f64_e32 v[56:57], v[14:15], v[18:19]
	;; [unrolled: 1-line block ×3, first 2 shown]
	v_cvt_f64_f32_e32 v[14:15], v8
	v_cvt_f64_f32_e32 v[8:9], v9
	v_fmac_f64_e32 v[58:59], v[14:15], v[18:19]
	v_fmac_f64_e32 v[44:45], v[22:23], v[20:21]
	v_fma_f64 v[22:23], -v[16:17], v[20:21], v[56:57]
	v_fma_f64 v[16:17], -v[8:9], v[20:21], v[58:59]
	v_fmac_f64_e32 v[46:47], v[8:9], v[18:19]
	v_cvt_f64_f32_e32 v[8:9], v10
	v_cvt_f64_f32_e32 v[10:11], v11
	v_fmac_f64_e32 v[38:39], v[10:11], v[18:19]
	v_fmac_f64_e32 v[60:61], v[8:9], v[18:19]
	v_fmac_f64_e32 v[38:39], v[8:9], v[20:21]
	v_cvt_f64_f32_e32 v[8:9], v4
	v_cvt_f64_f32_e32 v[4:5], v5
	v_fmac_f64_e32 v[24:25], v[8:9], v[52:53]
	v_fma_f64 v[26:27], -v[4:5], v[54:55], v[24:25]
	v_fmac_f64_e32 v[44:45], v[4:5], v[52:53]
	v_cvt_f64_f32_e32 v[4:5], v6
	v_cvt_f64_f32_e32 v[6:7], v7
	v_fmac_f64_e32 v[48:49], v[6:7], v[52:53]
	v_fmac_f64_e32 v[22:23], v[4:5], v[52:53]
	;; [unrolled: 1-line block ×3, first 2 shown]
	v_cvt_f64_f32_e32 v[4:5], v0
	v_fmac_f64_e32 v[46:47], v[14:15], v[20:21]
	v_cvt_f64_f32_e32 v[0:1], v1
	v_fmac_f64_e32 v[16:17], v[4:5], v[52:53]
	v_fma_f64 v[24:25], -v[6:7], v[54:55], v[22:23]
	v_fma_f64 v[22:23], -v[0:1], v[54:55], v[16:17]
	v_fmac_f64_e32 v[46:47], v[0:1], v[52:53]
	v_cvt_f64_f32_e32 v[0:1], v2
	v_cvt_f64_f32_e32 v[2:3], v3
	v_fma_f64 v[14:15], -v[10:11], v[20:21], v[60:61]
	v_fmac_f64_e32 v[38:39], v[2:3], v[52:53]
	v_fmac_f64_e32 v[14:15], v[0:1], v[52:53]
	;; [unrolled: 1-line block ×3, first 2 shown]
	global_load_dword v0, v[12:13], off offset:48
	v_fmac_f64_e32 v[44:45], v[8:9], v[54:55]
	v_fmac_f64_e32 v[46:47], v[4:5], v[54:55]
	v_fma_f64 v[20:21], -v[2:3], v[54:55], v[14:15]
	s_waitcnt vmcnt(0)
	v_subrev_u32_e32 v0, s20, v0
	v_lshlrev_b32_e32 v12, 2, v0
	v_ashrrev_i32_e32 v13, 31, v12
	v_lshlrev_b64 v[12:13], 4, v[12:13]
	v_add_co_u32_e32 v68, vcc, s4, v12
	global_load_dwordx4 v[0:3], v[42:43], off offset:1584
	global_load_dwordx4 v[4:7], v[42:43], off offset:1568
	global_load_dwordx4 v[8:11], v[42:43], off offset:1552
	global_load_dwordx4 v[52:55], v[42:43], off offset:1536
	v_addc_co_u32_e32 v69, vcc, v51, v13, vcc
	global_load_dwordx4 v[12:15], v[68:69], off offset:48
	global_load_dwordx4 v[16:19], v[68:69], off offset:32
	;; [unrolled: 1-line block ×3, first 2 shown]
	global_load_dwordx4 v[64:67], v[68:69], off
	s_waitcnt vmcnt(4)
	v_cvt_f64_f32_e32 v[60:61], v52
	v_cvt_f64_f32_e32 v[52:53], v53
	s_waitcnt vmcnt(0)
	v_fmac_f64_e32 v[26:27], v[60:61], v[64:65]
	v_fma_f64 v[26:27], -v[52:53], v[66:67], v[26:27]
	v_fmac_f64_e32 v[44:45], v[52:53], v[64:65]
	v_cvt_f64_f32_e32 v[52:53], v54
	v_cvt_f64_f32_e32 v[54:55], v55
	v_fmac_f64_e32 v[48:49], v[54:55], v[64:65]
	v_fmac_f64_e32 v[24:25], v[52:53], v[64:65]
	;; [unrolled: 1-line block ×3, first 2 shown]
	v_cvt_f64_f32_e32 v[52:53], v8
	v_cvt_f64_f32_e32 v[8:9], v9
	v_fmac_f64_e32 v[22:23], v[52:53], v[64:65]
	v_fma_f64 v[22:23], -v[8:9], v[66:67], v[22:23]
	v_fmac_f64_e32 v[46:47], v[8:9], v[64:65]
	v_cvt_f64_f32_e32 v[8:9], v10
	v_cvt_f64_f32_e32 v[10:11], v11
	v_fmac_f64_e32 v[38:39], v[10:11], v[64:65]
	v_fmac_f64_e32 v[20:21], v[8:9], v[64:65]
	;; [unrolled: 1-line block ×3, first 2 shown]
	v_cvt_f64_f32_e32 v[8:9], v4
	v_fmac_f64_e32 v[44:45], v[60:61], v[66:67]
	v_cvt_f64_f32_e32 v[4:5], v5
	v_fmac_f64_e32 v[26:27], v[8:9], v[56:57]
	v_fma_f64 v[26:27], -v[4:5], v[58:59], v[26:27]
	v_fmac_f64_e32 v[44:45], v[4:5], v[56:57]
	v_cvt_f64_f32_e32 v[4:5], v6
	v_cvt_f64_f32_e32 v[6:7], v7
	v_fma_f64 v[24:25], -v[54:55], v[66:67], v[24:25]
	v_fmac_f64_e32 v[48:49], v[6:7], v[56:57]
	v_fmac_f64_e32 v[24:25], v[4:5], v[56:57]
	;; [unrolled: 1-line block ×3, first 2 shown]
	v_cvt_f64_f32_e32 v[4:5], v0
	v_fmac_f64_e32 v[46:47], v[52:53], v[66:67]
	v_cvt_f64_f32_e32 v[0:1], v1
	v_fmac_f64_e32 v[22:23], v[4:5], v[56:57]
	v_fma_f64 v[20:21], -v[10:11], v[66:67], v[20:21]
	v_fma_f64 v[52:53], -v[0:1], v[58:59], v[22:23]
	v_fmac_f64_e32 v[46:47], v[0:1], v[56:57]
	v_cvt_f64_f32_e32 v[0:1], v2
	v_cvt_f64_f32_e32 v[2:3], v3
	v_fmac_f64_e32 v[20:21], v[0:1], v[56:57]
	v_fmac_f64_e32 v[38:39], v[2:3], v[56:57]
	;; [unrolled: 1-line block ×3, first 2 shown]
	v_fma_f64 v[24:25], -v[6:7], v[58:59], v[24:25]
	v_fmac_f64_e32 v[46:47], v[4:5], v[58:59]
	v_fma_f64 v[54:55], -v[2:3], v[58:59], v[20:21]
	v_fmac_f64_e32 v[38:39], v[0:1], v[58:59]
	global_load_dwordx4 v[0:3], v[42:43], off offset:1648
	global_load_dwordx4 v[4:7], v[42:43], off offset:1632
	;; [unrolled: 1-line block ×4, first 2 shown]
	v_add_co_u32_e32 v42, vcc, 0x800, v42
	v_addc_co_u32_e32 v43, vcc, 0, v43, vcc
	v_cmp_ge_i32_e32 vcc, v40, v62
	s_or_b64 s[8:9], vcc, s[8:9]
	s_waitcnt vmcnt(0)
	v_cvt_f64_f32_e32 v[56:57], v20
	v_cvt_f64_f32_e32 v[20:21], v21
	v_fmac_f64_e32 v[26:27], v[56:57], v[16:17]
	v_fma_f64 v[26:27], -v[20:21], v[18:19], v[26:27]
	v_fmac_f64_e32 v[44:45], v[20:21], v[16:17]
	v_cvt_f64_f32_e32 v[20:21], v22
	v_cvt_f64_f32_e32 v[22:23], v23
	v_fmac_f64_e32 v[48:49], v[22:23], v[16:17]
	v_fmac_f64_e32 v[24:25], v[20:21], v[16:17]
	v_fmac_f64_e32 v[48:49], v[20:21], v[18:19]
	v_cvt_f64_f32_e32 v[20:21], v8
	v_cvt_f64_f32_e32 v[8:9], v9
	v_fmac_f64_e32 v[52:53], v[20:21], v[16:17]
	v_fma_f64 v[24:25], -v[22:23], v[18:19], v[24:25]
	v_fma_f64 v[22:23], -v[8:9], v[18:19], v[52:53]
	v_fmac_f64_e32 v[46:47], v[8:9], v[16:17]
	v_cvt_f64_f32_e32 v[8:9], v10
	v_cvt_f64_f32_e32 v[10:11], v11
	v_fmac_f64_e32 v[38:39], v[10:11], v[16:17]
	v_fmac_f64_e32 v[54:55], v[8:9], v[16:17]
	;; [unrolled: 1-line block ×3, first 2 shown]
	v_cvt_f64_f32_e32 v[8:9], v4
	v_fmac_f64_e32 v[44:45], v[56:57], v[18:19]
	v_cvt_f64_f32_e32 v[4:5], v5
	v_fmac_f64_e32 v[26:27], v[8:9], v[12:13]
	v_fmac_f64_e32 v[46:47], v[20:21], v[18:19]
	v_fma_f64 v[20:21], -v[10:11], v[18:19], v[54:55]
	v_fma_f64 v[54:55], -v[4:5], v[14:15], v[26:27]
	v_fmac_f64_e32 v[44:45], v[4:5], v[12:13]
	v_cvt_f64_f32_e32 v[4:5], v6
	v_cvt_f64_f32_e32 v[6:7], v7
	v_fmac_f64_e32 v[48:49], v[6:7], v[12:13]
	v_fmac_f64_e32 v[24:25], v[4:5], v[12:13]
	;; [unrolled: 1-line block ×3, first 2 shown]
	v_cvt_f64_f32_e32 v[4:5], v0
	v_cvt_f64_f32_e32 v[0:1], v1
	v_fmac_f64_e32 v[22:23], v[4:5], v[12:13]
	v_fma_f64 v[56:57], -v[0:1], v[14:15], v[22:23]
	v_fmac_f64_e32 v[46:47], v[0:1], v[12:13]
	v_cvt_f64_f32_e32 v[0:1], v2
	v_cvt_f64_f32_e32 v[2:3], v3
	v_fmac_f64_e32 v[20:21], v[0:1], v[12:13]
	v_fmac_f64_e32 v[38:39], v[2:3], v[12:13]
	v_fmac_f64_e32 v[44:45], v[8:9], v[14:15]
	v_fma_f64 v[58:59], -v[6:7], v[14:15], v[24:25]
	v_fmac_f64_e32 v[46:47], v[4:5], v[14:15]
	v_fma_f64 v[16:17], -v[2:3], v[14:15], v[20:21]
	v_fmac_f64_e32 v[38:39], v[0:1], v[14:15]
	s_andn2_b64 exec, exec, s[8:9]
	s_cbranch_execnz .LBB165_35
; %bb.36:
	s_or_b64 exec, exec, s[8:9]
.LBB165_37:
	s_or_b64 exec, exec, s[0:1]
.LBB165_38:
	s_or_b64 exec, exec, s[2:3]
.LBB165_39:
	v_mov_b32_dpp v0, v54 row_shr:1 row_mask:0xf bank_mask:0xf
	v_mov_b32_dpp v1, v55 row_shr:1 row_mask:0xf bank_mask:0xf
	;; [unrolled: 1-line block ×16, first 2 shown]
	v_add_f64 v[0:1], v[54:55], v[0:1]
	v_add_f64 v[4:5], v[44:45], v[4:5]
	;; [unrolled: 1-line block ×8, first 2 shown]
	v_mov_b32_dpp v2, v0 row_shr:2 row_mask:0xf bank_mask:0xf
	v_mov_b32_dpp v3, v1 row_shr:2 row_mask:0xf bank_mask:0xf
	;; [unrolled: 1-line block ×16, first 2 shown]
	v_cmp_eq_u32_e32 vcc, 3, v37
	s_and_b64 exec, exec, vcc
	s_cbranch_execz .LBB165_12
; %bb.40:
	s_load_dwordx2 s[2:3], s[6:7], 0x60
	v_add_f64 v[42:43], v[0:1], v[2:3]
	v_add_f64 v[0:1], v[4:5], v[6:7]
	;; [unrolled: 1-line block ×8, first 2 shown]
	v_cmp_eq_f64_e32 vcc, 0, v[28:29]
	v_cmp_eq_f64_e64 s[0:1], 0, v[30:31]
	v_mul_f64 v[12:13], v[0:1], -v[34:35]
	v_mul_f64 v[14:15], v[32:33], v[0:1]
	v_mul_f64 v[8:9], v[2:3], -v[34:35]
	v_mul_f64 v[10:11], v[32:33], v[2:3]
	;; [unrolled: 2-line block ×4, first 2 shown]
	s_and_b64 s[0:1], vcc, s[0:1]
	v_fmac_f64_e32 v[12:13], v[32:33], v[42:43]
	v_fmac_f64_e32 v[14:15], v[34:35], v[42:43]
	v_lshlrev_b32_e32 v16, 2, v36
	v_fmac_f64_e32 v[8:9], v[32:33], v[44:45]
	v_fmac_f64_e32 v[10:11], v[34:35], v[44:45]
	;; [unrolled: 1-line block ×6, first 2 shown]
	s_and_saveexec_b64 s[4:5], s[0:1]
	s_xor_b64 s[0:1], exec, s[4:5]
	s_cbranch_execz .LBB165_42
; %bb.41:
	v_ashrrev_i32_e32 v17, 31, v16
	v_lshlrev_b64 v[16:17], 4, v[16:17]
	s_waitcnt lgkmcnt(0)
	v_mov_b32_e32 v18, s3
	v_add_co_u32_e32 v16, vcc, s2, v16
	v_addc_co_u32_e32 v17, vcc, v18, v17, vcc
	global_store_dwordx4 v[16:17], v[12:15], off
	global_store_dwordx4 v[16:17], v[8:11], off offset:16
	global_store_dwordx4 v[16:17], v[4:7], off offset:32
	;; [unrolled: 1-line block ×3, first 2 shown]
                                        ; implicit-def: $vgpr28_vgpr29
                                        ; implicit-def: $vgpr30_vgpr31
                                        ; implicit-def: $vgpr12_vgpr13
                                        ; implicit-def: $vgpr16
                                        ; implicit-def: $vgpr8_vgpr9
                                        ; implicit-def: $vgpr4_vgpr5
                                        ; implicit-def: $vgpr0_vgpr1
.LBB165_42:
	s_andn2_saveexec_b64 s[0:1], s[0:1]
	s_cbranch_execz .LBB165_12
; %bb.43:
	v_ashrrev_i32_e32 v17, 31, v16
	v_lshlrev_b64 v[16:17], 4, v[16:17]
	s_waitcnt lgkmcnt(0)
	v_mov_b32_e32 v18, s3
	v_add_co_u32_e32 v36, vcc, s2, v16
	v_addc_co_u32_e32 v37, vcc, v18, v17, vcc
	global_load_dwordx4 v[16:19], v[36:37], off
	global_load_dwordx4 v[20:23], v[36:37], off offset:16
	global_load_dwordx4 v[24:27], v[36:37], off offset:32
	;; [unrolled: 1-line block ×3, first 2 shown]
	s_waitcnt vmcnt(3)
	v_fmac_f64_e32 v[12:13], v[28:29], v[16:17]
	v_fmac_f64_e32 v[14:15], v[30:31], v[16:17]
	s_waitcnt vmcnt(2)
	v_fmac_f64_e32 v[8:9], v[28:29], v[20:21]
	v_fmac_f64_e32 v[10:11], v[30:31], v[20:21]
	;; [unrolled: 3-line block ×4, first 2 shown]
	v_fma_f64 v[12:13], -v[30:31], v[18:19], v[12:13]
	v_fmac_f64_e32 v[14:15], v[28:29], v[18:19]
	v_fma_f64 v[8:9], -v[30:31], v[22:23], v[8:9]
	v_fmac_f64_e32 v[10:11], v[28:29], v[22:23]
	;; [unrolled: 2-line block ×4, first 2 shown]
	global_store_dwordx4 v[36:37], v[12:15], off
	global_store_dwordx4 v[36:37], v[8:11], off offset:16
	global_store_dwordx4 v[36:37], v[4:7], off offset:32
	;; [unrolled: 1-line block ×3, first 2 shown]
	s_endpgm
	.section	.rodata,"a",@progbits
	.p2align	6, 0x0
	.amdhsa_kernel _ZN9rocsparseL18bsrxmvn_4x4_kernelILj128ELj4E21rocsparse_complex_numIdEiiS1_IfES2_S2_EEvT3_20rocsparse_direction_NS_24const_host_device_scalarIT1_EES4_PKS4_PKT2_SD_SA_PKT4_PKT5_S8_PT6_21rocsparse_index_base_b
		.amdhsa_group_segment_fixed_size 2048
		.amdhsa_private_segment_fixed_size 0
		.amdhsa_kernarg_size 112
		.amdhsa_user_sgpr_count 8
		.amdhsa_user_sgpr_private_segment_buffer 1
		.amdhsa_user_sgpr_dispatch_ptr 1
		.amdhsa_user_sgpr_queue_ptr 0
		.amdhsa_user_sgpr_kernarg_segment_ptr 1
		.amdhsa_user_sgpr_dispatch_id 0
		.amdhsa_user_sgpr_flat_scratch_init 0
		.amdhsa_user_sgpr_kernarg_preload_length 0
		.amdhsa_user_sgpr_kernarg_preload_offset 0
		.amdhsa_user_sgpr_private_segment_size 0
		.amdhsa_uses_dynamic_stack 0
		.amdhsa_system_sgpr_private_segment_wavefront_offset 0
		.amdhsa_system_sgpr_workgroup_id_x 1
		.amdhsa_system_sgpr_workgroup_id_y 0
		.amdhsa_system_sgpr_workgroup_id_z 0
		.amdhsa_system_sgpr_workgroup_info 0
		.amdhsa_system_vgpr_workitem_id 2
		.amdhsa_next_free_vgpr 120
		.amdhsa_next_free_sgpr 22
		.amdhsa_accum_offset 120
		.amdhsa_reserve_vcc 1
		.amdhsa_reserve_flat_scratch 0
		.amdhsa_float_round_mode_32 0
		.amdhsa_float_round_mode_16_64 0
		.amdhsa_float_denorm_mode_32 3
		.amdhsa_float_denorm_mode_16_64 3
		.amdhsa_dx10_clamp 1
		.amdhsa_ieee_mode 1
		.amdhsa_fp16_overflow 0
		.amdhsa_tg_split 0
		.amdhsa_exception_fp_ieee_invalid_op 0
		.amdhsa_exception_fp_denorm_src 0
		.amdhsa_exception_fp_ieee_div_zero 0
		.amdhsa_exception_fp_ieee_overflow 0
		.amdhsa_exception_fp_ieee_underflow 0
		.amdhsa_exception_fp_ieee_inexact 0
		.amdhsa_exception_int_div_zero 0
	.end_amdhsa_kernel
	.section	.text._ZN9rocsparseL18bsrxmvn_4x4_kernelILj128ELj4E21rocsparse_complex_numIdEiiS1_IfES2_S2_EEvT3_20rocsparse_direction_NS_24const_host_device_scalarIT1_EES4_PKS4_PKT2_SD_SA_PKT4_PKT5_S8_PT6_21rocsparse_index_base_b,"axG",@progbits,_ZN9rocsparseL18bsrxmvn_4x4_kernelILj128ELj4E21rocsparse_complex_numIdEiiS1_IfES2_S2_EEvT3_20rocsparse_direction_NS_24const_host_device_scalarIT1_EES4_PKS4_PKT2_SD_SA_PKT4_PKT5_S8_PT6_21rocsparse_index_base_b,comdat
.Lfunc_end165:
	.size	_ZN9rocsparseL18bsrxmvn_4x4_kernelILj128ELj4E21rocsparse_complex_numIdEiiS1_IfES2_S2_EEvT3_20rocsparse_direction_NS_24const_host_device_scalarIT1_EES4_PKS4_PKT2_SD_SA_PKT4_PKT5_S8_PT6_21rocsparse_index_base_b, .Lfunc_end165-_ZN9rocsparseL18bsrxmvn_4x4_kernelILj128ELj4E21rocsparse_complex_numIdEiiS1_IfES2_S2_EEvT3_20rocsparse_direction_NS_24const_host_device_scalarIT1_EES4_PKS4_PKT2_SD_SA_PKT4_PKT5_S8_PT6_21rocsparse_index_base_b
                                        ; -- End function
	.section	.AMDGPU.csdata,"",@progbits
; Kernel info:
; codeLenInByte = 8340
; NumSgprs: 26
; NumVgprs: 120
; NumAgprs: 0
; TotalNumVgprs: 120
; ScratchSize: 0
; MemoryBound: 0
; FloatMode: 240
; IeeeMode: 1
; LDSByteSize: 2048 bytes/workgroup (compile time only)
; SGPRBlocks: 3
; VGPRBlocks: 14
; NumSGPRsForWavesPerEU: 26
; NumVGPRsForWavesPerEU: 120
; AccumOffset: 120
; Occupancy: 4
; WaveLimiterHint : 1
; COMPUTE_PGM_RSRC2:SCRATCH_EN: 0
; COMPUTE_PGM_RSRC2:USER_SGPR: 8
; COMPUTE_PGM_RSRC2:TRAP_HANDLER: 0
; COMPUTE_PGM_RSRC2:TGID_X_EN: 1
; COMPUTE_PGM_RSRC2:TGID_Y_EN: 0
; COMPUTE_PGM_RSRC2:TGID_Z_EN: 0
; COMPUTE_PGM_RSRC2:TIDIG_COMP_CNT: 2
; COMPUTE_PGM_RSRC3_GFX90A:ACCUM_OFFSET: 29
; COMPUTE_PGM_RSRC3_GFX90A:TG_SPLIT: 0
	.section	.text._ZN9rocsparseL18bsrxmvn_4x4_kernelILj128ELj8E21rocsparse_complex_numIdEiiS1_IfES2_S2_EEvT3_20rocsparse_direction_NS_24const_host_device_scalarIT1_EES4_PKS4_PKT2_SD_SA_PKT4_PKT5_S8_PT6_21rocsparse_index_base_b,"axG",@progbits,_ZN9rocsparseL18bsrxmvn_4x4_kernelILj128ELj8E21rocsparse_complex_numIdEiiS1_IfES2_S2_EEvT3_20rocsparse_direction_NS_24const_host_device_scalarIT1_EES4_PKS4_PKT2_SD_SA_PKT4_PKT5_S8_PT6_21rocsparse_index_base_b,comdat
	.globl	_ZN9rocsparseL18bsrxmvn_4x4_kernelILj128ELj8E21rocsparse_complex_numIdEiiS1_IfES2_S2_EEvT3_20rocsparse_direction_NS_24const_host_device_scalarIT1_EES4_PKS4_PKT2_SD_SA_PKT4_PKT5_S8_PT6_21rocsparse_index_base_b ; -- Begin function _ZN9rocsparseL18bsrxmvn_4x4_kernelILj128ELj8E21rocsparse_complex_numIdEiiS1_IfES2_S2_EEvT3_20rocsparse_direction_NS_24const_host_device_scalarIT1_EES4_PKS4_PKT2_SD_SA_PKT4_PKT5_S8_PT6_21rocsparse_index_base_b
	.p2align	8
	.type	_ZN9rocsparseL18bsrxmvn_4x4_kernelILj128ELj8E21rocsparse_complex_numIdEiiS1_IfES2_S2_EEvT3_20rocsparse_direction_NS_24const_host_device_scalarIT1_EES4_PKS4_PKT2_SD_SA_PKT4_PKT5_S8_PT6_21rocsparse_index_base_b,@function
_ZN9rocsparseL18bsrxmvn_4x4_kernelILj128ELj8E21rocsparse_complex_numIdEiiS1_IfES2_S2_EEvT3_20rocsparse_direction_NS_24const_host_device_scalarIT1_EES4_PKS4_PKT2_SD_SA_PKT4_PKT5_S8_PT6_21rocsparse_index_base_b: ; @_ZN9rocsparseL18bsrxmvn_4x4_kernelILj128ELj8E21rocsparse_complex_numIdEiiS1_IfES2_S2_EEvT3_20rocsparse_direction_NS_24const_host_device_scalarIT1_EES4_PKS4_PKT2_SD_SA_PKT4_PKT5_S8_PT6_21rocsparse_index_base_b
; %bb.0:
	s_load_dwordx2 s[20:21], s[6:7], 0x68
	s_load_dwordx4 s[12:15], s[6:7], 0x8
	s_load_dwordx2 s[10:11], s[4:5], 0x4
	s_load_dwordx4 s[16:19], s[6:7], 0x50
	s_mov_b64 s[2:3], src_shared_base
	v_bfe_u32 v2, v0, 10, 10
	s_waitcnt lgkmcnt(0)
	s_bitcmp1_b32 s21, 0
	s_cselect_b64 s[0:1], -1, 0
	s_and_b64 vcc, s[0:1], exec
	s_cselect_b32 s2, s3, s13
	s_lshr_b32 s4, s10, 16
	v_and_b32_e32 v1, 0x3ff, v0
	s_mul_i32 s4, s4, s11
	v_mul_u32_u24_e32 v2, s11, v2
	v_mad_u32_u24 v2, s4, v1, v2
	v_bfe_u32 v0, v0, 20, 10
	v_add_lshl_u32 v0, v2, v0, 3
	v_mov_b32_e32 v6, s12
	v_add_u32_e32 v7, 0x400, v0
	v_pk_mov_b32 v[2:3], s[12:13], s[12:13] op_sel:[0,1]
	v_pk_mov_b32 v[4:5], s[16:17], s[16:17] op_sel:[0,1]
	ds_write2st64_b64 v0, v[4:5], v[2:3] offset1:2
	v_cndmask_b32_e64 v2, v6, v7, s[0:1]
	v_mov_b32_e32 v3, s2
	flat_load_dwordx2 v[32:33], v[2:3]
	s_xor_b64 s[4:5], s[0:1], -1
	v_pk_mov_b32 v[34:35], s[14:15], s[14:15] op_sel:[0,1]
	s_cbranch_vccnz .LBB166_2
; %bb.1:
	v_pk_mov_b32 v[2:3], s[12:13], s[12:13] op_sel:[0,1]
	flat_load_dwordx2 v[34:35], v[2:3] offset:8
.LBB166_2:
	s_and_b64 s[10:11], s[0:1], exec
	s_cselect_b32 s2, s3, s17
	v_mov_b32_e32 v2, s16
	v_cndmask_b32_e64 v2, v2, v0, s[0:1]
	v_mov_b32_e32 v3, s2
	flat_load_dwordx2 v[28:29], v[2:3]
	s_andn2_b64 vcc, exec, s[4:5]
	v_pk_mov_b32 v[30:31], s[18:19], s[18:19] op_sel:[0,1]
	s_cbranch_vccnz .LBB166_4
; %bb.3:
	v_pk_mov_b32 v[2:3], s[16:17], s[16:17] op_sel:[0,1]
	flat_load_dwordx2 v[30:31], v[2:3] offset:8
.LBB166_4:
	s_waitcnt vmcnt(0) lgkmcnt(0)
	v_cmp_eq_f64_e32 vcc, 0, v[32:33]
	v_cmp_eq_f64_e64 s[0:1], 0, v[34:35]
	s_and_b64 s[4:5], vcc, s[0:1]
	s_mov_b64 s[0:1], -1
	s_and_saveexec_b64 s[2:3], s[4:5]
; %bb.5:
	v_cmp_neq_f64_e32 vcc, 1.0, v[28:29]
	v_cmp_neq_f64_e64 s[0:1], 0, v[30:31]
	s_or_b64 s[0:1], vcc, s[0:1]
	s_orn2_b64 s[0:1], s[0:1], exec
; %bb.6:
	s_or_b64 exec, exec, s[2:3]
	s_and_saveexec_b64 s[2:3], s[0:1]
	s_cbranch_execz .LBB166_12
; %bb.7:
	s_load_dwordx2 s[4:5], s[6:7], 0x20
	s_load_dwordx2 s[0:1], s[6:7], 0x0
	v_lshrrev_b32_e32 v0, 3, v1
	v_lshl_or_b32 v36, s8, 4, v0
	s_mov_b64 s[2:3], 0
	s_waitcnt lgkmcnt(0)
	s_cmp_lg_u64 s[4:5], 0
	s_cbranch_scc0 .LBB166_13
; %bb.8:
	s_load_dword s8, s[6:7], 0x18
                                        ; implicit-def: $vgpr0
	s_waitcnt lgkmcnt(0)
	v_cmp_gt_i32_e32 vcc, s8, v36
	s_and_saveexec_b64 s[8:9], vcc
	s_xor_b64 s[8:9], exec, s[8:9]
	s_cbranch_execz .LBB166_10
; %bb.9:
	v_ashrrev_i32_e32 v37, 31, v36
	v_lshlrev_b64 v[2:3], 2, v[36:37]
	v_mov_b32_e32 v0, s5
	v_add_co_u32_e32 v2, vcc, s4, v2
	v_addc_co_u32_e32 v3, vcc, v0, v3, vcc
	global_load_dword v0, v[2:3], off
	s_mov_b64 s[2:3], exec
	s_waitcnt vmcnt(0)
	v_subrev_u32_e32 v0, s20, v0
.LBB166_10:
	s_or_b64 exec, exec, s[8:9]
	s_branch .LBB166_14
.LBB166_11:
	v_cmp_gt_i32_e32 vcc, s0, v36
	s_andn2_b64 s[2:3], s[2:3], exec
	s_and_b64 s[4:5], vcc, exec
	s_or_b64 s[2:3], s[2:3], s[4:5]
	s_and_b64 exec, exec, s[2:3]
	s_cbranch_execnz .LBB166_15
.LBB166_12:
	s_endpgm
.LBB166_13:
                                        ; implicit-def: $vgpr0
	s_cbranch_execnz .LBB166_11
.LBB166_14:
	v_mov_b32_e32 v36, v0
	s_and_b64 exec, exec, s[2:3]
	s_cbranch_execz .LBB166_12
.LBB166_15:
	s_load_dwordx8 s[8:15], s[6:7], 0x28
	v_ashrrev_i32_e32 v37, 31, v36
	v_lshlrev_b64 v[2:3], 2, v[36:37]
	v_and_b32_e32 v37, 7, v1
	s_load_dwordx2 s[4:5], s[6:7], 0x48
	s_waitcnt lgkmcnt(0)
	v_mov_b32_e32 v0, s9
	v_add_co_u32_e32 v4, vcc, s8, v2
	v_addc_co_u32_e32 v5, vcc, v0, v3, vcc
	v_add_co_u32_e32 v0, vcc, 4, v4
	global_load_dword v63, v[4:5], off
	v_addc_co_u32_e32 v4, vcc, 0, v5, vcc
	v_mov_b32_e32 v5, s11
	v_add_co_u32_e32 v2, vcc, s10, v2
	s_cmp_eq_u64 s[10:11], 0
	v_addc_co_u32_e32 v3, vcc, v5, v3, vcc
	s_cselect_b64 vcc, -1, 0
	v_cndmask_b32_e32 v3, v3, v4, vcc
	v_cndmask_b32_e32 v2, v2, v0, vcc
	global_load_dword v0, v[2:3], off
	v_mov_b32_e32 v2, s15
	s_cmp_eq_u32 s1, 1
	s_waitcnt vmcnt(1)
	v_subrev_u32_e32 v1, s20, v63
	v_add_u32_e32 v44, v1, v37
	v_ashrrev_i32_e32 v45, 31, v44
	s_waitcnt vmcnt(0)
	v_subrev_u32_e32 v62, s20, v0
	v_lshlrev_b64 v[0:1], 7, v[44:45]
	v_add_co_u32_e32 v48, vcc, s14, v0
	v_addc_co_u32_e32 v49, vcc, v2, v1, vcc
	v_cmp_lt_i32_e64 s[0:1], v44, v62
	s_cbranch_scc1 .LBB166_27
; %bb.16:
	v_pk_mov_b32 v[46:47], 0, 0
	s_mov_b64 s[8:9], 0
	v_pk_mov_b32 v[54:55], v[46:47], v[46:47] op_sel:[0,1]
	v_pk_mov_b32 v[42:43], v[46:47], v[46:47] op_sel:[0,1]
	;; [unrolled: 1-line block ×7, first 2 shown]
	s_and_saveexec_b64 s[10:11], s[0:1]
	s_cbranch_execz .LBB166_26
; %bb.17:
	v_add_u32_e32 v0, v63, v37
	v_subrev_u32_e32 v0, s20, v0
	v_add_u32_e32 v0, 8, v0
	v_max_i32_e32 v0, v0, v62
	v_not_b32_e32 v1, v63
	v_add3_u32 v0, v0, s20, v1
	v_sub_u32_e32 v12, v0, v37
	v_lshrrev_b32_e32 v0, 3, v12
	v_add_u32_e32 v0, 1, v0
	v_and_b32_e32 v0, 3, v0
	v_pk_mov_b32 v[16:17], 0, 0
	v_cmp_ne_u32_e32 vcc, 0, v0
	v_pk_mov_b32 v[38:39], v[16:17], v[16:17] op_sel:[0,1]
	v_pk_mov_b32 v[56:57], v[16:17], v[16:17] op_sel:[0,1]
	;; [unrolled: 1-line block ×8, first 2 shown]
	v_mov_b32_e32 v50, v44
	s_and_saveexec_b64 s[14:15], vcc
	s_cbranch_execz .LBB166_21
; %bb.18:
	v_pk_mov_b32 v[46:47], 0, 0
	v_lshlrev_b32_e32 v13, 7, v0
	s_mov_b64 s[16:17], 0
	v_mov_b32_e32 v14, s13
	v_mov_b32_e32 v15, s5
	v_mov_b32_e32 v50, v44
	v_pk_mov_b32 v[52:53], v[48:49], v[48:49] op_sel:[0,1]
	v_pk_mov_b32 v[54:55], v[46:47], v[46:47] op_sel:[0,1]
	v_pk_mov_b32 v[42:43], v[46:47], v[46:47] op_sel:[0,1]
	v_pk_mov_b32 v[58:59], v[46:47], v[46:47] op_sel:[0,1]
	v_pk_mov_b32 v[40:41], v[46:47], v[46:47] op_sel:[0,1]
	v_pk_mov_b32 v[56:57], v[46:47], v[46:47] op_sel:[0,1]
	v_pk_mov_b32 v[38:39], v[46:47], v[46:47] op_sel:[0,1]
	v_pk_mov_b32 v[16:17], v[46:47], v[46:47] op_sel:[0,1]
.LBB166_19:                             ; =>This Inner Loop Header: Depth=1
	v_ashrrev_i32_e32 v51, 31, v50
	v_lshlrev_b64 v[26:27], 2, v[50:51]
	v_add_co_u32_e64 v26, s[2:3], s12, v26
	v_addc_co_u32_e64 v27, s[2:3], v14, v27, s[2:3]
	global_load_dwordx4 v[8:11], v[52:53], off
	global_load_dwordx4 v[4:7], v[52:53], off offset:16
	global_load_dwordx4 v[0:3], v[52:53], off offset:32
	;; [unrolled: 1-line block ×7, first 2 shown]
	global_load_dword v45, v[26:27], off
	v_add_co_u32_e32 v52, vcc, 0x400, v52
	v_add_u32_e32 v13, 0xffffff80, v13
	v_addc_co_u32_e32 v53, vcc, 0, v53, vcc
	v_cmp_eq_u32_e32 vcc, 0, v13
	s_or_b64 s[16:17], vcc, s[16:17]
	v_add_u32_e32 v50, 8, v50
	s_waitcnt vmcnt(6)
	v_cvt_f64_f32_e32 v[92:93], v0
	v_cvt_f64_f32_e32 v[94:95], v1
	;; [unrolled: 1-line block ×6, first 2 shown]
	s_waitcnt vmcnt(0)
	v_subrev_u32_e32 v0, s20, v45
	v_lshlrev_b32_e32 v0, 2, v0
	v_ashrrev_i32_e32 v1, 31, v0
	v_lshlrev_b64 v[0:1], 4, v[0:1]
	v_add_co_u32_e32 v104, vcc, s4, v0
	v_addc_co_u32_e32 v105, vcc, v15, v1, vcc
	v_cvt_f64_f32_e32 v[82:83], v11
	v_cvt_f64_f32_e32 v[84:85], v4
	;; [unrolled: 1-line block ×6, first 2 shown]
	global_load_dwordx4 v[0:3], v[104:105], off
	global_load_dwordx4 v[4:7], v[104:105], off offset:16
	global_load_dwordx4 v[8:11], v[104:105], off offset:32
	;; [unrolled: 1-line block ×3, first 2 shown]
	v_cvt_f64_f32_e32 v[100:101], v22
	v_cvt_f64_f32_e32 v[22:23], v23
	v_cvt_f64_f32_e32 v[102:103], v68
	v_cvt_f64_f32_e32 v[68:69], v69
	v_cvt_f64_f32_e32 v[108:109], v24
	v_cvt_f64_f32_e32 v[24:25], v25
	v_cvt_f64_f32_e32 v[114:115], v70
	v_cvt_f64_f32_e32 v[70:71], v71
	v_cvt_f64_f32_e32 v[104:105], v18
	v_cvt_f64_f32_e32 v[18:19], v19
	v_cvt_f64_f32_e32 v[110:111], v64
	v_cvt_f64_f32_e32 v[64:65], v65
	v_cvt_f64_f32_e32 v[116:117], v72
	v_cvt_f64_f32_e32 v[72:73], v73
	v_cvt_f64_f32_e32 v[106:107], v20
	v_cvt_f64_f32_e32 v[20:21], v21
	v_cvt_f64_f32_e32 v[112:113], v66
	v_cvt_f64_f32_e32 v[66:67], v67
	v_cvt_f64_f32_e32 v[118:119], v74
	v_cvt_f64_f32_e32 v[74:75], v75
	s_waitcnt vmcnt(3)
	v_fmac_f64_e32 v[54:55], v[26:27], v[0:1]
	v_fmac_f64_e32 v[46:47], v[60:61], v[0:1]
	v_fmac_f64_e32 v[58:59], v[92:93], v[0:1]
	v_fmac_f64_e32 v[42:43], v[94:95], v[0:1]
	v_fmac_f64_e32 v[56:57], v[100:101], v[0:1]
	v_fmac_f64_e32 v[40:41], v[22:23], v[0:1]
	v_fmac_f64_e32 v[16:17], v[102:103], v[0:1]
	v_fmac_f64_e32 v[38:39], v[68:69], v[0:1]
	v_fma_f64 v[0:1], -v[60:61], v[2:3], v[54:55]
	v_fmac_f64_e32 v[46:47], v[26:27], v[2:3]
	v_fma_f64 v[26:27], -v[94:95], v[2:3], v[58:59]
	v_fmac_f64_e32 v[42:43], v[92:93], v[2:3]
	v_fma_f64 v[22:23], -v[22:23], v[2:3], v[56:57]
	v_fmac_f64_e32 v[40:41], v[100:101], v[2:3]
	v_fma_f64 v[16:17], -v[68:69], v[2:3], v[16:17]
	v_fmac_f64_e32 v[38:39], v[102:103], v[2:3]
	s_waitcnt vmcnt(2)
	v_fmac_f64_e32 v[0:1], v[80:81], v[4:5]
	v_fmac_f64_e32 v[46:47], v[82:83], v[4:5]
	v_fmac_f64_e32 v[26:27], v[96:97], v[4:5]
	v_fmac_f64_e32 v[42:43], v[98:99], v[4:5]
	v_fmac_f64_e32 v[22:23], v[108:109], v[4:5]
	v_fmac_f64_e32 v[40:41], v[24:25], v[4:5]
	v_fmac_f64_e32 v[16:17], v[114:115], v[4:5]
	v_fmac_f64_e32 v[38:39], v[70:71], v[4:5]
	v_fma_f64 v[0:1], -v[82:83], v[6:7], v[0:1]
	v_fmac_f64_e32 v[46:47], v[80:81], v[6:7]
	v_fma_f64 v[2:3], -v[98:99], v[6:7], v[26:27]
	v_fmac_f64_e32 v[42:43], v[96:97], v[6:7]
	v_fma_f64 v[4:5], -v[24:25], v[6:7], v[22:23]
	v_fmac_f64_e32 v[40:41], v[108:109], v[6:7]
	v_fma_f64 v[16:17], -v[70:71], v[6:7], v[16:17]
	v_fmac_f64_e32 v[38:39], v[114:115], v[6:7]
	;; [unrolled: 17-line block ×4, first 2 shown]
	s_andn2_b64 exec, exec, s[16:17]
	s_cbranch_execnz .LBB166_19
; %bb.20:
	s_or_b64 exec, exec, s[16:17]
.LBB166_21:
	s_or_b64 exec, exec, s[14:15]
	v_cmp_lt_u32_e32 vcc, 23, v12
	s_and_saveexec_b64 s[2:3], vcc
	s_cbranch_execz .LBB166_25
; %bb.22:
	s_mov_b64 s[14:15], 0
	v_mov_b32_e32 v45, s13
	v_mov_b32_e32 v64, s5
.LBB166_23:                             ; =>This Inner Loop Header: Depth=1
	v_ashrrev_i32_e32 v51, 31, v50
	v_lshlrev_b64 v[0:1], 2, v[50:51]
	v_add_co_u32_e32 v18, vcc, s12, v0
	v_addc_co_u32_e32 v19, vcc, v45, v1, vcc
	global_load_dword v0, v[18:19], off
	global_load_dwordx4 v[24:27], v[52:53], off offset:48
	global_load_dwordx4 v[66:69], v[52:53], off offset:32
	;; [unrolled: 1-line block ×3, first 2 shown]
	global_load_dwordx4 v[70:73], v[52:53], off
	v_add_u32_e32 v50, 32, v50
	s_waitcnt vmcnt(4)
	v_subrev_u32_e32 v0, s20, v0
	v_lshlrev_b32_e32 v0, 2, v0
	v_ashrrev_i32_e32 v1, 31, v0
	v_lshlrev_b64 v[0:1], 4, v[0:1]
	v_add_co_u32_e32 v74, vcc, s4, v0
	v_addc_co_u32_e32 v75, vcc, v64, v1, vcc
	global_load_dwordx4 v[0:3], v[74:75], off offset:48
	global_load_dwordx4 v[4:7], v[74:75], off offset:32
	;; [unrolled: 1-line block ×3, first 2 shown]
	global_load_dwordx4 v[12:15], v[74:75], off
	s_waitcnt vmcnt(4)
	v_cvt_f64_f32_e32 v[60:61], v70
	v_cvt_f64_f32_e32 v[70:71], v71
	s_waitcnt vmcnt(0)
	v_fmac_f64_e32 v[54:55], v[60:61], v[12:13]
	v_fmac_f64_e32 v[46:47], v[70:71], v[12:13]
	v_fma_f64 v[54:55], -v[70:71], v[14:15], v[54:55]
	v_fmac_f64_e32 v[46:47], v[60:61], v[14:15]
	v_cvt_f64_f32_e32 v[60:61], v72
	v_cvt_f64_f32_e32 v[70:71], v73
	v_fmac_f64_e32 v[54:55], v[60:61], v[8:9]
	v_fmac_f64_e32 v[46:47], v[70:71], v[8:9]
	v_fma_f64 v[54:55], -v[70:71], v[10:11], v[54:55]
	v_fmac_f64_e32 v[46:47], v[60:61], v[10:11]
	v_cvt_f64_f32_e32 v[60:61], v20
	v_cvt_f64_f32_e32 v[20:21], v21
	v_fmac_f64_e32 v[54:55], v[60:61], v[4:5]
	v_fmac_f64_e32 v[46:47], v[20:21], v[4:5]
	v_fma_f64 v[54:55], -v[20:21], v[6:7], v[54:55]
	v_fmac_f64_e32 v[46:47], v[60:61], v[6:7]
	v_cvt_f64_f32_e32 v[20:21], v22
	v_cvt_f64_f32_e32 v[60:61], v23
	v_fmac_f64_e32 v[54:55], v[20:21], v[0:1]
	v_fmac_f64_e32 v[46:47], v[60:61], v[0:1]
	v_fma_f64 v[22:23], -v[60:61], v[2:3], v[54:55]
	v_fmac_f64_e32 v[46:47], v[20:21], v[2:3]
	v_cvt_f64_f32_e32 v[20:21], v66
	v_cvt_f64_f32_e32 v[54:55], v67
	v_fmac_f64_e32 v[58:59], v[20:21], v[12:13]
	v_fmac_f64_e32 v[42:43], v[54:55], v[12:13]
	v_fma_f64 v[58:59], -v[54:55], v[14:15], v[58:59]
	v_fmac_f64_e32 v[42:43], v[20:21], v[14:15]
	v_cvt_f64_f32_e32 v[20:21], v68
	v_cvt_f64_f32_e32 v[54:55], v69
	v_fmac_f64_e32 v[58:59], v[20:21], v[8:9]
	v_fmac_f64_e32 v[42:43], v[54:55], v[8:9]
	v_fma_f64 v[58:59], -v[54:55], v[10:11], v[58:59]
	v_fmac_f64_e32 v[42:43], v[20:21], v[10:11]
	v_cvt_f64_f32_e32 v[20:21], v24
	v_cvt_f64_f32_e32 v[24:25], v25
	v_fmac_f64_e32 v[58:59], v[20:21], v[4:5]
	v_fmac_f64_e32 v[42:43], v[24:25], v[4:5]
	v_fma_f64 v[54:55], -v[24:25], v[6:7], v[58:59]
	v_fmac_f64_e32 v[42:43], v[20:21], v[6:7]
	v_cvt_f64_f32_e32 v[24:25], v26
	v_cvt_f64_f32_e32 v[26:27], v27
	v_fmac_f64_e32 v[54:55], v[24:25], v[0:1]
	v_fmac_f64_e32 v[42:43], v[26:27], v[0:1]
	v_fma_f64 v[20:21], -v[26:27], v[2:3], v[54:55]
	v_fmac_f64_e32 v[42:43], v[24:25], v[2:3]
	global_load_dwordx4 v[58:61], v[52:53], off offset:112
	global_load_dwordx4 v[66:69], v[52:53], off offset:96
	;; [unrolled: 1-line block ×4, first 2 shown]
	s_waitcnt vmcnt(0)
	v_cvt_f64_f32_e32 v[54:55], v70
	v_cvt_f64_f32_e32 v[70:71], v71
	v_fmac_f64_e32 v[56:57], v[54:55], v[12:13]
	v_fmac_f64_e32 v[40:41], v[70:71], v[12:13]
	v_fma_f64 v[56:57], -v[70:71], v[14:15], v[56:57]
	v_fmac_f64_e32 v[40:41], v[54:55], v[14:15]
	v_cvt_f64_f32_e32 v[54:55], v72
	v_cvt_f64_f32_e32 v[70:71], v73
	v_fmac_f64_e32 v[56:57], v[54:55], v[8:9]
	v_fmac_f64_e32 v[40:41], v[70:71], v[8:9]
	v_fma_f64 v[56:57], -v[70:71], v[10:11], v[56:57]
	v_fmac_f64_e32 v[40:41], v[54:55], v[10:11]
	;; [unrolled: 6-line block ×7, first 2 shown]
	v_cvt_f64_f32_e32 v[4:5], v60
	v_cvt_f64_f32_e32 v[6:7], v61
	v_fmac_f64_e32 v[12:13], v[4:5], v[0:1]
	v_fmac_f64_e32 v[38:39], v[6:7], v[0:1]
	global_load_dword v0, v[18:19], off offset:32
	v_fma_f64 v[12:13], -v[6:7], v[2:3], v[12:13]
	v_fmac_f64_e32 v[38:39], v[4:5], v[2:3]
	s_waitcnt vmcnt(0)
	v_subrev_u32_e32 v0, s20, v0
	v_lshlrev_b32_e32 v26, 2, v0
	v_ashrrev_i32_e32 v27, 31, v26
	v_lshlrev_b64 v[26:27], 4, v[26:27]
	v_add_co_u32_e32 v26, vcc, s4, v26
	global_load_dwordx4 v[0:3], v[52:53], off offset:1072
	global_load_dwordx4 v[4:7], v[52:53], off offset:1056
	;; [unrolled: 1-line block ×4, first 2 shown]
	v_addc_co_u32_e32 v27, vcc, v64, v27, vcc
	global_load_dwordx4 v[54:57], v[26:27], off offset:48
	global_load_dwordx4 v[58:61], v[26:27], off offset:32
	;; [unrolled: 1-line block ×3, first 2 shown]
	global_load_dwordx4 v[70:73], v[26:27], off
	s_waitcnt vmcnt(4)
	v_cvt_f64_f32_e32 v[74:75], v14
	v_cvt_f64_f32_e32 v[14:15], v15
	s_waitcnt vmcnt(0)
	v_fmac_f64_e32 v[22:23], v[74:75], v[70:71]
	v_fmac_f64_e32 v[46:47], v[14:15], v[70:71]
	v_fma_f64 v[22:23], -v[14:15], v[72:73], v[22:23]
	v_fmac_f64_e32 v[46:47], v[74:75], v[72:73]
	v_cvt_f64_f32_e32 v[14:15], v16
	v_cvt_f64_f32_e32 v[16:17], v17
	v_fmac_f64_e32 v[22:23], v[14:15], v[66:67]
	v_fmac_f64_e32 v[46:47], v[16:17], v[66:67]
	v_fma_f64 v[22:23], -v[16:17], v[68:69], v[22:23]
	v_fmac_f64_e32 v[46:47], v[14:15], v[68:69]
	v_cvt_f64_f32_e32 v[14:15], v8
	v_cvt_f64_f32_e32 v[8:9], v9
	;; [unrolled: 6-line block ×3, first 2 shown]
	v_fmac_f64_e32 v[16:17], v[14:15], v[54:55]
	v_fma_f64 v[8:9], -v[10:11], v[56:57], v[16:17]
	v_fmac_f64_e32 v[46:47], v[10:11], v[54:55]
	v_cvt_f64_f32_e32 v[10:11], v4
	v_cvt_f64_f32_e32 v[4:5], v5
	v_fmac_f64_e32 v[20:21], v[10:11], v[70:71]
	v_fmac_f64_e32 v[42:43], v[4:5], v[70:71]
	;; [unrolled: 1-line block ×3, first 2 shown]
	v_fma_f64 v[14:15], -v[4:5], v[72:73], v[20:21]
	v_fmac_f64_e32 v[42:43], v[10:11], v[72:73]
	v_cvt_f64_f32_e32 v[4:5], v6
	v_cvt_f64_f32_e32 v[6:7], v7
	v_fmac_f64_e32 v[14:15], v[4:5], v[66:67]
	v_fmac_f64_e32 v[42:43], v[6:7], v[66:67]
	v_fma_f64 v[10:11], -v[6:7], v[68:69], v[14:15]
	v_fmac_f64_e32 v[42:43], v[4:5], v[68:69]
	v_cvt_f64_f32_e32 v[4:5], v0
	v_cvt_f64_f32_e32 v[0:1], v1
	v_fmac_f64_e32 v[10:11], v[4:5], v[58:59]
	v_fmac_f64_e32 v[42:43], v[0:1], v[58:59]
	;; [unrolled: 6-line block ×3, first 2 shown]
	v_fma_f64 v[74:75], -v[2:3], v[56:57], v[6:7]
	v_fmac_f64_e32 v[42:43], v[0:1], v[56:57]
	global_load_dwordx4 v[0:3], v[52:53], off offset:1136
	global_load_dwordx4 v[4:7], v[52:53], off offset:1120
	;; [unrolled: 1-line block ×4, first 2 shown]
	s_waitcnt vmcnt(0)
	v_cvt_f64_f32_e32 v[10:11], v20
	v_cvt_f64_f32_e32 v[20:21], v21
	v_fmac_f64_e32 v[24:25], v[10:11], v[70:71]
	v_fmac_f64_e32 v[40:41], v[20:21], v[70:71]
	v_fma_f64 v[24:25], -v[20:21], v[72:73], v[24:25]
	v_fmac_f64_e32 v[40:41], v[10:11], v[72:73]
	v_cvt_f64_f32_e32 v[10:11], v22
	v_cvt_f64_f32_e32 v[20:21], v23
	v_fmac_f64_e32 v[24:25], v[10:11], v[66:67]
	v_fmac_f64_e32 v[40:41], v[20:21], v[66:67]
	v_fma_f64 v[22:23], -v[20:21], v[68:69], v[24:25]
	v_fmac_f64_e32 v[40:41], v[10:11], v[68:69]
	;; [unrolled: 6-line block ×3, first 2 shown]
	v_cvt_f64_f32_e32 v[14:15], v17
	v_cvt_f64_f32_e32 v[10:11], v16
	v_fmac_f64_e32 v[40:41], v[14:15], v[54:55]
	v_fmac_f64_e32 v[20:21], v[10:11], v[54:55]
	v_fmac_f64_e32 v[40:41], v[10:11], v[56:57]
	v_cvt_f64_f32_e32 v[10:11], v4
	v_cvt_f64_f32_e32 v[4:5], v5
	v_fmac_f64_e32 v[12:13], v[10:11], v[70:71]
	v_fmac_f64_e32 v[38:39], v[4:5], v[70:71]
	v_fma_f64 v[12:13], -v[4:5], v[72:73], v[12:13]
	v_fmac_f64_e32 v[38:39], v[10:11], v[72:73]
	v_cvt_f64_f32_e32 v[4:5], v6
	v_cvt_f64_f32_e32 v[6:7], v7
	v_fmac_f64_e32 v[12:13], v[4:5], v[66:67]
	v_fmac_f64_e32 v[38:39], v[6:7], v[66:67]
	v_fma_f64 v[10:11], -v[6:7], v[68:69], v[12:13]
	v_fmac_f64_e32 v[38:39], v[4:5], v[68:69]
	;; [unrolled: 6-line block ×3, first 2 shown]
	v_cvt_f64_f32_e32 v[0:1], v2
	v_cvt_f64_f32_e32 v[2:3], v3
	v_fmac_f64_e32 v[38:39], v[2:3], v[54:55]
	v_fmac_f64_e32 v[6:7], v[0:1], v[54:55]
	;; [unrolled: 1-line block ×3, first 2 shown]
	global_load_dword v0, v[18:19], off offset:64
	v_fma_f64 v[76:77], -v[14:15], v[56:57], v[20:21]
	v_fma_f64 v[60:61], -v[2:3], v[56:57], v[6:7]
	s_waitcnt vmcnt(0)
	v_subrev_u32_e32 v0, s20, v0
	v_lshlrev_b32_e32 v20, 2, v0
	v_ashrrev_i32_e32 v21, 31, v20
	v_lshlrev_b64 v[20:21], 4, v[20:21]
	v_add_co_u32_e32 v56, vcc, s4, v20
	global_load_dwordx4 v[0:3], v[52:53], off offset:2096
	global_load_dwordx4 v[4:7], v[52:53], off offset:2080
	;; [unrolled: 1-line block ×4, first 2 shown]
	v_addc_co_u32_e32 v57, vcc, v64, v21, vcc
	global_load_dwordx4 v[20:23], v[56:57], off offset:48
	global_load_dwordx4 v[24:27], v[56:57], off offset:32
	global_load_dwordx4 v[66:69], v[56:57], off offset:16
	global_load_dwordx4 v[70:73], v[56:57], off
	s_waitcnt vmcnt(4)
	v_cvt_f64_f32_e32 v[54:55], v14
	v_cvt_f64_f32_e32 v[14:15], v15
	s_waitcnt vmcnt(0)
	v_fmac_f64_e32 v[8:9], v[54:55], v[70:71]
	v_fmac_f64_e32 v[46:47], v[14:15], v[70:71]
	v_fma_f64 v[8:9], -v[14:15], v[72:73], v[8:9]
	v_fmac_f64_e32 v[46:47], v[54:55], v[72:73]
	v_cvt_f64_f32_e32 v[14:15], v16
	v_cvt_f64_f32_e32 v[16:17], v17
	v_fmac_f64_e32 v[8:9], v[14:15], v[66:67]
	v_fmac_f64_e32 v[46:47], v[16:17], v[66:67]
	v_fma_f64 v[8:9], -v[16:17], v[68:69], v[8:9]
	v_fmac_f64_e32 v[46:47], v[14:15], v[68:69]
	v_cvt_f64_f32_e32 v[14:15], v10
	v_cvt_f64_f32_e32 v[10:11], v11
	v_fmac_f64_e32 v[8:9], v[14:15], v[24:25]
	v_fma_f64 v[8:9], -v[10:11], v[26:27], v[8:9]
	v_fmac_f64_e32 v[46:47], v[10:11], v[24:25]
	v_cvt_f64_f32_e32 v[10:11], v12
	v_cvt_f64_f32_e32 v[12:13], v13
	v_fmac_f64_e32 v[8:9], v[10:11], v[20:21]
	v_fmac_f64_e32 v[46:47], v[14:15], v[26:27]
	v_fma_f64 v[54:55], -v[12:13], v[22:23], v[8:9]
	v_cvt_f64_f32_e32 v[8:9], v4
	v_cvt_f64_f32_e32 v[4:5], v5
	v_fmac_f64_e32 v[46:47], v[12:13], v[20:21]
	v_fmac_f64_e32 v[74:75], v[8:9], v[70:71]
	v_fmac_f64_e32 v[42:43], v[4:5], v[70:71]
	v_fmac_f64_e32 v[46:47], v[10:11], v[22:23]
	v_fma_f64 v[10:11], -v[4:5], v[72:73], v[74:75]
	v_fmac_f64_e32 v[42:43], v[8:9], v[72:73]
	v_cvt_f64_f32_e32 v[4:5], v6
	v_cvt_f64_f32_e32 v[6:7], v7
	v_fmac_f64_e32 v[10:11], v[4:5], v[66:67]
	v_fmac_f64_e32 v[42:43], v[6:7], v[66:67]
	v_fma_f64 v[8:9], -v[6:7], v[68:69], v[10:11]
	v_fmac_f64_e32 v[42:43], v[4:5], v[68:69]
	v_cvt_f64_f32_e32 v[4:5], v0
	v_cvt_f64_f32_e32 v[0:1], v1
	v_fmac_f64_e32 v[8:9], v[4:5], v[24:25]
	v_fmac_f64_e32 v[42:43], v[0:1], v[24:25]
	;; [unrolled: 6-line block ×3, first 2 shown]
	v_fma_f64 v[58:59], -v[2:3], v[22:23], v[6:7]
	v_fmac_f64_e32 v[42:43], v[0:1], v[22:23]
	global_load_dwordx4 v[0:3], v[52:53], off offset:2160
	global_load_dwordx4 v[4:7], v[52:53], off offset:2144
	;; [unrolled: 1-line block ×4, first 2 shown]
	s_waitcnt vmcnt(0)
	v_cvt_f64_f32_e32 v[16:17], v12
	v_cvt_f64_f32_e32 v[12:13], v13
	v_fmac_f64_e32 v[76:77], v[16:17], v[70:71]
	v_fmac_f64_e32 v[40:41], v[12:13], v[70:71]
	v_fma_f64 v[56:57], -v[12:13], v[72:73], v[76:77]
	v_fmac_f64_e32 v[40:41], v[16:17], v[72:73]
	v_cvt_f64_f32_e32 v[12:13], v14
	v_cvt_f64_f32_e32 v[14:15], v15
	v_fmac_f64_e32 v[56:57], v[12:13], v[66:67]
	v_fmac_f64_e32 v[40:41], v[14:15], v[66:67]
	v_fma_f64 v[16:17], -v[14:15], v[68:69], v[56:57]
	v_fmac_f64_e32 v[40:41], v[12:13], v[68:69]
	;; [unrolled: 6-line block ×3, first 2 shown]
	v_cvt_f64_f32_e32 v[8:9], v10
	v_cvt_f64_f32_e32 v[10:11], v11
	v_fmac_f64_e32 v[40:41], v[10:11], v[20:21]
	v_fmac_f64_e32 v[14:15], v[8:9], v[20:21]
	;; [unrolled: 1-line block ×3, first 2 shown]
	v_cvt_f64_f32_e32 v[8:9], v4
	v_cvt_f64_f32_e32 v[4:5], v5
	v_fmac_f64_e32 v[60:61], v[8:9], v[70:71]
	v_fmac_f64_e32 v[38:39], v[4:5], v[70:71]
	v_fma_f64 v[56:57], -v[10:11], v[22:23], v[14:15]
	v_fma_f64 v[10:11], -v[4:5], v[72:73], v[60:61]
	v_fmac_f64_e32 v[38:39], v[8:9], v[72:73]
	v_cvt_f64_f32_e32 v[4:5], v6
	v_cvt_f64_f32_e32 v[6:7], v7
	v_fmac_f64_e32 v[10:11], v[4:5], v[66:67]
	v_fmac_f64_e32 v[38:39], v[6:7], v[66:67]
	v_fma_f64 v[8:9], -v[6:7], v[68:69], v[10:11]
	v_fmac_f64_e32 v[38:39], v[4:5], v[68:69]
	v_cvt_f64_f32_e32 v[4:5], v0
	v_cvt_f64_f32_e32 v[0:1], v1
	v_fmac_f64_e32 v[8:9], v[4:5], v[24:25]
	v_fmac_f64_e32 v[38:39], v[0:1], v[24:25]
	;; [unrolled: 6-line block ×3, first 2 shown]
	v_fmac_f64_e32 v[38:39], v[0:1], v[22:23]
	global_load_dword v0, v[18:19], off offset:96
	v_fma_f64 v[60:61], -v[2:3], v[22:23], v[6:7]
	s_waitcnt vmcnt(0)
	v_subrev_u32_e32 v0, s20, v0
	v_lshlrev_b32_e32 v12, 2, v0
	v_ashrrev_i32_e32 v13, 31, v12
	v_lshlrev_b64 v[12:13], 4, v[12:13]
	v_add_co_u32_e32 v72, vcc, s4, v12
	global_load_dwordx4 v[0:3], v[52:53], off offset:3120
	global_load_dwordx4 v[4:7], v[52:53], off offset:3104
	global_load_dwordx4 v[8:11], v[52:53], off offset:3088
	global_load_dwordx4 v[66:69], v[52:53], off offset:3072
	v_addc_co_u32_e32 v73, vcc, v64, v13, vcc
	global_load_dwordx4 v[12:15], v[72:73], off offset:48
	global_load_dwordx4 v[16:19], v[72:73], off offset:32
	;; [unrolled: 1-line block ×3, first 2 shown]
	global_load_dwordx4 v[24:27], v[72:73], off
	s_waitcnt vmcnt(4)
	v_cvt_f64_f32_e32 v[70:71], v66
	v_cvt_f64_f32_e32 v[66:67], v67
	s_waitcnt vmcnt(0)
	v_fmac_f64_e32 v[54:55], v[70:71], v[24:25]
	v_fmac_f64_e32 v[46:47], v[66:67], v[24:25]
	v_fma_f64 v[54:55], -v[66:67], v[26:27], v[54:55]
	v_fmac_f64_e32 v[46:47], v[70:71], v[26:27]
	v_cvt_f64_f32_e32 v[66:67], v68
	v_cvt_f64_f32_e32 v[68:69], v69
	v_fmac_f64_e32 v[54:55], v[66:67], v[20:21]
	v_fmac_f64_e32 v[46:47], v[68:69], v[20:21]
	v_fma_f64 v[54:55], -v[68:69], v[22:23], v[54:55]
	v_fmac_f64_e32 v[46:47], v[66:67], v[22:23]
	v_cvt_f64_f32_e32 v[66:67], v8
	v_cvt_f64_f32_e32 v[8:9], v9
	;; [unrolled: 6-line block ×3, first 2 shown]
	v_fmac_f64_e32 v[46:47], v[10:11], v[12:13]
	v_fmac_f64_e32 v[54:55], v[8:9], v[12:13]
	;; [unrolled: 1-line block ×3, first 2 shown]
	v_cvt_f64_f32_e32 v[8:9], v4
	v_cvt_f64_f32_e32 v[4:5], v5
	v_fmac_f64_e32 v[58:59], v[8:9], v[24:25]
	v_fmac_f64_e32 v[42:43], v[4:5], v[24:25]
	v_fma_f64 v[54:55], -v[10:11], v[14:15], v[54:55]
	v_fma_f64 v[10:11], -v[4:5], v[26:27], v[58:59]
	v_fmac_f64_e32 v[42:43], v[8:9], v[26:27]
	v_cvt_f64_f32_e32 v[4:5], v6
	v_cvt_f64_f32_e32 v[6:7], v7
	v_fmac_f64_e32 v[10:11], v[4:5], v[20:21]
	v_fmac_f64_e32 v[42:43], v[6:7], v[20:21]
	v_fma_f64 v[8:9], -v[6:7], v[22:23], v[10:11]
	v_fmac_f64_e32 v[42:43], v[4:5], v[22:23]
	v_cvt_f64_f32_e32 v[4:5], v0
	v_cvt_f64_f32_e32 v[0:1], v1
	v_fmac_f64_e32 v[8:9], v[4:5], v[16:17]
	v_fmac_f64_e32 v[42:43], v[0:1], v[16:17]
	;; [unrolled: 6-line block ×3, first 2 shown]
	v_fma_f64 v[58:59], -v[2:3], v[14:15], v[6:7]
	v_fmac_f64_e32 v[42:43], v[0:1], v[14:15]
	global_load_dwordx4 v[0:3], v[52:53], off offset:3184
	global_load_dwordx4 v[4:7], v[52:53], off offset:3168
	;; [unrolled: 1-line block ×4, first 2 shown]
	v_add_co_u32_e32 v52, vcc, 0x1000, v52
	v_addc_co_u32_e32 v53, vcc, 0, v53, vcc
	v_cmp_ge_i32_e32 vcc, v50, v62
	s_or_b64 s[14:15], vcc, s[14:15]
	s_waitcnt vmcnt(0)
	v_cvt_f64_f32_e32 v[70:71], v66
	v_cvt_f64_f32_e32 v[66:67], v67
	v_fmac_f64_e32 v[56:57], v[70:71], v[24:25]
	v_fmac_f64_e32 v[40:41], v[66:67], v[24:25]
	v_fma_f64 v[56:57], -v[66:67], v[26:27], v[56:57]
	v_fmac_f64_e32 v[40:41], v[70:71], v[26:27]
	v_cvt_f64_f32_e32 v[66:67], v68
	v_cvt_f64_f32_e32 v[68:69], v69
	v_fmac_f64_e32 v[56:57], v[66:67], v[20:21]
	v_fmac_f64_e32 v[40:41], v[68:69], v[20:21]
	v_fma_f64 v[56:57], -v[68:69], v[22:23], v[56:57]
	v_fmac_f64_e32 v[40:41], v[66:67], v[22:23]
	;; [unrolled: 6-line block ×3, first 2 shown]
	v_cvt_f64_f32_e32 v[8:9], v10
	v_cvt_f64_f32_e32 v[10:11], v11
	v_fmac_f64_e32 v[40:41], v[10:11], v[12:13]
	v_fmac_f64_e32 v[56:57], v[8:9], v[12:13]
	;; [unrolled: 1-line block ×3, first 2 shown]
	v_cvt_f64_f32_e32 v[8:9], v4
	v_cvt_f64_f32_e32 v[4:5], v5
	v_fmac_f64_e32 v[60:61], v[8:9], v[24:25]
	v_fmac_f64_e32 v[38:39], v[4:5], v[24:25]
	v_fma_f64 v[56:57], -v[10:11], v[14:15], v[56:57]
	v_fma_f64 v[10:11], -v[4:5], v[26:27], v[60:61]
	v_fmac_f64_e32 v[38:39], v[8:9], v[26:27]
	v_cvt_f64_f32_e32 v[4:5], v6
	v_cvt_f64_f32_e32 v[6:7], v7
	v_fmac_f64_e32 v[10:11], v[4:5], v[20:21]
	v_fmac_f64_e32 v[38:39], v[6:7], v[20:21]
	v_fma_f64 v[8:9], -v[6:7], v[22:23], v[10:11]
	v_fmac_f64_e32 v[38:39], v[4:5], v[22:23]
	v_cvt_f64_f32_e32 v[4:5], v0
	v_cvt_f64_f32_e32 v[0:1], v1
	v_fmac_f64_e32 v[8:9], v[4:5], v[16:17]
	v_fmac_f64_e32 v[38:39], v[0:1], v[16:17]
	;; [unrolled: 6-line block ×3, first 2 shown]
	v_fma_f64 v[16:17], -v[2:3], v[14:15], v[6:7]
	v_fmac_f64_e32 v[38:39], v[0:1], v[14:15]
	s_andn2_b64 exec, exec, s[14:15]
	s_cbranch_execnz .LBB166_23
; %bb.24:
	s_or_b64 exec, exec, s[14:15]
.LBB166_25:
	s_or_b64 exec, exec, s[2:3]
.LBB166_26:
	s_or_b64 exec, exec, s[10:11]
	s_andn2_b64 vcc, exec, s[8:9]
	s_cbranch_vccz .LBB166_28
	s_branch .LBB166_39
.LBB166_27:
                                        ; implicit-def: $vgpr46_vgpr47
                                        ; implicit-def: $vgpr54_vgpr55
                                        ; implicit-def: $vgpr42_vgpr43
                                        ; implicit-def: $vgpr58_vgpr59
                                        ; implicit-def: $vgpr40_vgpr41
                                        ; implicit-def: $vgpr56_vgpr57
                                        ; implicit-def: $vgpr38_vgpr39
                                        ; implicit-def: $vgpr16_vgpr17
.LBB166_28:
	v_pk_mov_b32 v[46:47], 0, 0
	v_pk_mov_b32 v[54:55], v[46:47], v[46:47] op_sel:[0,1]
	v_pk_mov_b32 v[42:43], v[46:47], v[46:47] op_sel:[0,1]
	;; [unrolled: 1-line block ×7, first 2 shown]
	s_and_saveexec_b64 s[2:3], s[0:1]
	s_cbranch_execz .LBB166_38
; %bb.29:
	v_add_u32_e32 v0, v63, v37
	v_subrev_u32_e32 v0, s20, v0
	v_add_u32_e32 v0, 8, v0
	v_max_i32_e32 v0, v0, v62
	v_not_b32_e32 v1, v63
	v_add3_u32 v0, v0, s20, v1
	v_sub_u32_e32 v18, v0, v37
	v_lshrrev_b32_e32 v0, 3, v18
	v_add_u32_e32 v0, 1, v0
	v_and_b32_e32 v0, 3, v0
	v_pk_mov_b32 v[16:17], 0, 0
	v_cmp_ne_u32_e32 vcc, 0, v0
	v_pk_mov_b32 v[38:39], v[16:17], v[16:17] op_sel:[0,1]
	v_pk_mov_b32 v[56:57], v[16:17], v[16:17] op_sel:[0,1]
	;; [unrolled: 1-line block ×7, first 2 shown]
	s_and_saveexec_b64 s[8:9], vcc
	s_cbranch_execz .LBB166_33
; %bb.30:
	v_pk_mov_b32 v[46:47], 0, 0
	v_lshlrev_b32_e32 v19, 7, v0
	s_mov_b64 s[10:11], 0
	v_mov_b32_e32 v20, s13
	v_mov_b32_e32 v21, s5
	v_pk_mov_b32 v[54:55], v[46:47], v[46:47] op_sel:[0,1]
	v_pk_mov_b32 v[42:43], v[46:47], v[46:47] op_sel:[0,1]
	;; [unrolled: 1-line block ×7, first 2 shown]
.LBB166_31:                             ; =>This Inner Loop Header: Depth=1
	v_ashrrev_i32_e32 v45, 31, v44
	v_lshlrev_b64 v[26:27], 2, v[44:45]
	v_add_co_u32_e64 v26, s[0:1], s12, v26
	v_addc_co_u32_e64 v27, s[0:1], v20, v27, s[0:1]
	global_load_dwordx4 v[12:15], v[48:49], off
	global_load_dwordx4 v[8:11], v[48:49], off offset:16
	global_load_dwordx4 v[4:7], v[48:49], off offset:32
	;; [unrolled: 1-line block ×7, first 2 shown]
	global_load_dword v45, v[26:27], off
	v_add_co_u32_e32 v48, vcc, 0x400, v48
	v_addc_co_u32_e32 v49, vcc, 0, v49, vcc
	v_add_u32_e32 v19, 0xffffff80, v19
	v_cmp_eq_u32_e64 s[0:1], 0, v19
	v_add_u32_e32 v44, 8, v44
	s_or_b64 s[10:11], s[0:1], s[10:11]
	s_waitcnt vmcnt(8)
	v_cvt_f64_f32_e32 v[26:27], v12
	v_cvt_f64_f32_e32 v[60:61], v13
	s_waitcnt vmcnt(6)
	v_cvt_f64_f32_e32 v[88:89], v4
	s_waitcnt vmcnt(5)
	v_cvt_f64_f32_e32 v[98:99], v2
	v_cvt_f64_f32_e32 v[90:91], v5
	v_cvt_f64_f32_e32 v[76:77], v14
	v_cvt_f64_f32_e32 v[78:79], v15
	s_waitcnt vmcnt(0)
	v_subrev_u32_e32 v2, s20, v45
	v_lshlrev_b32_e32 v4, 2, v2
	v_ashrrev_i32_e32 v5, 31, v4
	v_lshlrev_b64 v[4:5], 4, v[4:5]
	v_add_co_u32_e32 v100, vcc, s4, v4
	v_addc_co_u32_e32 v101, vcc, v21, v5, vcc
	v_cvt_f64_f32_e32 v[80:81], v8
	v_cvt_f64_f32_e32 v[82:83], v9
	;; [unrolled: 1-line block ×6, first 2 shown]
	global_load_dwordx4 v[4:7], v[100:101], off
	global_load_dwordx4 v[8:11], v[100:101], off offset:16
	global_load_dwordx4 v[12:15], v[100:101], off offset:32
	;; [unrolled: 1-line block ×3, first 2 shown]
	v_cvt_f64_f32_e32 v[96:97], v0
	v_cvt_f64_f32_e32 v[0:1], v1
	;; [unrolled: 1-line block ×19, first 2 shown]
	s_waitcnt vmcnt(3)
	v_fmac_f64_e32 v[54:55], v[26:27], v[4:5]
	v_fmac_f64_e32 v[46:47], v[60:61], v[4:5]
	v_fmac_f64_e32 v[58:59], v[76:77], v[4:5]
	v_fmac_f64_e32 v[42:43], v[78:79], v[4:5]
	v_fmac_f64_e32 v[56:57], v[80:81], v[4:5]
	v_fmac_f64_e32 v[40:41], v[82:83], v[4:5]
	v_fmac_f64_e32 v[16:17], v[84:85], v[4:5]
	v_fmac_f64_e32 v[38:39], v[86:87], v[4:5]
	v_fma_f64 v[4:5], -v[60:61], v[6:7], v[54:55]
	v_fmac_f64_e32 v[46:47], v[26:27], v[6:7]
	v_fma_f64 v[26:27], -v[78:79], v[6:7], v[58:59]
	v_fmac_f64_e32 v[42:43], v[76:77], v[6:7]
	v_fma_f64 v[54:55], -v[82:83], v[6:7], v[56:57]
	v_fmac_f64_e32 v[40:41], v[80:81], v[6:7]
	v_fma_f64 v[16:17], -v[86:87], v[6:7], v[16:17]
	v_fmac_f64_e32 v[38:39], v[84:85], v[6:7]
	s_waitcnt vmcnt(2)
	v_fmac_f64_e32 v[4:5], v[88:89], v[8:9]
	v_fmac_f64_e32 v[46:47], v[90:91], v[8:9]
	v_fmac_f64_e32 v[26:27], v[92:93], v[8:9]
	v_fmac_f64_e32 v[42:43], v[94:95], v[8:9]
	v_fmac_f64_e32 v[54:55], v[96:97], v[8:9]
	v_fmac_f64_e32 v[40:41], v[0:1], v[8:9]
	v_fmac_f64_e32 v[16:17], v[98:99], v[8:9]
	v_fmac_f64_e32 v[38:39], v[2:3], v[8:9]
	v_fma_f64 v[4:5], -v[90:91], v[10:11], v[4:5]
	v_fmac_f64_e32 v[46:47], v[88:89], v[10:11]
	v_fma_f64 v[6:7], -v[94:95], v[10:11], v[26:27]
	v_fmac_f64_e32 v[42:43], v[92:93], v[10:11]
	v_fma_f64 v[0:1], -v[0:1], v[10:11], v[54:55]
	v_fmac_f64_e32 v[40:41], v[96:97], v[10:11]
	v_fma_f64 v[2:3], -v[2:3], v[10:11], v[16:17]
	v_fmac_f64_e32 v[38:39], v[98:99], v[10:11]
	;; [unrolled: 17-line block ×4, first 2 shown]
	s_andn2_b64 exec, exec, s[10:11]
	s_cbranch_execnz .LBB166_31
; %bb.32:
	s_or_b64 exec, exec, s[10:11]
.LBB166_33:
	s_or_b64 exec, exec, s[8:9]
	v_cmp_lt_u32_e32 vcc, 23, v18
	s_and_saveexec_b64 s[0:1], vcc
	s_cbranch_execz .LBB166_37
; %bb.34:
	s_mov_b64 s[8:9], 0
	v_mov_b32_e32 v50, s13
	v_mov_b32_e32 v51, s5
.LBB166_35:                             ; =>This Inner Loop Header: Depth=1
	v_ashrrev_i32_e32 v45, 31, v44
	v_lshlrev_b64 v[0:1], 2, v[44:45]
	v_add_co_u32_e32 v12, vcc, s12, v0
	v_addc_co_u32_e32 v13, vcc, v50, v1, vcc
	global_load_dword v0, v[12:13], off
	global_load_dwordx4 v[8:11], v[48:49], off offset:48
	global_load_dwordx4 v[18:21], v[48:49], off offset:32
	;; [unrolled: 1-line block ×3, first 2 shown]
	global_load_dwordx4 v[64:67], v[48:49], off
	v_add_u32_e32 v44, 32, v44
	s_waitcnt vmcnt(4)
	v_subrev_u32_e32 v0, s20, v0
	v_lshlrev_b32_e32 v0, 2, v0
	v_ashrrev_i32_e32 v1, 31, v0
	v_lshlrev_b64 v[0:1], 4, v[0:1]
	v_add_co_u32_e32 v52, vcc, s4, v0
	v_addc_co_u32_e32 v53, vcc, v51, v1, vcc
	global_load_dwordx4 v[0:3], v[52:53], off offset:48
	global_load_dwordx4 v[4:7], v[52:53], off offset:32
	;; [unrolled: 1-line block ×3, first 2 shown]
	global_load_dwordx4 v[72:75], v[52:53], off
	s_waitcnt vmcnt(4)
	v_cvt_f64_f32_e32 v[14:15], v64
	v_cvt_f64_f32_e32 v[26:27], v65
	s_waitcnt vmcnt(0)
	v_fmac_f64_e32 v[54:55], v[14:15], v[72:73]
	v_fma_f64 v[52:53], -v[26:27], v[74:75], v[54:55]
	v_fmac_f64_e32 v[46:47], v[26:27], v[72:73]
	v_cvt_f64_f32_e32 v[26:27], v67
	v_fmac_f64_e32 v[46:47], v[14:15], v[74:75]
	v_cvt_f64_f32_e32 v[14:15], v66
	v_fmac_f64_e32 v[42:43], v[26:27], v[72:73]
	v_fmac_f64_e32 v[58:59], v[14:15], v[72:73]
	;; [unrolled: 1-line block ×3, first 2 shown]
	v_cvt_f64_f32_e32 v[14:15], v22
	v_cvt_f64_f32_e32 v[22:23], v23
	v_fmac_f64_e32 v[56:57], v[14:15], v[72:73]
	v_fma_f64 v[54:55], -v[26:27], v[74:75], v[58:59]
	v_fma_f64 v[26:27], -v[22:23], v[74:75], v[56:57]
	v_fmac_f64_e32 v[40:41], v[22:23], v[72:73]
	v_cvt_f64_f32_e32 v[22:23], v25
	v_fmac_f64_e32 v[40:41], v[14:15], v[74:75]
	v_cvt_f64_f32_e32 v[14:15], v24
	v_fmac_f64_e32 v[38:39], v[22:23], v[72:73]
	v_fmac_f64_e32 v[16:17], v[14:15], v[72:73]
	;; [unrolled: 1-line block ×3, first 2 shown]
	v_cvt_f64_f32_e32 v[14:15], v18
	v_cvt_f64_f32_e32 v[18:19], v19
	v_fmac_f64_e32 v[52:53], v[14:15], v[68:69]
	v_fma_f64 v[52:53], -v[18:19], v[70:71], v[52:53]
	v_fmac_f64_e32 v[46:47], v[18:19], v[68:69]
	v_cvt_f64_f32_e32 v[18:19], v21
	v_fmac_f64_e32 v[46:47], v[14:15], v[70:71]
	v_cvt_f64_f32_e32 v[14:15], v20
	v_fmac_f64_e32 v[42:43], v[18:19], v[68:69]
	v_fmac_f64_e32 v[54:55], v[14:15], v[68:69]
	;; [unrolled: 1-line block ×3, first 2 shown]
	v_cvt_f64_f32_e32 v[14:15], v8
	v_cvt_f64_f32_e32 v[8:9], v9
	v_fmac_f64_e32 v[26:27], v[14:15], v[68:69]
	v_fma_f64 v[16:17], -v[22:23], v[74:75], v[16:17]
	v_fma_f64 v[26:27], -v[8:9], v[70:71], v[26:27]
	v_fmac_f64_e32 v[40:41], v[8:9], v[68:69]
	v_cvt_f64_f32_e32 v[8:9], v10
	v_cvt_f64_f32_e32 v[10:11], v11
	v_fmac_f64_e32 v[16:17], v[8:9], v[68:69]
	v_fmac_f64_e32 v[38:39], v[10:11], v[68:69]
	v_fma_f64 v[54:55], -v[18:19], v[70:71], v[54:55]
	v_fmac_f64_e32 v[40:41], v[14:15], v[70:71]
	v_fma_f64 v[56:57], -v[10:11], v[70:71], v[16:17]
	v_fmac_f64_e32 v[38:39], v[8:9], v[70:71]
	global_load_dwordx4 v[8:11], v[48:49], off offset:112
	global_load_dwordx4 v[14:17], v[48:49], off offset:96
	;; [unrolled: 1-line block ×4, first 2 shown]
	s_waitcnt vmcnt(0)
	v_cvt_f64_f32_e32 v[58:59], v22
	v_cvt_f64_f32_e32 v[22:23], v23
	v_fmac_f64_e32 v[52:53], v[58:59], v[4:5]
	v_fma_f64 v[52:53], -v[22:23], v[6:7], v[52:53]
	v_fmac_f64_e32 v[46:47], v[22:23], v[4:5]
	v_cvt_f64_f32_e32 v[22:23], v24
	v_cvt_f64_f32_e32 v[24:25], v25
	v_fmac_f64_e32 v[42:43], v[24:25], v[4:5]
	v_fmac_f64_e32 v[54:55], v[22:23], v[4:5]
	;; [unrolled: 1-line block ×3, first 2 shown]
	v_cvt_f64_f32_e32 v[22:23], v18
	v_cvt_f64_f32_e32 v[18:19], v19
	v_fmac_f64_e32 v[26:27], v[22:23], v[4:5]
	v_fma_f64 v[54:55], -v[24:25], v[6:7], v[54:55]
	v_fma_f64 v[24:25], -v[18:19], v[6:7], v[26:27]
	v_fmac_f64_e32 v[40:41], v[18:19], v[4:5]
	v_cvt_f64_f32_e32 v[18:19], v20
	v_cvt_f64_f32_e32 v[20:21], v21
	v_fmac_f64_e32 v[56:57], v[18:19], v[4:5]
	v_fmac_f64_e32 v[38:39], v[20:21], v[4:5]
	;; [unrolled: 1-line block ×4, first 2 shown]
	v_fma_f64 v[22:23], -v[20:21], v[6:7], v[56:57]
	v_fmac_f64_e32 v[38:39], v[18:19], v[6:7]
	v_cvt_f64_f32_e32 v[4:5], v14
	v_cvt_f64_f32_e32 v[6:7], v15
	v_fmac_f64_e32 v[52:53], v[4:5], v[0:1]
	v_fmac_f64_e32 v[46:47], v[6:7], v[0:1]
	v_fma_f64 v[20:21], -v[6:7], v[2:3], v[52:53]
	v_fmac_f64_e32 v[46:47], v[4:5], v[2:3]
	v_cvt_f64_f32_e32 v[4:5], v16
	v_cvt_f64_f32_e32 v[6:7], v17
	v_fmac_f64_e32 v[54:55], v[4:5], v[0:1]
	v_fmac_f64_e32 v[42:43], v[6:7], v[0:1]
	;; [unrolled: 6-line block ×4, first 2 shown]
	global_load_dword v0, v[12:13], off offset:32
	v_fma_f64 v[14:15], -v[6:7], v[2:3], v[22:23]
	v_fmac_f64_e32 v[38:39], v[4:5], v[2:3]
	s_waitcnt vmcnt(0)
	v_subrev_u32_e32 v0, s20, v0
	v_lshlrev_b32_e32 v26, 2, v0
	v_ashrrev_i32_e32 v27, 31, v26
	v_lshlrev_b64 v[26:27], 4, v[26:27]
	v_add_co_u32_e32 v26, vcc, s4, v26
	global_load_dwordx4 v[0:3], v[48:49], off offset:1072
	global_load_dwordx4 v[4:7], v[48:49], off offset:1056
	;; [unrolled: 1-line block ×4, first 2 shown]
	v_addc_co_u32_e32 v27, vcc, v51, v27, vcc
	global_load_dwordx4 v[52:55], v[26:27], off offset:48
	global_load_dwordx4 v[56:59], v[26:27], off offset:32
	;; [unrolled: 1-line block ×3, first 2 shown]
	global_load_dwordx4 v[68:71], v[26:27], off
	s_waitcnt vmcnt(4)
	v_cvt_f64_f32_e32 v[60:61], v22
	v_cvt_f64_f32_e32 v[22:23], v23
	s_waitcnt vmcnt(0)
	v_fmac_f64_e32 v[20:21], v[60:61], v[68:69]
	v_fma_f64 v[20:21], -v[22:23], v[70:71], v[20:21]
	v_fmac_f64_e32 v[46:47], v[22:23], v[68:69]
	v_cvt_f64_f32_e32 v[22:23], v24
	v_cvt_f64_f32_e32 v[24:25], v25
	v_fmac_f64_e32 v[42:43], v[24:25], v[68:69]
	v_fmac_f64_e32 v[18:19], v[22:23], v[68:69]
	;; [unrolled: 1-line block ×3, first 2 shown]
	v_cvt_f64_f32_e32 v[22:23], v8
	v_cvt_f64_f32_e32 v[8:9], v9
	v_fmac_f64_e32 v[16:17], v[22:23], v[68:69]
	v_fma_f64 v[16:17], -v[8:9], v[70:71], v[16:17]
	v_fmac_f64_e32 v[40:41], v[8:9], v[68:69]
	v_cvt_f64_f32_e32 v[8:9], v10
	v_cvt_f64_f32_e32 v[10:11], v11
	v_fmac_f64_e32 v[38:39], v[10:11], v[68:69]
	v_fmac_f64_e32 v[14:15], v[8:9], v[68:69]
	;; [unrolled: 1-line block ×3, first 2 shown]
	v_cvt_f64_f32_e32 v[8:9], v4
	v_fmac_f64_e32 v[46:47], v[60:61], v[70:71]
	v_cvt_f64_f32_e32 v[4:5], v5
	v_fmac_f64_e32 v[20:21], v[8:9], v[64:65]
	v_fma_f64 v[20:21], -v[4:5], v[66:67], v[20:21]
	v_fmac_f64_e32 v[46:47], v[4:5], v[64:65]
	v_cvt_f64_f32_e32 v[4:5], v6
	v_cvt_f64_f32_e32 v[6:7], v7
	v_fma_f64 v[18:19], -v[24:25], v[70:71], v[18:19]
	v_fmac_f64_e32 v[42:43], v[6:7], v[64:65]
	v_fmac_f64_e32 v[18:19], v[4:5], v[64:65]
	;; [unrolled: 1-line block ×3, first 2 shown]
	v_cvt_f64_f32_e32 v[4:5], v0
	v_fmac_f64_e32 v[40:41], v[22:23], v[70:71]
	v_cvt_f64_f32_e32 v[0:1], v1
	v_fmac_f64_e32 v[16:17], v[4:5], v[64:65]
	v_fma_f64 v[14:15], -v[10:11], v[70:71], v[14:15]
	v_fma_f64 v[22:23], -v[0:1], v[66:67], v[16:17]
	v_fmac_f64_e32 v[40:41], v[0:1], v[64:65]
	v_cvt_f64_f32_e32 v[0:1], v2
	v_cvt_f64_f32_e32 v[2:3], v3
	v_fmac_f64_e32 v[14:15], v[0:1], v[64:65]
	v_fmac_f64_e32 v[38:39], v[2:3], v[64:65]
	;; [unrolled: 1-line block ×3, first 2 shown]
	v_fma_f64 v[18:19], -v[6:7], v[66:67], v[18:19]
	v_fmac_f64_e32 v[40:41], v[4:5], v[66:67]
	v_fma_f64 v[24:25], -v[2:3], v[66:67], v[14:15]
	v_fmac_f64_e32 v[38:39], v[0:1], v[66:67]
	global_load_dwordx4 v[0:3], v[48:49], off offset:1136
	global_load_dwordx4 v[4:7], v[48:49], off offset:1120
	;; [unrolled: 1-line block ×4, first 2 shown]
	s_waitcnt vmcnt(0)
	v_cvt_f64_f32_e32 v[26:27], v14
	v_cvt_f64_f32_e32 v[14:15], v15
	v_fmac_f64_e32 v[20:21], v[26:27], v[56:57]
	v_fma_f64 v[20:21], -v[14:15], v[58:59], v[20:21]
	v_fmac_f64_e32 v[46:47], v[14:15], v[56:57]
	v_cvt_f64_f32_e32 v[14:15], v16
	v_cvt_f64_f32_e32 v[16:17], v17
	v_fmac_f64_e32 v[42:43], v[16:17], v[56:57]
	v_fmac_f64_e32 v[18:19], v[14:15], v[56:57]
	;; [unrolled: 1-line block ×3, first 2 shown]
	v_cvt_f64_f32_e32 v[14:15], v8
	v_cvt_f64_f32_e32 v[8:9], v9
	v_fmac_f64_e32 v[22:23], v[14:15], v[56:57]
	v_fma_f64 v[18:19], -v[16:17], v[58:59], v[18:19]
	v_fma_f64 v[16:17], -v[8:9], v[58:59], v[22:23]
	v_fmac_f64_e32 v[40:41], v[8:9], v[56:57]
	v_cvt_f64_f32_e32 v[8:9], v10
	v_cvt_f64_f32_e32 v[10:11], v11
	v_fmac_f64_e32 v[38:39], v[10:11], v[56:57]
	v_fmac_f64_e32 v[24:25], v[8:9], v[56:57]
	;; [unrolled: 1-line block ×3, first 2 shown]
	v_cvt_f64_f32_e32 v[8:9], v4
	v_fmac_f64_e32 v[46:47], v[26:27], v[58:59]
	v_cvt_f64_f32_e32 v[4:5], v5
	v_fmac_f64_e32 v[20:21], v[8:9], v[52:53]
	v_fma_f64 v[26:27], -v[4:5], v[54:55], v[20:21]
	v_fmac_f64_e32 v[46:47], v[4:5], v[52:53]
	v_cvt_f64_f32_e32 v[4:5], v6
	v_cvt_f64_f32_e32 v[6:7], v7
	v_fmac_f64_e32 v[42:43], v[6:7], v[52:53]
	v_fmac_f64_e32 v[18:19], v[4:5], v[52:53]
	;; [unrolled: 1-line block ×3, first 2 shown]
	v_cvt_f64_f32_e32 v[4:5], v0
	v_fmac_f64_e32 v[40:41], v[14:15], v[58:59]
	v_cvt_f64_f32_e32 v[0:1], v1
	v_fmac_f64_e32 v[16:17], v[4:5], v[52:53]
	v_fma_f64 v[64:65], -v[0:1], v[54:55], v[16:17]
	v_fmac_f64_e32 v[40:41], v[0:1], v[52:53]
	v_cvt_f64_f32_e32 v[0:1], v2
	v_cvt_f64_f32_e32 v[2:3], v3
	v_fma_f64 v[14:15], -v[10:11], v[58:59], v[24:25]
	v_fmac_f64_e32 v[38:39], v[2:3], v[52:53]
	v_fmac_f64_e32 v[14:15], v[0:1], v[52:53]
	;; [unrolled: 1-line block ×3, first 2 shown]
	global_load_dword v0, v[12:13], off offset:64
	v_fma_f64 v[60:61], -v[6:7], v[54:55], v[18:19]
	v_fmac_f64_e32 v[46:47], v[8:9], v[54:55]
	v_fmac_f64_e32 v[40:41], v[4:5], v[54:55]
	v_fma_f64 v[66:67], -v[2:3], v[54:55], v[14:15]
	s_waitcnt vmcnt(0)
	v_subrev_u32_e32 v0, s20, v0
	v_lshlrev_b32_e32 v18, 2, v0
	v_ashrrev_i32_e32 v19, 31, v18
	v_lshlrev_b64 v[18:19], 4, v[18:19]
	v_add_co_u32_e32 v70, vcc, s4, v18
	global_load_dwordx4 v[0:3], v[48:49], off offset:2096
	global_load_dwordx4 v[4:7], v[48:49], off offset:2080
	;; [unrolled: 1-line block ×4, first 2 shown]
	v_addc_co_u32_e32 v71, vcc, v51, v19, vcc
	global_load_dwordx4 v[52:55], v[70:71], off offset:48
	global_load_dwordx4 v[18:21], v[70:71], off offset:32
	;; [unrolled: 1-line block ×3, first 2 shown]
	global_load_dwordx4 v[56:59], v[70:71], off
	s_waitcnt vmcnt(4)
	v_cvt_f64_f32_e32 v[68:69], v14
	v_cvt_f64_f32_e32 v[14:15], v15
	s_waitcnt vmcnt(0)
	v_fmac_f64_e32 v[26:27], v[68:69], v[56:57]
	v_fma_f64 v[26:27], -v[14:15], v[58:59], v[26:27]
	v_fmac_f64_e32 v[46:47], v[14:15], v[56:57]
	v_cvt_f64_f32_e32 v[14:15], v16
	v_cvt_f64_f32_e32 v[16:17], v17
	v_fmac_f64_e32 v[42:43], v[16:17], v[56:57]
	v_fmac_f64_e32 v[60:61], v[14:15], v[56:57]
	;; [unrolled: 1-line block ×3, first 2 shown]
	v_cvt_f64_f32_e32 v[14:15], v8
	v_cvt_f64_f32_e32 v[8:9], v9
	v_fmac_f64_e32 v[64:65], v[14:15], v[56:57]
	v_fma_f64 v[60:61], -v[16:17], v[58:59], v[60:61]
	v_fma_f64 v[16:17], -v[8:9], v[58:59], v[64:65]
	v_fmac_f64_e32 v[40:41], v[8:9], v[56:57]
	v_cvt_f64_f32_e32 v[8:9], v10
	v_cvt_f64_f32_e32 v[10:11], v11
	v_fmac_f64_e32 v[38:39], v[10:11], v[56:57]
	v_fmac_f64_e32 v[66:67], v[8:9], v[56:57]
	;; [unrolled: 1-line block ×3, first 2 shown]
	v_cvt_f64_f32_e32 v[8:9], v4
	v_fmac_f64_e32 v[46:47], v[68:69], v[58:59]
	v_cvt_f64_f32_e32 v[4:5], v5
	v_fmac_f64_e32 v[26:27], v[8:9], v[22:23]
	v_fma_f64 v[26:27], -v[4:5], v[24:25], v[26:27]
	v_fmac_f64_e32 v[46:47], v[4:5], v[22:23]
	v_cvt_f64_f32_e32 v[4:5], v6
	v_cvt_f64_f32_e32 v[6:7], v7
	v_fmac_f64_e32 v[42:43], v[6:7], v[22:23]
	v_fmac_f64_e32 v[60:61], v[4:5], v[22:23]
	;; [unrolled: 1-line block ×3, first 2 shown]
	v_cvt_f64_f32_e32 v[4:5], v0
	v_fmac_f64_e32 v[40:41], v[14:15], v[58:59]
	v_cvt_f64_f32_e32 v[0:1], v1
	v_fmac_f64_e32 v[16:17], v[4:5], v[22:23]
	v_fma_f64 v[14:15], -v[10:11], v[58:59], v[66:67]
	v_fma_f64 v[58:59], -v[0:1], v[24:25], v[16:17]
	v_fmac_f64_e32 v[40:41], v[0:1], v[22:23]
	v_cvt_f64_f32_e32 v[0:1], v2
	v_cvt_f64_f32_e32 v[2:3], v3
	v_fmac_f64_e32 v[14:15], v[0:1], v[22:23]
	v_fmac_f64_e32 v[38:39], v[2:3], v[22:23]
	;; [unrolled: 1-line block ×3, first 2 shown]
	v_fma_f64 v[56:57], -v[6:7], v[24:25], v[60:61]
	v_fmac_f64_e32 v[40:41], v[4:5], v[24:25]
	v_fma_f64 v[60:61], -v[2:3], v[24:25], v[14:15]
	v_fmac_f64_e32 v[38:39], v[0:1], v[24:25]
	global_load_dwordx4 v[0:3], v[48:49], off offset:2160
	global_load_dwordx4 v[4:7], v[48:49], off offset:2144
	;; [unrolled: 1-line block ×4, first 2 shown]
	s_waitcnt vmcnt(0)
	v_cvt_f64_f32_e32 v[22:23], v14
	v_cvt_f64_f32_e32 v[14:15], v15
	v_fmac_f64_e32 v[26:27], v[22:23], v[18:19]
	v_fma_f64 v[24:25], -v[14:15], v[20:21], v[26:27]
	v_fmac_f64_e32 v[46:47], v[14:15], v[18:19]
	v_cvt_f64_f32_e32 v[14:15], v16
	v_cvt_f64_f32_e32 v[16:17], v17
	v_fmac_f64_e32 v[42:43], v[16:17], v[18:19]
	v_fmac_f64_e32 v[56:57], v[14:15], v[18:19]
	;; [unrolled: 1-line block ×3, first 2 shown]
	v_cvt_f64_f32_e32 v[14:15], v8
	v_cvt_f64_f32_e32 v[8:9], v9
	v_fmac_f64_e32 v[58:59], v[14:15], v[18:19]
	v_fmac_f64_e32 v[46:47], v[22:23], v[20:21]
	v_fma_f64 v[22:23], -v[16:17], v[20:21], v[56:57]
	v_fma_f64 v[16:17], -v[8:9], v[20:21], v[58:59]
	v_fmac_f64_e32 v[40:41], v[8:9], v[18:19]
	v_cvt_f64_f32_e32 v[8:9], v10
	v_cvt_f64_f32_e32 v[10:11], v11
	v_fmac_f64_e32 v[38:39], v[10:11], v[18:19]
	v_fmac_f64_e32 v[60:61], v[8:9], v[18:19]
	;; [unrolled: 1-line block ×3, first 2 shown]
	v_cvt_f64_f32_e32 v[8:9], v4
	v_cvt_f64_f32_e32 v[4:5], v5
	v_fmac_f64_e32 v[24:25], v[8:9], v[52:53]
	v_fma_f64 v[26:27], -v[4:5], v[54:55], v[24:25]
	v_fmac_f64_e32 v[46:47], v[4:5], v[52:53]
	v_cvt_f64_f32_e32 v[4:5], v6
	v_cvt_f64_f32_e32 v[6:7], v7
	v_fmac_f64_e32 v[42:43], v[6:7], v[52:53]
	v_fmac_f64_e32 v[22:23], v[4:5], v[52:53]
	;; [unrolled: 1-line block ×3, first 2 shown]
	v_cvt_f64_f32_e32 v[4:5], v0
	v_fmac_f64_e32 v[40:41], v[14:15], v[20:21]
	v_cvt_f64_f32_e32 v[0:1], v1
	v_fmac_f64_e32 v[16:17], v[4:5], v[52:53]
	v_fma_f64 v[24:25], -v[6:7], v[54:55], v[22:23]
	v_fma_f64 v[22:23], -v[0:1], v[54:55], v[16:17]
	v_fmac_f64_e32 v[40:41], v[0:1], v[52:53]
	v_cvt_f64_f32_e32 v[0:1], v2
	v_cvt_f64_f32_e32 v[2:3], v3
	v_fma_f64 v[14:15], -v[10:11], v[20:21], v[60:61]
	v_fmac_f64_e32 v[38:39], v[2:3], v[52:53]
	v_fmac_f64_e32 v[14:15], v[0:1], v[52:53]
	;; [unrolled: 1-line block ×3, first 2 shown]
	global_load_dword v0, v[12:13], off offset:96
	v_fmac_f64_e32 v[46:47], v[8:9], v[54:55]
	v_fmac_f64_e32 v[40:41], v[4:5], v[54:55]
	v_fma_f64 v[20:21], -v[2:3], v[54:55], v[14:15]
	s_waitcnt vmcnt(0)
	v_subrev_u32_e32 v0, s20, v0
	v_lshlrev_b32_e32 v12, 2, v0
	v_ashrrev_i32_e32 v13, 31, v12
	v_lshlrev_b64 v[12:13], 4, v[12:13]
	v_add_co_u32_e32 v68, vcc, s4, v12
	global_load_dwordx4 v[0:3], v[48:49], off offset:3120
	global_load_dwordx4 v[4:7], v[48:49], off offset:3104
	;; [unrolled: 1-line block ×4, first 2 shown]
	v_addc_co_u32_e32 v69, vcc, v51, v13, vcc
	global_load_dwordx4 v[12:15], v[68:69], off offset:48
	global_load_dwordx4 v[16:19], v[68:69], off offset:32
	;; [unrolled: 1-line block ×3, first 2 shown]
	global_load_dwordx4 v[64:67], v[68:69], off
	s_waitcnt vmcnt(4)
	v_cvt_f64_f32_e32 v[60:61], v52
	v_cvt_f64_f32_e32 v[52:53], v53
	s_waitcnt vmcnt(0)
	v_fmac_f64_e32 v[26:27], v[60:61], v[64:65]
	v_fma_f64 v[26:27], -v[52:53], v[66:67], v[26:27]
	v_fmac_f64_e32 v[46:47], v[52:53], v[64:65]
	v_cvt_f64_f32_e32 v[52:53], v54
	v_cvt_f64_f32_e32 v[54:55], v55
	v_fmac_f64_e32 v[42:43], v[54:55], v[64:65]
	v_fmac_f64_e32 v[24:25], v[52:53], v[64:65]
	;; [unrolled: 1-line block ×3, first 2 shown]
	v_cvt_f64_f32_e32 v[52:53], v8
	v_cvt_f64_f32_e32 v[8:9], v9
	v_fmac_f64_e32 v[22:23], v[52:53], v[64:65]
	v_fma_f64 v[22:23], -v[8:9], v[66:67], v[22:23]
	v_fmac_f64_e32 v[40:41], v[8:9], v[64:65]
	v_cvt_f64_f32_e32 v[8:9], v10
	v_cvt_f64_f32_e32 v[10:11], v11
	v_fmac_f64_e32 v[38:39], v[10:11], v[64:65]
	v_fmac_f64_e32 v[20:21], v[8:9], v[64:65]
	;; [unrolled: 1-line block ×3, first 2 shown]
	v_cvt_f64_f32_e32 v[8:9], v4
	v_fmac_f64_e32 v[46:47], v[60:61], v[66:67]
	v_cvt_f64_f32_e32 v[4:5], v5
	v_fmac_f64_e32 v[26:27], v[8:9], v[56:57]
	v_fma_f64 v[26:27], -v[4:5], v[58:59], v[26:27]
	v_fmac_f64_e32 v[46:47], v[4:5], v[56:57]
	v_cvt_f64_f32_e32 v[4:5], v6
	v_cvt_f64_f32_e32 v[6:7], v7
	v_fma_f64 v[24:25], -v[54:55], v[66:67], v[24:25]
	v_fmac_f64_e32 v[42:43], v[6:7], v[56:57]
	v_fmac_f64_e32 v[24:25], v[4:5], v[56:57]
	;; [unrolled: 1-line block ×3, first 2 shown]
	v_cvt_f64_f32_e32 v[4:5], v0
	v_fmac_f64_e32 v[40:41], v[52:53], v[66:67]
	v_cvt_f64_f32_e32 v[0:1], v1
	v_fmac_f64_e32 v[22:23], v[4:5], v[56:57]
	v_fma_f64 v[20:21], -v[10:11], v[66:67], v[20:21]
	v_fma_f64 v[52:53], -v[0:1], v[58:59], v[22:23]
	v_fmac_f64_e32 v[40:41], v[0:1], v[56:57]
	v_cvt_f64_f32_e32 v[0:1], v2
	v_cvt_f64_f32_e32 v[2:3], v3
	v_fmac_f64_e32 v[20:21], v[0:1], v[56:57]
	v_fmac_f64_e32 v[38:39], v[2:3], v[56:57]
	;; [unrolled: 1-line block ×3, first 2 shown]
	v_fma_f64 v[24:25], -v[6:7], v[58:59], v[24:25]
	v_fmac_f64_e32 v[40:41], v[4:5], v[58:59]
	v_fma_f64 v[54:55], -v[2:3], v[58:59], v[20:21]
	v_fmac_f64_e32 v[38:39], v[0:1], v[58:59]
	global_load_dwordx4 v[0:3], v[48:49], off offset:3184
	global_load_dwordx4 v[4:7], v[48:49], off offset:3168
	;; [unrolled: 1-line block ×4, first 2 shown]
	v_add_co_u32_e32 v48, vcc, 0x1000, v48
	v_addc_co_u32_e32 v49, vcc, 0, v49, vcc
	v_cmp_ge_i32_e32 vcc, v44, v62
	s_or_b64 s[8:9], vcc, s[8:9]
	s_waitcnt vmcnt(0)
	v_cvt_f64_f32_e32 v[56:57], v20
	v_cvt_f64_f32_e32 v[20:21], v21
	v_fmac_f64_e32 v[26:27], v[56:57], v[16:17]
	v_fma_f64 v[26:27], -v[20:21], v[18:19], v[26:27]
	v_fmac_f64_e32 v[46:47], v[20:21], v[16:17]
	v_cvt_f64_f32_e32 v[20:21], v22
	v_cvt_f64_f32_e32 v[22:23], v23
	v_fmac_f64_e32 v[42:43], v[22:23], v[16:17]
	v_fmac_f64_e32 v[24:25], v[20:21], v[16:17]
	;; [unrolled: 1-line block ×3, first 2 shown]
	v_cvt_f64_f32_e32 v[20:21], v8
	v_cvt_f64_f32_e32 v[8:9], v9
	v_fmac_f64_e32 v[52:53], v[20:21], v[16:17]
	v_fma_f64 v[24:25], -v[22:23], v[18:19], v[24:25]
	v_fma_f64 v[22:23], -v[8:9], v[18:19], v[52:53]
	v_fmac_f64_e32 v[40:41], v[8:9], v[16:17]
	v_cvt_f64_f32_e32 v[8:9], v10
	v_cvt_f64_f32_e32 v[10:11], v11
	v_fmac_f64_e32 v[38:39], v[10:11], v[16:17]
	v_fmac_f64_e32 v[54:55], v[8:9], v[16:17]
	;; [unrolled: 1-line block ×3, first 2 shown]
	v_cvt_f64_f32_e32 v[8:9], v4
	v_fmac_f64_e32 v[46:47], v[56:57], v[18:19]
	v_cvt_f64_f32_e32 v[4:5], v5
	v_fmac_f64_e32 v[26:27], v[8:9], v[12:13]
	v_fmac_f64_e32 v[40:41], v[20:21], v[18:19]
	v_fma_f64 v[20:21], -v[10:11], v[18:19], v[54:55]
	v_fma_f64 v[54:55], -v[4:5], v[14:15], v[26:27]
	v_fmac_f64_e32 v[46:47], v[4:5], v[12:13]
	v_cvt_f64_f32_e32 v[4:5], v6
	v_cvt_f64_f32_e32 v[6:7], v7
	v_fmac_f64_e32 v[42:43], v[6:7], v[12:13]
	v_fmac_f64_e32 v[24:25], v[4:5], v[12:13]
	;; [unrolled: 1-line block ×3, first 2 shown]
	v_cvt_f64_f32_e32 v[4:5], v0
	v_cvt_f64_f32_e32 v[0:1], v1
	v_fmac_f64_e32 v[22:23], v[4:5], v[12:13]
	v_fma_f64 v[56:57], -v[0:1], v[14:15], v[22:23]
	v_fmac_f64_e32 v[40:41], v[0:1], v[12:13]
	v_cvt_f64_f32_e32 v[0:1], v2
	v_cvt_f64_f32_e32 v[2:3], v3
	v_fmac_f64_e32 v[20:21], v[0:1], v[12:13]
	v_fmac_f64_e32 v[38:39], v[2:3], v[12:13]
	;; [unrolled: 1-line block ×3, first 2 shown]
	v_fma_f64 v[58:59], -v[6:7], v[14:15], v[24:25]
	v_fmac_f64_e32 v[40:41], v[4:5], v[14:15]
	v_fma_f64 v[16:17], -v[2:3], v[14:15], v[20:21]
	v_fmac_f64_e32 v[38:39], v[0:1], v[14:15]
	s_andn2_b64 exec, exec, s[8:9]
	s_cbranch_execnz .LBB166_35
; %bb.36:
	s_or_b64 exec, exec, s[8:9]
.LBB166_37:
	s_or_b64 exec, exec, s[0:1]
.LBB166_38:
	s_or_b64 exec, exec, s[2:3]
.LBB166_39:
	v_mov_b32_dpp v22, v40 row_shr:1 row_mask:0xf bank_mask:0xf
	v_mov_b32_dpp v23, v41 row_shr:1 row_mask:0xf bank_mask:0xf
	;; [unrolled: 1-line block ×12, first 2 shown]
	v_add_f64 v[22:23], v[40:41], v[22:23]
	v_mov_b32_dpp v26, v16 row_shr:1 row_mask:0xf bank_mask:0xf
	v_mov_b32_dpp v27, v17 row_shr:1 row_mask:0xf bank_mask:0xf
	;; [unrolled: 1-line block ×4, first 2 shown]
	v_add_f64 v[0:1], v[54:55], v[0:1]
	v_add_f64 v[4:5], v[46:47], v[4:5]
	;; [unrolled: 1-line block ×7, first 2 shown]
	v_mov_b32_dpp v2, v0 row_shr:2 row_mask:0xf bank_mask:0xf
	v_mov_b32_dpp v3, v1 row_shr:2 row_mask:0xf bank_mask:0xf
	;; [unrolled: 1-line block ×16, first 2 shown]
	v_add_f64 v[0:1], v[0:1], v[2:3]
	v_add_f64 v[4:5], v[4:5], v[6:7]
	;; [unrolled: 1-line block ×8, first 2 shown]
	v_mov_b32_dpp v2, v0 row_shr:4 row_mask:0xf bank_mask:0xe
	v_mov_b32_dpp v3, v1 row_shr:4 row_mask:0xf bank_mask:0xe
	;; [unrolled: 1-line block ×16, first 2 shown]
	v_cmp_eq_u32_e32 vcc, 7, v37
	s_and_b64 exec, exec, vcc
	s_cbranch_execz .LBB166_12
; %bb.40:
	s_load_dwordx2 s[2:3], s[6:7], 0x60
	v_add_f64 v[42:43], v[0:1], v[2:3]
	v_add_f64 v[0:1], v[4:5], v[6:7]
	;; [unrolled: 1-line block ×8, first 2 shown]
	v_cmp_eq_f64_e32 vcc, 0, v[28:29]
	v_cmp_eq_f64_e64 s[0:1], 0, v[30:31]
	v_mul_f64 v[12:13], v[0:1], -v[34:35]
	v_mul_f64 v[14:15], v[32:33], v[0:1]
	v_mul_f64 v[8:9], v[2:3], -v[34:35]
	v_mul_f64 v[10:11], v[32:33], v[2:3]
	;; [unrolled: 2-line block ×4, first 2 shown]
	s_and_b64 s[0:1], vcc, s[0:1]
	v_fmac_f64_e32 v[12:13], v[32:33], v[42:43]
	v_fmac_f64_e32 v[14:15], v[34:35], v[42:43]
	v_lshlrev_b32_e32 v16, 2, v36
	v_fmac_f64_e32 v[8:9], v[32:33], v[44:45]
	v_fmac_f64_e32 v[10:11], v[34:35], v[44:45]
	v_fmac_f64_e32 v[4:5], v[32:33], v[18:19]
	v_fmac_f64_e32 v[6:7], v[34:35], v[18:19]
	v_fmac_f64_e32 v[0:1], v[32:33], v[20:21]
	v_fmac_f64_e32 v[2:3], v[34:35], v[20:21]
	s_and_saveexec_b64 s[4:5], s[0:1]
	s_xor_b64 s[0:1], exec, s[4:5]
	s_cbranch_execz .LBB166_42
; %bb.41:
	v_ashrrev_i32_e32 v17, 31, v16
	v_lshlrev_b64 v[16:17], 4, v[16:17]
	s_waitcnt lgkmcnt(0)
	v_mov_b32_e32 v18, s3
	v_add_co_u32_e32 v16, vcc, s2, v16
	v_addc_co_u32_e32 v17, vcc, v18, v17, vcc
	global_store_dwordx4 v[16:17], v[12:15], off
	global_store_dwordx4 v[16:17], v[8:11], off offset:16
	global_store_dwordx4 v[16:17], v[4:7], off offset:32
	;; [unrolled: 1-line block ×3, first 2 shown]
                                        ; implicit-def: $vgpr28_vgpr29
                                        ; implicit-def: $vgpr30_vgpr31
                                        ; implicit-def: $vgpr12_vgpr13
                                        ; implicit-def: $vgpr16
                                        ; implicit-def: $vgpr8_vgpr9
                                        ; implicit-def: $vgpr4_vgpr5
                                        ; implicit-def: $vgpr0_vgpr1
.LBB166_42:
	s_andn2_saveexec_b64 s[0:1], s[0:1]
	s_cbranch_execz .LBB166_12
; %bb.43:
	v_ashrrev_i32_e32 v17, 31, v16
	v_lshlrev_b64 v[16:17], 4, v[16:17]
	s_waitcnt lgkmcnt(0)
	v_mov_b32_e32 v18, s3
	v_add_co_u32_e32 v36, vcc, s2, v16
	v_addc_co_u32_e32 v37, vcc, v18, v17, vcc
	global_load_dwordx4 v[16:19], v[36:37], off
	global_load_dwordx4 v[20:23], v[36:37], off offset:16
	global_load_dwordx4 v[24:27], v[36:37], off offset:32
	;; [unrolled: 1-line block ×3, first 2 shown]
	s_waitcnt vmcnt(3)
	v_fmac_f64_e32 v[12:13], v[28:29], v[16:17]
	v_fmac_f64_e32 v[14:15], v[30:31], v[16:17]
	s_waitcnt vmcnt(2)
	v_fmac_f64_e32 v[8:9], v[28:29], v[20:21]
	v_fmac_f64_e32 v[10:11], v[30:31], v[20:21]
	;; [unrolled: 3-line block ×4, first 2 shown]
	v_fma_f64 v[12:13], -v[30:31], v[18:19], v[12:13]
	v_fmac_f64_e32 v[14:15], v[28:29], v[18:19]
	v_fma_f64 v[8:9], -v[30:31], v[22:23], v[8:9]
	v_fmac_f64_e32 v[10:11], v[28:29], v[22:23]
	;; [unrolled: 2-line block ×4, first 2 shown]
	global_store_dwordx4 v[36:37], v[12:15], off
	global_store_dwordx4 v[36:37], v[8:11], off offset:16
	global_store_dwordx4 v[36:37], v[4:7], off offset:32
	;; [unrolled: 1-line block ×3, first 2 shown]
	s_endpgm
	.section	.rodata,"a",@progbits
	.p2align	6, 0x0
	.amdhsa_kernel _ZN9rocsparseL18bsrxmvn_4x4_kernelILj128ELj8E21rocsparse_complex_numIdEiiS1_IfES2_S2_EEvT3_20rocsparse_direction_NS_24const_host_device_scalarIT1_EES4_PKS4_PKT2_SD_SA_PKT4_PKT5_S8_PT6_21rocsparse_index_base_b
		.amdhsa_group_segment_fixed_size 2048
		.amdhsa_private_segment_fixed_size 0
		.amdhsa_kernarg_size 112
		.amdhsa_user_sgpr_count 8
		.amdhsa_user_sgpr_private_segment_buffer 1
		.amdhsa_user_sgpr_dispatch_ptr 1
		.amdhsa_user_sgpr_queue_ptr 0
		.amdhsa_user_sgpr_kernarg_segment_ptr 1
		.amdhsa_user_sgpr_dispatch_id 0
		.amdhsa_user_sgpr_flat_scratch_init 0
		.amdhsa_user_sgpr_kernarg_preload_length 0
		.amdhsa_user_sgpr_kernarg_preload_offset 0
		.amdhsa_user_sgpr_private_segment_size 0
		.amdhsa_uses_dynamic_stack 0
		.amdhsa_system_sgpr_private_segment_wavefront_offset 0
		.amdhsa_system_sgpr_workgroup_id_x 1
		.amdhsa_system_sgpr_workgroup_id_y 0
		.amdhsa_system_sgpr_workgroup_id_z 0
		.amdhsa_system_sgpr_workgroup_info 0
		.amdhsa_system_vgpr_workitem_id 2
		.amdhsa_next_free_vgpr 120
		.amdhsa_next_free_sgpr 22
		.amdhsa_accum_offset 120
		.amdhsa_reserve_vcc 1
		.amdhsa_reserve_flat_scratch 0
		.amdhsa_float_round_mode_32 0
		.amdhsa_float_round_mode_16_64 0
		.amdhsa_float_denorm_mode_32 3
		.amdhsa_float_denorm_mode_16_64 3
		.amdhsa_dx10_clamp 1
		.amdhsa_ieee_mode 1
		.amdhsa_fp16_overflow 0
		.amdhsa_tg_split 0
		.amdhsa_exception_fp_ieee_invalid_op 0
		.amdhsa_exception_fp_denorm_src 0
		.amdhsa_exception_fp_ieee_div_zero 0
		.amdhsa_exception_fp_ieee_overflow 0
		.amdhsa_exception_fp_ieee_underflow 0
		.amdhsa_exception_fp_ieee_inexact 0
		.amdhsa_exception_int_div_zero 0
	.end_amdhsa_kernel
	.section	.text._ZN9rocsparseL18bsrxmvn_4x4_kernelILj128ELj8E21rocsparse_complex_numIdEiiS1_IfES2_S2_EEvT3_20rocsparse_direction_NS_24const_host_device_scalarIT1_EES4_PKS4_PKT2_SD_SA_PKT4_PKT5_S8_PT6_21rocsparse_index_base_b,"axG",@progbits,_ZN9rocsparseL18bsrxmvn_4x4_kernelILj128ELj8E21rocsparse_complex_numIdEiiS1_IfES2_S2_EEvT3_20rocsparse_direction_NS_24const_host_device_scalarIT1_EES4_PKS4_PKT2_SD_SA_PKT4_PKT5_S8_PT6_21rocsparse_index_base_b,comdat
.Lfunc_end166:
	.size	_ZN9rocsparseL18bsrxmvn_4x4_kernelILj128ELj8E21rocsparse_complex_numIdEiiS1_IfES2_S2_EEvT3_20rocsparse_direction_NS_24const_host_device_scalarIT1_EES4_PKS4_PKT2_SD_SA_PKT4_PKT5_S8_PT6_21rocsparse_index_base_b, .Lfunc_end166-_ZN9rocsparseL18bsrxmvn_4x4_kernelILj128ELj8E21rocsparse_complex_numIdEiiS1_IfES2_S2_EEvT3_20rocsparse_direction_NS_24const_host_device_scalarIT1_EES4_PKS4_PKT2_SD_SA_PKT4_PKT5_S8_PT6_21rocsparse_index_base_b
                                        ; -- End function
	.section	.AMDGPU.csdata,"",@progbits
; Kernel info:
; codeLenInByte = 8532
; NumSgprs: 26
; NumVgprs: 120
; NumAgprs: 0
; TotalNumVgprs: 120
; ScratchSize: 0
; MemoryBound: 0
; FloatMode: 240
; IeeeMode: 1
; LDSByteSize: 2048 bytes/workgroup (compile time only)
; SGPRBlocks: 3
; VGPRBlocks: 14
; NumSGPRsForWavesPerEU: 26
; NumVGPRsForWavesPerEU: 120
; AccumOffset: 120
; Occupancy: 4
; WaveLimiterHint : 1
; COMPUTE_PGM_RSRC2:SCRATCH_EN: 0
; COMPUTE_PGM_RSRC2:USER_SGPR: 8
; COMPUTE_PGM_RSRC2:TRAP_HANDLER: 0
; COMPUTE_PGM_RSRC2:TGID_X_EN: 1
; COMPUTE_PGM_RSRC2:TGID_Y_EN: 0
; COMPUTE_PGM_RSRC2:TGID_Z_EN: 0
; COMPUTE_PGM_RSRC2:TIDIG_COMP_CNT: 2
; COMPUTE_PGM_RSRC3_GFX90A:ACCUM_OFFSET: 29
; COMPUTE_PGM_RSRC3_GFX90A:TG_SPLIT: 0
	.section	.text._ZN9rocsparseL18bsrxmvn_4x4_kernelILj128ELj16E21rocsparse_complex_numIdEiiS1_IfES2_S2_EEvT3_20rocsparse_direction_NS_24const_host_device_scalarIT1_EES4_PKS4_PKT2_SD_SA_PKT4_PKT5_S8_PT6_21rocsparse_index_base_b,"axG",@progbits,_ZN9rocsparseL18bsrxmvn_4x4_kernelILj128ELj16E21rocsparse_complex_numIdEiiS1_IfES2_S2_EEvT3_20rocsparse_direction_NS_24const_host_device_scalarIT1_EES4_PKS4_PKT2_SD_SA_PKT4_PKT5_S8_PT6_21rocsparse_index_base_b,comdat
	.globl	_ZN9rocsparseL18bsrxmvn_4x4_kernelILj128ELj16E21rocsparse_complex_numIdEiiS1_IfES2_S2_EEvT3_20rocsparse_direction_NS_24const_host_device_scalarIT1_EES4_PKS4_PKT2_SD_SA_PKT4_PKT5_S8_PT6_21rocsparse_index_base_b ; -- Begin function _ZN9rocsparseL18bsrxmvn_4x4_kernelILj128ELj16E21rocsparse_complex_numIdEiiS1_IfES2_S2_EEvT3_20rocsparse_direction_NS_24const_host_device_scalarIT1_EES4_PKS4_PKT2_SD_SA_PKT4_PKT5_S8_PT6_21rocsparse_index_base_b
	.p2align	8
	.type	_ZN9rocsparseL18bsrxmvn_4x4_kernelILj128ELj16E21rocsparse_complex_numIdEiiS1_IfES2_S2_EEvT3_20rocsparse_direction_NS_24const_host_device_scalarIT1_EES4_PKS4_PKT2_SD_SA_PKT4_PKT5_S8_PT6_21rocsparse_index_base_b,@function
_ZN9rocsparseL18bsrxmvn_4x4_kernelILj128ELj16E21rocsparse_complex_numIdEiiS1_IfES2_S2_EEvT3_20rocsparse_direction_NS_24const_host_device_scalarIT1_EES4_PKS4_PKT2_SD_SA_PKT4_PKT5_S8_PT6_21rocsparse_index_base_b: ; @_ZN9rocsparseL18bsrxmvn_4x4_kernelILj128ELj16E21rocsparse_complex_numIdEiiS1_IfES2_S2_EEvT3_20rocsparse_direction_NS_24const_host_device_scalarIT1_EES4_PKS4_PKT2_SD_SA_PKT4_PKT5_S8_PT6_21rocsparse_index_base_b
; %bb.0:
	s_load_dwordx2 s[20:21], s[6:7], 0x68
	s_load_dwordx4 s[12:15], s[6:7], 0x8
	s_load_dwordx2 s[10:11], s[4:5], 0x4
	s_load_dwordx4 s[16:19], s[6:7], 0x50
	s_mov_b64 s[2:3], src_shared_base
	v_bfe_u32 v2, v0, 10, 10
	s_waitcnt lgkmcnt(0)
	s_bitcmp1_b32 s21, 0
	s_cselect_b64 s[0:1], -1, 0
	s_and_b64 vcc, s[0:1], exec
	s_cselect_b32 s2, s3, s13
	s_lshr_b32 s4, s10, 16
	v_and_b32_e32 v1, 0x3ff, v0
	s_mul_i32 s4, s4, s11
	v_mul_u32_u24_e32 v2, s11, v2
	v_mad_u32_u24 v2, s4, v1, v2
	v_bfe_u32 v0, v0, 20, 10
	v_add_lshl_u32 v0, v2, v0, 3
	v_mov_b32_e32 v6, s12
	v_add_u32_e32 v7, 0x400, v0
	v_pk_mov_b32 v[2:3], s[12:13], s[12:13] op_sel:[0,1]
	v_pk_mov_b32 v[4:5], s[16:17], s[16:17] op_sel:[0,1]
	ds_write2st64_b64 v0, v[4:5], v[2:3] offset1:2
	v_cndmask_b32_e64 v2, v6, v7, s[0:1]
	v_mov_b32_e32 v3, s2
	flat_load_dwordx2 v[32:33], v[2:3]
	s_xor_b64 s[4:5], s[0:1], -1
	v_pk_mov_b32 v[34:35], s[14:15], s[14:15] op_sel:[0,1]
	s_cbranch_vccnz .LBB167_2
; %bb.1:
	v_pk_mov_b32 v[2:3], s[12:13], s[12:13] op_sel:[0,1]
	flat_load_dwordx2 v[34:35], v[2:3] offset:8
.LBB167_2:
	s_and_b64 s[10:11], s[0:1], exec
	s_cselect_b32 s2, s3, s17
	v_mov_b32_e32 v2, s16
	v_cndmask_b32_e64 v2, v2, v0, s[0:1]
	v_mov_b32_e32 v3, s2
	flat_load_dwordx2 v[28:29], v[2:3]
	s_andn2_b64 vcc, exec, s[4:5]
	v_pk_mov_b32 v[30:31], s[18:19], s[18:19] op_sel:[0,1]
	s_cbranch_vccnz .LBB167_4
; %bb.3:
	v_pk_mov_b32 v[2:3], s[16:17], s[16:17] op_sel:[0,1]
	flat_load_dwordx2 v[30:31], v[2:3] offset:8
.LBB167_4:
	s_waitcnt vmcnt(0) lgkmcnt(0)
	v_cmp_eq_f64_e32 vcc, 0, v[32:33]
	v_cmp_eq_f64_e64 s[0:1], 0, v[34:35]
	s_and_b64 s[4:5], vcc, s[0:1]
	s_mov_b64 s[0:1], -1
	s_and_saveexec_b64 s[2:3], s[4:5]
; %bb.5:
	v_cmp_neq_f64_e32 vcc, 1.0, v[28:29]
	v_cmp_neq_f64_e64 s[0:1], 0, v[30:31]
	s_or_b64 s[0:1], vcc, s[0:1]
	s_orn2_b64 s[0:1], s[0:1], exec
; %bb.6:
	s_or_b64 exec, exec, s[2:3]
	s_and_saveexec_b64 s[2:3], s[0:1]
	s_cbranch_execz .LBB167_12
; %bb.7:
	s_load_dwordx2 s[4:5], s[6:7], 0x20
	s_load_dwordx2 s[0:1], s[6:7], 0x0
	v_lshrrev_b32_e32 v0, 4, v1
	v_lshl_or_b32 v36, s8, 3, v0
	s_mov_b64 s[2:3], 0
	s_waitcnt lgkmcnt(0)
	s_cmp_lg_u64 s[4:5], 0
	s_cbranch_scc0 .LBB167_13
; %bb.8:
	s_load_dword s8, s[6:7], 0x18
                                        ; implicit-def: $vgpr0
	s_waitcnt lgkmcnt(0)
	v_cmp_gt_i32_e32 vcc, s8, v36
	s_and_saveexec_b64 s[8:9], vcc
	s_xor_b64 s[8:9], exec, s[8:9]
	s_cbranch_execz .LBB167_10
; %bb.9:
	v_ashrrev_i32_e32 v37, 31, v36
	v_lshlrev_b64 v[2:3], 2, v[36:37]
	v_mov_b32_e32 v0, s5
	v_add_co_u32_e32 v2, vcc, s4, v2
	v_addc_co_u32_e32 v3, vcc, v0, v3, vcc
	global_load_dword v0, v[2:3], off
	s_mov_b64 s[2:3], exec
	s_waitcnt vmcnt(0)
	v_subrev_u32_e32 v0, s20, v0
.LBB167_10:
	s_or_b64 exec, exec, s[8:9]
	s_branch .LBB167_14
.LBB167_11:
	v_cmp_gt_i32_e32 vcc, s0, v36
	s_andn2_b64 s[2:3], s[2:3], exec
	s_and_b64 s[4:5], vcc, exec
	s_or_b64 s[2:3], s[2:3], s[4:5]
	s_and_b64 exec, exec, s[2:3]
	s_cbranch_execnz .LBB167_15
.LBB167_12:
	s_endpgm
.LBB167_13:
                                        ; implicit-def: $vgpr0
	s_cbranch_execnz .LBB167_11
.LBB167_14:
	v_mov_b32_e32 v36, v0
	s_and_b64 exec, exec, s[2:3]
	s_cbranch_execz .LBB167_12
.LBB167_15:
	s_load_dwordx8 s[8:15], s[6:7], 0x28
	v_ashrrev_i32_e32 v37, 31, v36
	v_lshlrev_b64 v[2:3], 2, v[36:37]
	v_and_b32_e32 v37, 15, v1
	s_load_dwordx2 s[4:5], s[6:7], 0x48
	s_waitcnt lgkmcnt(0)
	v_mov_b32_e32 v0, s9
	v_add_co_u32_e32 v4, vcc, s8, v2
	v_addc_co_u32_e32 v5, vcc, v0, v3, vcc
	v_add_co_u32_e32 v0, vcc, 4, v4
	global_load_dword v65, v[4:5], off
	v_addc_co_u32_e32 v4, vcc, 0, v5, vcc
	v_mov_b32_e32 v5, s11
	v_add_co_u32_e32 v2, vcc, s10, v2
	s_cmp_eq_u64 s[10:11], 0
	v_addc_co_u32_e32 v3, vcc, v5, v3, vcc
	s_cselect_b64 vcc, -1, 0
	v_cndmask_b32_e32 v3, v3, v4, vcc
	v_cndmask_b32_e32 v2, v2, v0, vcc
	global_load_dword v0, v[2:3], off
	v_mov_b32_e32 v2, s15
	s_cmp_eq_u32 s1, 1
	s_waitcnt vmcnt(1)
	v_subrev_u32_e32 v1, s20, v65
	v_add_u32_e32 v46, v1, v37
	v_ashrrev_i32_e32 v47, 31, v46
	s_waitcnt vmcnt(0)
	v_subrev_u32_e32 v64, s20, v0
	v_lshlrev_b64 v[0:1], 7, v[46:47]
	v_add_co_u32_e32 v48, vcc, s14, v0
	v_addc_co_u32_e32 v49, vcc, v2, v1, vcc
	v_cmp_lt_i32_e64 s[0:1], v46, v64
	s_cbranch_scc1 .LBB167_27
; %bb.16:
	v_pk_mov_b32 v[44:45], 0, 0
	s_mov_b64 s[8:9], 0
	v_pk_mov_b32 v[56:57], v[44:45], v[44:45] op_sel:[0,1]
	v_pk_mov_b32 v[42:43], v[44:45], v[44:45] op_sel:[0,1]
	;; [unrolled: 1-line block ×7, first 2 shown]
	s_and_saveexec_b64 s[10:11], s[0:1]
	s_cbranch_execz .LBB167_26
; %bb.17:
	v_add_u32_e32 v0, v65, v37
	v_subrev_u32_e32 v0, s20, v0
	v_add_u32_e32 v0, 16, v0
	v_max_i32_e32 v0, v0, v64
	v_not_b32_e32 v1, v65
	v_add3_u32 v0, v0, s20, v1
	v_sub_u32_e32 v12, v0, v37
	v_lshrrev_b32_e32 v0, 4, v12
	v_add_u32_e32 v0, 1, v0
	v_and_b32_e32 v0, 3, v0
	v_pk_mov_b32 v[16:17], 0, 0
	v_cmp_ne_u32_e32 vcc, 0, v0
	v_pk_mov_b32 v[38:39], v[16:17], v[16:17] op_sel:[0,1]
	v_pk_mov_b32 v[54:55], v[16:17], v[16:17] op_sel:[0,1]
	;; [unrolled: 1-line block ×8, first 2 shown]
	v_mov_b32_e32 v50, v46
	s_and_saveexec_b64 s[14:15], vcc
	s_cbranch_execz .LBB167_21
; %bb.18:
	v_pk_mov_b32 v[44:45], 0, 0
	v_lshlrev_b32_e32 v13, 7, v0
	s_mov_b64 s[16:17], 0
	v_mov_b32_e32 v14, s13
	v_mov_b32_e32 v15, s5
	;; [unrolled: 1-line block ×3, first 2 shown]
	v_pk_mov_b32 v[52:53], v[48:49], v[48:49] op_sel:[0,1]
	v_pk_mov_b32 v[56:57], v[44:45], v[44:45] op_sel:[0,1]
	;; [unrolled: 1-line block ×8, first 2 shown]
.LBB167_19:                             ; =>This Inner Loop Header: Depth=1
	v_ashrrev_i32_e32 v51, 31, v50
	v_lshlrev_b64 v[26:27], 2, v[50:51]
	v_add_co_u32_e64 v26, s[2:3], s12, v26
	v_addc_co_u32_e64 v27, s[2:3], v14, v27, s[2:3]
	global_load_dwordx4 v[8:11], v[52:53], off
	global_load_dwordx4 v[4:7], v[52:53], off offset:16
	global_load_dwordx4 v[0:3], v[52:53], off offset:32
	;; [unrolled: 1-line block ×7, first 2 shown]
	global_load_dword v47, v[26:27], off
	v_add_co_u32_e32 v52, vcc, 0x800, v52
	v_add_u32_e32 v13, 0xffffff80, v13
	v_addc_co_u32_e32 v53, vcc, 0, v53, vcc
	v_cmp_eq_u32_e32 vcc, 0, v13
	s_or_b64 s[16:17], vcc, s[16:17]
	v_add_u32_e32 v50, 16, v50
	s_waitcnt vmcnt(6)
	v_cvt_f64_f32_e32 v[92:93], v0
	v_cvt_f64_f32_e32 v[94:95], v1
	;; [unrolled: 1-line block ×6, first 2 shown]
	s_waitcnt vmcnt(0)
	v_subrev_u32_e32 v0, s20, v47
	v_lshlrev_b32_e32 v0, 2, v0
	v_ashrrev_i32_e32 v1, 31, v0
	v_lshlrev_b64 v[0:1], 4, v[0:1]
	v_add_co_u32_e32 v104, vcc, s4, v0
	v_addc_co_u32_e32 v105, vcc, v15, v1, vcc
	v_cvt_f64_f32_e32 v[82:83], v11
	v_cvt_f64_f32_e32 v[84:85], v4
	;; [unrolled: 1-line block ×6, first 2 shown]
	global_load_dwordx4 v[0:3], v[104:105], off
	global_load_dwordx4 v[4:7], v[104:105], off offset:16
	global_load_dwordx4 v[8:11], v[104:105], off offset:32
	;; [unrolled: 1-line block ×3, first 2 shown]
	v_cvt_f64_f32_e32 v[100:101], v22
	v_cvt_f64_f32_e32 v[22:23], v23
	;; [unrolled: 1-line block ×20, first 2 shown]
	s_waitcnt vmcnt(3)
	v_fmac_f64_e32 v[56:57], v[26:27], v[0:1]
	v_fmac_f64_e32 v[44:45], v[78:79], v[0:1]
	v_fmac_f64_e32 v[58:59], v[92:93], v[0:1]
	v_fmac_f64_e32 v[42:43], v[94:95], v[0:1]
	v_fmac_f64_e32 v[54:55], v[100:101], v[0:1]
	v_fmac_f64_e32 v[40:41], v[22:23], v[0:1]
	v_fmac_f64_e32 v[16:17], v[102:103], v[0:1]
	v_fmac_f64_e32 v[38:39], v[66:67], v[0:1]
	v_fma_f64 v[0:1], -v[78:79], v[2:3], v[56:57]
	v_fmac_f64_e32 v[44:45], v[26:27], v[2:3]
	v_fma_f64 v[26:27], -v[94:95], v[2:3], v[58:59]
	v_fmac_f64_e32 v[42:43], v[92:93], v[2:3]
	v_fma_f64 v[22:23], -v[22:23], v[2:3], v[54:55]
	v_fmac_f64_e32 v[40:41], v[100:101], v[2:3]
	v_fma_f64 v[16:17], -v[66:67], v[2:3], v[16:17]
	v_fmac_f64_e32 v[38:39], v[102:103], v[2:3]
	s_waitcnt vmcnt(2)
	v_fmac_f64_e32 v[0:1], v[80:81], v[4:5]
	v_fmac_f64_e32 v[44:45], v[82:83], v[4:5]
	v_fmac_f64_e32 v[26:27], v[96:97], v[4:5]
	v_fmac_f64_e32 v[42:43], v[98:99], v[4:5]
	v_fmac_f64_e32 v[22:23], v[108:109], v[4:5]
	v_fmac_f64_e32 v[40:41], v[24:25], v[4:5]
	v_fmac_f64_e32 v[16:17], v[114:115], v[4:5]
	v_fmac_f64_e32 v[38:39], v[68:69], v[4:5]
	v_fma_f64 v[0:1], -v[82:83], v[6:7], v[0:1]
	v_fmac_f64_e32 v[44:45], v[80:81], v[6:7]
	v_fma_f64 v[2:3], -v[98:99], v[6:7], v[26:27]
	v_fmac_f64_e32 v[42:43], v[96:97], v[6:7]
	v_fma_f64 v[4:5], -v[24:25], v[6:7], v[22:23]
	v_fmac_f64_e32 v[40:41], v[108:109], v[6:7]
	v_fma_f64 v[16:17], -v[68:69], v[6:7], v[16:17]
	v_fmac_f64_e32 v[38:39], v[114:115], v[6:7]
	;; [unrolled: 17-line block ×4, first 2 shown]
	s_andn2_b64 exec, exec, s[16:17]
	s_cbranch_execnz .LBB167_19
; %bb.20:
	s_or_b64 exec, exec, s[16:17]
.LBB167_21:
	s_or_b64 exec, exec, s[14:15]
	v_cmp_lt_u32_e32 vcc, 47, v12
	s_and_saveexec_b64 s[14:15], vcc
	s_cbranch_execz .LBB167_25
; %bb.22:
	s_mov_b64 s[16:17], 0
	v_mov_b32_e32 v47, s13
	v_mov_b32_e32 v66, s5
	s_movk_i32 s18, 0x1000
.LBB167_23:                             ; =>This Inner Loop Header: Depth=1
	v_ashrrev_i32_e32 v51, 31, v50
	v_lshlrev_b64 v[0:1], 2, v[50:51]
	v_add_co_u32_e32 v18, vcc, s12, v0
	v_addc_co_u32_e32 v19, vcc, v47, v1, vcc
	global_load_dword v0, v[18:19], off
	global_load_dwordx4 v[24:27], v[52:53], off offset:48
	global_load_dwordx4 v[60:63], v[52:53], off offset:32
	global_load_dwordx4 v[20:23], v[52:53], off offset:16
	global_load_dwordx4 v[68:71], v[52:53], off
	v_add_u32_e32 v50, 64, v50
	v_cmp_ge_i32_e64 s[2:3], v50, v64
	s_or_b64 s[16:17], s[2:3], s[16:17]
	s_waitcnt vmcnt(4)
	v_subrev_u32_e32 v0, s20, v0
	v_lshlrev_b32_e32 v0, 2, v0
	v_ashrrev_i32_e32 v1, 31, v0
	v_lshlrev_b64 v[0:1], 4, v[0:1]
	v_add_co_u32_e32 v74, vcc, s4, v0
	v_addc_co_u32_e32 v75, vcc, v66, v1, vcc
	global_load_dwordx4 v[0:3], v[74:75], off offset:48
	global_load_dwordx4 v[4:7], v[74:75], off offset:32
	;; [unrolled: 1-line block ×3, first 2 shown]
	global_load_dwordx4 v[12:15], v[74:75], off
	s_waitcnt vmcnt(4)
	v_cvt_f64_f32_e32 v[72:73], v68
	v_cvt_f64_f32_e32 v[68:69], v69
	s_waitcnt vmcnt(0)
	v_fmac_f64_e32 v[56:57], v[72:73], v[12:13]
	v_fmac_f64_e32 v[44:45], v[68:69], v[12:13]
	v_fma_f64 v[56:57], -v[68:69], v[14:15], v[56:57]
	v_fmac_f64_e32 v[44:45], v[72:73], v[14:15]
	v_cvt_f64_f32_e32 v[68:69], v70
	v_cvt_f64_f32_e32 v[70:71], v71
	v_fmac_f64_e32 v[56:57], v[68:69], v[8:9]
	v_fmac_f64_e32 v[44:45], v[70:71], v[8:9]
	v_fma_f64 v[56:57], -v[70:71], v[10:11], v[56:57]
	v_fmac_f64_e32 v[44:45], v[68:69], v[10:11]
	v_cvt_f64_f32_e32 v[68:69], v20
	v_cvt_f64_f32_e32 v[20:21], v21
	;; [unrolled: 6-line block ×7, first 2 shown]
	v_fmac_f64_e32 v[56:57], v[24:25], v[0:1]
	v_fmac_f64_e32 v[42:43], v[26:27], v[0:1]
	v_fma_f64 v[20:21], -v[26:27], v[2:3], v[56:57]
	v_fmac_f64_e32 v[42:43], v[24:25], v[2:3]
	global_load_dwordx4 v[56:59], v[52:53], off offset:112
	global_load_dwordx4 v[60:63], v[52:53], off offset:96
	;; [unrolled: 1-line block ×4, first 2 shown]
	s_waitcnt vmcnt(0)
	v_cvt_f64_f32_e32 v[72:73], v68
	v_cvt_f64_f32_e32 v[68:69], v69
	v_fmac_f64_e32 v[54:55], v[72:73], v[12:13]
	v_fmac_f64_e32 v[40:41], v[68:69], v[12:13]
	v_fma_f64 v[54:55], -v[68:69], v[14:15], v[54:55]
	v_fmac_f64_e32 v[40:41], v[72:73], v[14:15]
	v_cvt_f64_f32_e32 v[68:69], v70
	v_cvt_f64_f32_e32 v[70:71], v71
	v_fmac_f64_e32 v[54:55], v[68:69], v[8:9]
	v_fmac_f64_e32 v[40:41], v[70:71], v[8:9]
	v_fma_f64 v[54:55], -v[70:71], v[10:11], v[54:55]
	v_fmac_f64_e32 v[40:41], v[68:69], v[10:11]
	;; [unrolled: 6-line block ×3, first 2 shown]
	v_cvt_f64_f32_e32 v[68:69], v26
	v_cvt_f64_f32_e32 v[26:27], v27
	v_fmac_f64_e32 v[54:55], v[68:69], v[0:1]
	v_fma_f64 v[24:25], -v[26:27], v[2:3], v[54:55]
	v_fmac_f64_e32 v[40:41], v[26:27], v[0:1]
	v_cvt_f64_f32_e32 v[26:27], v60
	v_cvt_f64_f32_e32 v[54:55], v61
	v_fmac_f64_e32 v[16:17], v[26:27], v[12:13]
	v_fmac_f64_e32 v[38:39], v[54:55], v[12:13]
	v_fma_f64 v[16:17], -v[54:55], v[14:15], v[16:17]
	v_fmac_f64_e32 v[38:39], v[26:27], v[14:15]
	v_cvt_f64_f32_e32 v[12:13], v62
	v_cvt_f64_f32_e32 v[14:15], v63
	v_fmac_f64_e32 v[16:17], v[12:13], v[8:9]
	;; [unrolled: 6-line block ×4, first 2 shown]
	v_fmac_f64_e32 v[38:39], v[6:7], v[0:1]
	global_load_dword v0, v[18:19], off offset:64
	v_fmac_f64_e32 v[40:41], v[68:69], v[2:3]
	v_fma_f64 v[12:13], -v[6:7], v[2:3], v[12:13]
	v_fmac_f64_e32 v[38:39], v[4:5], v[2:3]
	s_waitcnt vmcnt(0)
	v_subrev_u32_e32 v0, s20, v0
	v_lshlrev_b32_e32 v26, 2, v0
	v_ashrrev_i32_e32 v27, 31, v26
	v_lshlrev_b64 v[26:27], 4, v[26:27]
	v_add_co_u32_e32 v26, vcc, s4, v26
	global_load_dwordx4 v[0:3], v[52:53], off offset:2096
	global_load_dwordx4 v[4:7], v[52:53], off offset:2080
	;; [unrolled: 1-line block ×4, first 2 shown]
	v_addc_co_u32_e32 v27, vcc, v66, v27, vcc
	global_load_dwordx4 v[54:57], v[26:27], off offset:48
	global_load_dwordx4 v[58:61], v[26:27], off offset:32
	;; [unrolled: 1-line block ×3, first 2 shown]
	global_load_dwordx4 v[72:75], v[26:27], off
	s_waitcnt vmcnt(4)
	v_cvt_f64_f32_e32 v[62:63], v14
	v_cvt_f64_f32_e32 v[14:15], v15
	s_waitcnt vmcnt(0)
	v_fmac_f64_e32 v[22:23], v[62:63], v[72:73]
	v_fmac_f64_e32 v[44:45], v[14:15], v[72:73]
	v_fma_f64 v[22:23], -v[14:15], v[74:75], v[22:23]
	v_fmac_f64_e32 v[44:45], v[62:63], v[74:75]
	v_cvt_f64_f32_e32 v[14:15], v16
	v_cvt_f64_f32_e32 v[16:17], v17
	v_fmac_f64_e32 v[22:23], v[14:15], v[68:69]
	v_fmac_f64_e32 v[44:45], v[16:17], v[68:69]
	v_fma_f64 v[22:23], -v[16:17], v[70:71], v[22:23]
	v_fmac_f64_e32 v[44:45], v[14:15], v[70:71]
	v_cvt_f64_f32_e32 v[14:15], v8
	v_cvt_f64_f32_e32 v[8:9], v9
	;; [unrolled: 6-line block ×3, first 2 shown]
	v_fmac_f64_e32 v[16:17], v[14:15], v[54:55]
	v_fma_f64 v[8:9], -v[10:11], v[56:57], v[16:17]
	v_fmac_f64_e32 v[44:45], v[10:11], v[54:55]
	v_cvt_f64_f32_e32 v[10:11], v4
	v_cvt_f64_f32_e32 v[4:5], v5
	v_fmac_f64_e32 v[20:21], v[10:11], v[72:73]
	v_fmac_f64_e32 v[42:43], v[4:5], v[72:73]
	;; [unrolled: 1-line block ×3, first 2 shown]
	v_fma_f64 v[14:15], -v[4:5], v[74:75], v[20:21]
	v_fmac_f64_e32 v[42:43], v[10:11], v[74:75]
	v_cvt_f64_f32_e32 v[4:5], v6
	v_cvt_f64_f32_e32 v[6:7], v7
	v_fmac_f64_e32 v[14:15], v[4:5], v[68:69]
	v_fmac_f64_e32 v[42:43], v[6:7], v[68:69]
	v_fma_f64 v[10:11], -v[6:7], v[70:71], v[14:15]
	v_fmac_f64_e32 v[42:43], v[4:5], v[70:71]
	v_cvt_f64_f32_e32 v[4:5], v0
	v_cvt_f64_f32_e32 v[0:1], v1
	v_fmac_f64_e32 v[10:11], v[4:5], v[58:59]
	v_fmac_f64_e32 v[42:43], v[0:1], v[58:59]
	;; [unrolled: 6-line block ×3, first 2 shown]
	v_fma_f64 v[62:63], -v[2:3], v[56:57], v[6:7]
	v_fmac_f64_e32 v[42:43], v[0:1], v[56:57]
	global_load_dwordx4 v[0:3], v[52:53], off offset:2160
	global_load_dwordx4 v[4:7], v[52:53], off offset:2144
	;; [unrolled: 1-line block ×4, first 2 shown]
	s_waitcnt vmcnt(0)
	v_cvt_f64_f32_e32 v[10:11], v20
	v_cvt_f64_f32_e32 v[20:21], v21
	v_fmac_f64_e32 v[24:25], v[10:11], v[72:73]
	v_fmac_f64_e32 v[40:41], v[20:21], v[72:73]
	v_fma_f64 v[24:25], -v[20:21], v[74:75], v[24:25]
	v_fmac_f64_e32 v[40:41], v[10:11], v[74:75]
	v_cvt_f64_f32_e32 v[10:11], v22
	v_cvt_f64_f32_e32 v[20:21], v23
	v_fmac_f64_e32 v[24:25], v[10:11], v[68:69]
	v_fmac_f64_e32 v[40:41], v[20:21], v[68:69]
	v_fma_f64 v[22:23], -v[20:21], v[70:71], v[24:25]
	v_fmac_f64_e32 v[40:41], v[10:11], v[70:71]
	;; [unrolled: 6-line block ×3, first 2 shown]
	v_cvt_f64_f32_e32 v[14:15], v17
	v_cvt_f64_f32_e32 v[10:11], v16
	v_fmac_f64_e32 v[40:41], v[14:15], v[54:55]
	v_fmac_f64_e32 v[20:21], v[10:11], v[54:55]
	;; [unrolled: 1-line block ×3, first 2 shown]
	v_cvt_f64_f32_e32 v[10:11], v4
	v_cvt_f64_f32_e32 v[4:5], v5
	v_fmac_f64_e32 v[12:13], v[10:11], v[72:73]
	v_fmac_f64_e32 v[38:39], v[4:5], v[72:73]
	v_fma_f64 v[12:13], -v[4:5], v[74:75], v[12:13]
	v_fmac_f64_e32 v[38:39], v[10:11], v[74:75]
	v_cvt_f64_f32_e32 v[4:5], v6
	v_cvt_f64_f32_e32 v[6:7], v7
	v_fmac_f64_e32 v[12:13], v[4:5], v[68:69]
	v_fmac_f64_e32 v[38:39], v[6:7], v[68:69]
	v_fma_f64 v[10:11], -v[6:7], v[70:71], v[12:13]
	v_fmac_f64_e32 v[38:39], v[4:5], v[70:71]
	;; [unrolled: 6-line block ×3, first 2 shown]
	v_cvt_f64_f32_e32 v[0:1], v2
	v_cvt_f64_f32_e32 v[2:3], v3
	v_fmac_f64_e32 v[38:39], v[2:3], v[54:55]
	v_fmac_f64_e32 v[6:7], v[0:1], v[54:55]
	;; [unrolled: 1-line block ×3, first 2 shown]
	global_load_dword v0, v[18:19], off offset:128
	v_fma_f64 v[76:77], -v[14:15], v[56:57], v[20:21]
	v_add_co_u32_e32 v54, vcc, s18, v52
	v_addc_co_u32_e32 v55, vcc, 0, v53, vcc
	v_fma_f64 v[60:61], -v[2:3], v[56:57], v[6:7]
	s_waitcnt vmcnt(0)
	v_subrev_u32_e32 v0, s20, v0
	v_lshlrev_b32_e32 v20, 2, v0
	v_ashrrev_i32_e32 v21, 31, v20
	v_lshlrev_b64 v[20:21], 4, v[20:21]
	v_add_co_u32_e32 v58, vcc, s4, v20
	v_addc_co_u32_e32 v59, vcc, v66, v21, vcc
	global_load_dwordx4 v[0:3], v[54:55], off
	global_load_dwordx4 v[4:7], v[54:55], off offset:48
	global_load_dwordx4 v[10:13], v[54:55], off offset:32
	;; [unrolled: 1-line block ×6, first 2 shown]
	global_load_dwordx4 v[72:75], v[58:59], off
	s_waitcnt vmcnt(7)
	v_cvt_f64_f32_e32 v[56:57], v0
	v_cvt_f64_f32_e32 v[0:1], v1
	s_waitcnt vmcnt(0)
	v_fmac_f64_e32 v[8:9], v[56:57], v[72:73]
	v_fmac_f64_e32 v[44:45], v[0:1], v[72:73]
	v_fma_f64 v[8:9], -v[0:1], v[74:75], v[8:9]
	v_fmac_f64_e32 v[44:45], v[56:57], v[74:75]
	v_cvt_f64_f32_e32 v[0:1], v2
	v_cvt_f64_f32_e32 v[2:3], v3
	v_fmac_f64_e32 v[8:9], v[0:1], v[68:69]
	v_fmac_f64_e32 v[44:45], v[2:3], v[68:69]
	v_fma_f64 v[8:9], -v[2:3], v[70:71], v[8:9]
	v_fmac_f64_e32 v[44:45], v[0:1], v[70:71]
	v_cvt_f64_f32_e32 v[0:1], v14
	v_cvt_f64_f32_e32 v[2:3], v15
	;; [unrolled: 6-line block ×7, first 2 shown]
	v_fmac_f64_e32 v[4:5], v[0:1], v[20:21]
	v_fmac_f64_e32 v[42:43], v[2:3], v[20:21]
	v_fma_f64 v[58:59], -v[2:3], v[22:23], v[4:5]
	v_fmac_f64_e32 v[42:43], v[0:1], v[22:23]
	global_load_dwordx4 v[0:3], v[54:55], off offset:112
	global_load_dwordx4 v[4:7], v[54:55], off offset:96
	global_load_dwordx4 v[8:11], v[54:55], off offset:80
	global_load_dwordx4 v[12:15], v[54:55], off offset:64
	s_waitcnt vmcnt(0)
	v_cvt_f64_f32_e32 v[16:17], v12
	v_cvt_f64_f32_e32 v[12:13], v13
	v_fmac_f64_e32 v[76:77], v[16:17], v[72:73]
	v_fmac_f64_e32 v[40:41], v[12:13], v[72:73]
	v_fma_f64 v[62:63], -v[12:13], v[74:75], v[76:77]
	v_fmac_f64_e32 v[40:41], v[16:17], v[74:75]
	v_cvt_f64_f32_e32 v[12:13], v14
	v_cvt_f64_f32_e32 v[14:15], v15
	v_fmac_f64_e32 v[62:63], v[12:13], v[68:69]
	v_fmac_f64_e32 v[40:41], v[14:15], v[68:69]
	v_fma_f64 v[16:17], -v[14:15], v[70:71], v[62:63]
	v_fmac_f64_e32 v[40:41], v[12:13], v[70:71]
	;; [unrolled: 6-line block ×3, first 2 shown]
	v_cvt_f64_f32_e32 v[8:9], v10
	v_cvt_f64_f32_e32 v[10:11], v11
	v_fmac_f64_e32 v[40:41], v[10:11], v[20:21]
	v_fmac_f64_e32 v[14:15], v[8:9], v[20:21]
	;; [unrolled: 1-line block ×3, first 2 shown]
	v_cvt_f64_f32_e32 v[8:9], v4
	v_cvt_f64_f32_e32 v[4:5], v5
	v_fmac_f64_e32 v[60:61], v[8:9], v[72:73]
	v_fmac_f64_e32 v[38:39], v[4:5], v[72:73]
	v_fma_f64 v[62:63], -v[10:11], v[22:23], v[14:15]
	v_fma_f64 v[10:11], -v[4:5], v[74:75], v[60:61]
	v_fmac_f64_e32 v[38:39], v[8:9], v[74:75]
	v_cvt_f64_f32_e32 v[4:5], v6
	v_cvt_f64_f32_e32 v[6:7], v7
	v_fmac_f64_e32 v[10:11], v[4:5], v[68:69]
	v_fmac_f64_e32 v[38:39], v[6:7], v[68:69]
	v_fma_f64 v[8:9], -v[6:7], v[70:71], v[10:11]
	v_fmac_f64_e32 v[38:39], v[4:5], v[70:71]
	v_cvt_f64_f32_e32 v[4:5], v0
	v_cvt_f64_f32_e32 v[0:1], v1
	v_fmac_f64_e32 v[8:9], v[4:5], v[24:25]
	v_fmac_f64_e32 v[38:39], v[0:1], v[24:25]
	;; [unrolled: 6-line block ×3, first 2 shown]
	v_fmac_f64_e32 v[38:39], v[0:1], v[22:23]
	global_load_dword v0, v[18:19], off offset:192
	v_fma_f64 v[60:61], -v[2:3], v[22:23], v[6:7]
	s_waitcnt vmcnt(0)
	v_subrev_u32_e32 v0, s20, v0
	v_lshlrev_b32_e32 v12, 2, v0
	v_ashrrev_i32_e32 v13, 31, v12
	v_lshlrev_b64 v[12:13], 4, v[12:13]
	v_add_co_u32_e32 v74, vcc, s4, v12
	global_load_dwordx4 v[0:3], v[54:55], off offset:2096
	global_load_dwordx4 v[4:7], v[54:55], off offset:2080
	;; [unrolled: 1-line block ×4, first 2 shown]
	v_addc_co_u32_e32 v75, vcc, v66, v13, vcc
	global_load_dwordx4 v[12:15], v[74:75], off offset:48
	global_load_dwordx4 v[16:19], v[74:75], off offset:32
	;; [unrolled: 1-line block ×3, first 2 shown]
	global_load_dwordx4 v[24:27], v[74:75], off
	v_add_co_u32_e32 v52, vcc, 0x2000, v52
	v_addc_co_u32_e32 v53, vcc, 0, v53, vcc
	s_waitcnt vmcnt(4)
	v_cvt_f64_f32_e32 v[72:73], v68
	v_cvt_f64_f32_e32 v[68:69], v69
	s_waitcnt vmcnt(0)
	v_fmac_f64_e32 v[56:57], v[72:73], v[24:25]
	v_fmac_f64_e32 v[44:45], v[68:69], v[24:25]
	v_fma_f64 v[56:57], -v[68:69], v[26:27], v[56:57]
	v_fmac_f64_e32 v[44:45], v[72:73], v[26:27]
	v_cvt_f64_f32_e32 v[68:69], v70
	v_cvt_f64_f32_e32 v[70:71], v71
	v_fmac_f64_e32 v[56:57], v[68:69], v[20:21]
	v_fmac_f64_e32 v[44:45], v[70:71], v[20:21]
	v_fma_f64 v[56:57], -v[70:71], v[22:23], v[56:57]
	v_fmac_f64_e32 v[44:45], v[68:69], v[22:23]
	v_cvt_f64_f32_e32 v[68:69], v8
	v_cvt_f64_f32_e32 v[8:9], v9
	;; [unrolled: 6-line block ×3, first 2 shown]
	v_fmac_f64_e32 v[44:45], v[10:11], v[12:13]
	v_fmac_f64_e32 v[56:57], v[8:9], v[12:13]
	;; [unrolled: 1-line block ×3, first 2 shown]
	v_cvt_f64_f32_e32 v[8:9], v4
	v_cvt_f64_f32_e32 v[4:5], v5
	v_fmac_f64_e32 v[58:59], v[8:9], v[24:25]
	v_fmac_f64_e32 v[42:43], v[4:5], v[24:25]
	v_fma_f64 v[56:57], -v[10:11], v[14:15], v[56:57]
	v_fma_f64 v[10:11], -v[4:5], v[26:27], v[58:59]
	v_fmac_f64_e32 v[42:43], v[8:9], v[26:27]
	v_cvt_f64_f32_e32 v[4:5], v6
	v_cvt_f64_f32_e32 v[6:7], v7
	v_fmac_f64_e32 v[10:11], v[4:5], v[20:21]
	v_fmac_f64_e32 v[42:43], v[6:7], v[20:21]
	v_fma_f64 v[8:9], -v[6:7], v[22:23], v[10:11]
	v_fmac_f64_e32 v[42:43], v[4:5], v[22:23]
	v_cvt_f64_f32_e32 v[4:5], v0
	v_cvt_f64_f32_e32 v[0:1], v1
	v_fmac_f64_e32 v[8:9], v[4:5], v[16:17]
	v_fmac_f64_e32 v[42:43], v[0:1], v[16:17]
	;; [unrolled: 6-line block ×3, first 2 shown]
	v_fma_f64 v[58:59], -v[2:3], v[14:15], v[6:7]
	v_fmac_f64_e32 v[42:43], v[0:1], v[14:15]
	global_load_dwordx4 v[0:3], v[54:55], off offset:2160
	global_load_dwordx4 v[4:7], v[54:55], off offset:2144
	;; [unrolled: 1-line block ×4, first 2 shown]
	s_waitcnt vmcnt(0)
	v_cvt_f64_f32_e32 v[54:55], v68
	v_cvt_f64_f32_e32 v[68:69], v69
	v_fmac_f64_e32 v[62:63], v[54:55], v[24:25]
	v_fmac_f64_e32 v[40:41], v[68:69], v[24:25]
	v_fma_f64 v[62:63], -v[68:69], v[26:27], v[62:63]
	v_fmac_f64_e32 v[40:41], v[54:55], v[26:27]
	v_cvt_f64_f32_e32 v[54:55], v70
	v_cvt_f64_f32_e32 v[68:69], v71
	v_fmac_f64_e32 v[62:63], v[54:55], v[20:21]
	v_fmac_f64_e32 v[40:41], v[68:69], v[20:21]
	v_fma_f64 v[62:63], -v[68:69], v[22:23], v[62:63]
	v_fmac_f64_e32 v[40:41], v[54:55], v[22:23]
	;; [unrolled: 6-line block ×3, first 2 shown]
	v_cvt_f64_f32_e32 v[8:9], v10
	v_cvt_f64_f32_e32 v[10:11], v11
	v_fmac_f64_e32 v[40:41], v[10:11], v[12:13]
	v_fmac_f64_e32 v[62:63], v[8:9], v[12:13]
	;; [unrolled: 1-line block ×3, first 2 shown]
	v_cvt_f64_f32_e32 v[8:9], v4
	v_cvt_f64_f32_e32 v[4:5], v5
	v_fmac_f64_e32 v[60:61], v[8:9], v[24:25]
	v_fmac_f64_e32 v[38:39], v[4:5], v[24:25]
	v_fma_f64 v[54:55], -v[10:11], v[14:15], v[62:63]
	v_fma_f64 v[10:11], -v[4:5], v[26:27], v[60:61]
	v_fmac_f64_e32 v[38:39], v[8:9], v[26:27]
	v_cvt_f64_f32_e32 v[4:5], v6
	v_cvt_f64_f32_e32 v[6:7], v7
	v_fmac_f64_e32 v[10:11], v[4:5], v[20:21]
	v_fmac_f64_e32 v[38:39], v[6:7], v[20:21]
	v_fma_f64 v[8:9], -v[6:7], v[22:23], v[10:11]
	v_fmac_f64_e32 v[38:39], v[4:5], v[22:23]
	v_cvt_f64_f32_e32 v[4:5], v0
	v_cvt_f64_f32_e32 v[0:1], v1
	v_fmac_f64_e32 v[8:9], v[4:5], v[16:17]
	v_fmac_f64_e32 v[38:39], v[0:1], v[16:17]
	;; [unrolled: 6-line block ×3, first 2 shown]
	v_fma_f64 v[16:17], -v[2:3], v[14:15], v[6:7]
	v_fmac_f64_e32 v[38:39], v[0:1], v[14:15]
	s_andn2_b64 exec, exec, s[16:17]
	s_cbranch_execnz .LBB167_23
; %bb.24:
	s_or_b64 exec, exec, s[16:17]
.LBB167_25:
	s_or_b64 exec, exec, s[14:15]
.LBB167_26:
	s_or_b64 exec, exec, s[10:11]
	s_andn2_b64 vcc, exec, s[8:9]
	s_cbranch_vccz .LBB167_28
	s_branch .LBB167_39
.LBB167_27:
                                        ; implicit-def: $vgpr44_vgpr45
                                        ; implicit-def: $vgpr56_vgpr57
                                        ; implicit-def: $vgpr42_vgpr43
                                        ; implicit-def: $vgpr58_vgpr59
                                        ; implicit-def: $vgpr40_vgpr41
                                        ; implicit-def: $vgpr54_vgpr55
                                        ; implicit-def: $vgpr38_vgpr39
                                        ; implicit-def: $vgpr16_vgpr17
.LBB167_28:
	v_pk_mov_b32 v[44:45], 0, 0
	v_pk_mov_b32 v[56:57], v[44:45], v[44:45] op_sel:[0,1]
	v_pk_mov_b32 v[42:43], v[44:45], v[44:45] op_sel:[0,1]
	;; [unrolled: 1-line block ×7, first 2 shown]
	s_and_saveexec_b64 s[2:3], s[0:1]
	s_cbranch_execz .LBB167_38
; %bb.29:
	v_add_u32_e32 v0, v65, v37
	v_subrev_u32_e32 v0, s20, v0
	v_add_u32_e32 v0, 16, v0
	v_max_i32_e32 v0, v0, v64
	v_not_b32_e32 v1, v65
	v_add3_u32 v0, v0, s20, v1
	v_sub_u32_e32 v18, v0, v37
	v_lshrrev_b32_e32 v0, 4, v18
	v_add_u32_e32 v0, 1, v0
	v_and_b32_e32 v0, 3, v0
	v_pk_mov_b32 v[16:17], 0, 0
	v_cmp_ne_u32_e32 vcc, 0, v0
	v_pk_mov_b32 v[38:39], v[16:17], v[16:17] op_sel:[0,1]
	v_pk_mov_b32 v[54:55], v[16:17], v[16:17] op_sel:[0,1]
	;; [unrolled: 1-line block ×7, first 2 shown]
	s_and_saveexec_b64 s[8:9], vcc
	s_cbranch_execz .LBB167_33
; %bb.30:
	v_pk_mov_b32 v[44:45], 0, 0
	v_lshlrev_b32_e32 v19, 7, v0
	s_mov_b64 s[10:11], 0
	v_mov_b32_e32 v20, s13
	v_mov_b32_e32 v21, s5
	v_pk_mov_b32 v[56:57], v[44:45], v[44:45] op_sel:[0,1]
	v_pk_mov_b32 v[42:43], v[44:45], v[44:45] op_sel:[0,1]
	v_pk_mov_b32 v[58:59], v[44:45], v[44:45] op_sel:[0,1]
	v_pk_mov_b32 v[40:41], v[44:45], v[44:45] op_sel:[0,1]
	v_pk_mov_b32 v[54:55], v[44:45], v[44:45] op_sel:[0,1]
	v_pk_mov_b32 v[38:39], v[44:45], v[44:45] op_sel:[0,1]
	v_pk_mov_b32 v[16:17], v[44:45], v[44:45] op_sel:[0,1]
.LBB167_31:                             ; =>This Inner Loop Header: Depth=1
	v_ashrrev_i32_e32 v47, 31, v46
	v_lshlrev_b64 v[26:27], 2, v[46:47]
	v_add_co_u32_e64 v26, s[0:1], s12, v26
	v_addc_co_u32_e64 v27, s[0:1], v20, v27, s[0:1]
	global_load_dwordx4 v[12:15], v[48:49], off
	global_load_dwordx4 v[8:11], v[48:49], off offset:16
	global_load_dwordx4 v[4:7], v[48:49], off offset:32
	;; [unrolled: 1-line block ×7, first 2 shown]
	global_load_dword v47, v[26:27], off
	v_add_co_u32_e32 v48, vcc, 0x800, v48
	v_addc_co_u32_e32 v49, vcc, 0, v49, vcc
	v_add_u32_e32 v19, 0xffffff80, v19
	v_cmp_eq_u32_e64 s[0:1], 0, v19
	v_add_u32_e32 v46, 16, v46
	s_or_b64 s[10:11], s[0:1], s[10:11]
	s_waitcnt vmcnt(8)
	v_cvt_f64_f32_e32 v[26:27], v12
	v_cvt_f64_f32_e32 v[74:75], v13
	s_waitcnt vmcnt(6)
	v_cvt_f64_f32_e32 v[88:89], v4
	s_waitcnt vmcnt(5)
	v_cvt_f64_f32_e32 v[98:99], v2
	v_cvt_f64_f32_e32 v[90:91], v5
	;; [unrolled: 1-line block ×4, first 2 shown]
	s_waitcnt vmcnt(0)
	v_subrev_u32_e32 v2, s20, v47
	v_lshlrev_b32_e32 v4, 2, v2
	v_ashrrev_i32_e32 v5, 31, v4
	v_lshlrev_b64 v[4:5], 4, v[4:5]
	v_add_co_u32_e32 v100, vcc, s4, v4
	v_addc_co_u32_e32 v101, vcc, v21, v5, vcc
	v_cvt_f64_f32_e32 v[80:81], v8
	v_cvt_f64_f32_e32 v[82:83], v9
	;; [unrolled: 1-line block ×6, first 2 shown]
	global_load_dwordx4 v[4:7], v[100:101], off
	global_load_dwordx4 v[8:11], v[100:101], off offset:16
	global_load_dwordx4 v[12:15], v[100:101], off offset:32
	;; [unrolled: 1-line block ×3, first 2 shown]
	v_cvt_f64_f32_e32 v[96:97], v0
	v_cvt_f64_f32_e32 v[0:1], v1
	v_cvt_f64_f32_e32 v[2:3], v3
	v_cvt_f64_f32_e32 v[100:101], v22
	v_cvt_f64_f32_e32 v[22:23], v23
	v_cvt_f64_f32_e32 v[102:103], v24
	v_cvt_f64_f32_e32 v[24:25], v25
	v_cvt_f64_f32_e32 v[104:105], v50
	v_cvt_f64_f32_e32 v[50:51], v51
	v_cvt_f64_f32_e32 v[106:107], v52
	v_cvt_f64_f32_e32 v[52:53], v53
	v_cvt_f64_f32_e32 v[108:109], v60
	v_cvt_f64_f32_e32 v[60:61], v61
	v_cvt_f64_f32_e32 v[110:111], v62
	v_cvt_f64_f32_e32 v[62:63], v63
	v_cvt_f64_f32_e32 v[112:113], v66
	v_cvt_f64_f32_e32 v[66:67], v67
	v_cvt_f64_f32_e32 v[114:115], v68
	v_cvt_f64_f32_e32 v[68:69], v69
	s_waitcnt vmcnt(3)
	v_fmac_f64_e32 v[56:57], v[26:27], v[4:5]
	v_fmac_f64_e32 v[44:45], v[74:75], v[4:5]
	v_fmac_f64_e32 v[58:59], v[76:77], v[4:5]
	v_fmac_f64_e32 v[42:43], v[78:79], v[4:5]
	v_fmac_f64_e32 v[54:55], v[80:81], v[4:5]
	v_fmac_f64_e32 v[40:41], v[82:83], v[4:5]
	v_fmac_f64_e32 v[16:17], v[84:85], v[4:5]
	v_fmac_f64_e32 v[38:39], v[86:87], v[4:5]
	v_fma_f64 v[4:5], -v[74:75], v[6:7], v[56:57]
	v_fmac_f64_e32 v[44:45], v[26:27], v[6:7]
	v_fma_f64 v[26:27], -v[78:79], v[6:7], v[58:59]
	v_fmac_f64_e32 v[42:43], v[76:77], v[6:7]
	v_fma_f64 v[54:55], -v[82:83], v[6:7], v[54:55]
	v_fmac_f64_e32 v[40:41], v[80:81], v[6:7]
	v_fma_f64 v[16:17], -v[86:87], v[6:7], v[16:17]
	v_fmac_f64_e32 v[38:39], v[84:85], v[6:7]
	s_waitcnt vmcnt(2)
	v_fmac_f64_e32 v[4:5], v[88:89], v[8:9]
	v_fmac_f64_e32 v[44:45], v[90:91], v[8:9]
	v_fmac_f64_e32 v[26:27], v[92:93], v[8:9]
	v_fmac_f64_e32 v[42:43], v[94:95], v[8:9]
	v_fmac_f64_e32 v[54:55], v[96:97], v[8:9]
	v_fmac_f64_e32 v[40:41], v[0:1], v[8:9]
	v_fmac_f64_e32 v[16:17], v[98:99], v[8:9]
	v_fmac_f64_e32 v[38:39], v[2:3], v[8:9]
	v_fma_f64 v[4:5], -v[90:91], v[10:11], v[4:5]
	v_fmac_f64_e32 v[44:45], v[88:89], v[10:11]
	v_fma_f64 v[6:7], -v[94:95], v[10:11], v[26:27]
	v_fmac_f64_e32 v[42:43], v[92:93], v[10:11]
	v_fma_f64 v[0:1], -v[0:1], v[10:11], v[54:55]
	v_fmac_f64_e32 v[40:41], v[96:97], v[10:11]
	v_fma_f64 v[2:3], -v[2:3], v[10:11], v[16:17]
	v_fmac_f64_e32 v[38:39], v[98:99], v[10:11]
	;; [unrolled: 17-line block ×4, first 2 shown]
	s_andn2_b64 exec, exec, s[10:11]
	s_cbranch_execnz .LBB167_31
; %bb.32:
	s_or_b64 exec, exec, s[10:11]
.LBB167_33:
	s_or_b64 exec, exec, s[8:9]
	v_cmp_lt_u32_e32 vcc, 47, v18
	s_and_saveexec_b64 s[8:9], vcc
	s_cbranch_execz .LBB167_37
; %bb.34:
	s_mov_b64 s[10:11], 0
	v_mov_b32_e32 v52, s13
	v_mov_b32_e32 v53, s5
	s_movk_i32 s5, 0x1000
.LBB167_35:                             ; =>This Inner Loop Header: Depth=1
	v_ashrrev_i32_e32 v47, 31, v46
	v_lshlrev_b64 v[0:1], 2, v[46:47]
	v_add_co_u32_e32 v12, vcc, s12, v0
	v_addc_co_u32_e32 v13, vcc, v52, v1, vcc
	global_load_dword v0, v[12:13], off
	global_load_dwordx4 v[8:11], v[48:49], off offset:48
	global_load_dwordx4 v[18:21], v[48:49], off offset:32
	;; [unrolled: 1-line block ×3, first 2 shown]
	global_load_dwordx4 v[60:63], v[48:49], off
	v_add_u32_e32 v46, 64, v46
	v_cmp_ge_i32_e64 s[0:1], v46, v64
	s_or_b64 s[10:11], s[0:1], s[10:11]
	s_waitcnt vmcnt(4)
	v_subrev_u32_e32 v0, s20, v0
	v_lshlrev_b32_e32 v0, 2, v0
	v_ashrrev_i32_e32 v1, 31, v0
	v_lshlrev_b64 v[0:1], 4, v[0:1]
	v_add_co_u32_e32 v50, vcc, s4, v0
	v_addc_co_u32_e32 v51, vcc, v53, v1, vcc
	global_load_dwordx4 v[0:3], v[50:51], off offset:48
	global_load_dwordx4 v[4:7], v[50:51], off offset:32
	;; [unrolled: 1-line block ×3, first 2 shown]
	global_load_dwordx4 v[70:73], v[50:51], off
	s_waitcnt vmcnt(4)
	v_cvt_f64_f32_e32 v[14:15], v60
	v_cvt_f64_f32_e32 v[26:27], v61
	s_waitcnt vmcnt(0)
	v_fmac_f64_e32 v[56:57], v[14:15], v[70:71]
	v_fma_f64 v[50:51], -v[26:27], v[72:73], v[56:57]
	v_fmac_f64_e32 v[44:45], v[26:27], v[70:71]
	v_cvt_f64_f32_e32 v[26:27], v63
	v_fmac_f64_e32 v[44:45], v[14:15], v[72:73]
	v_cvt_f64_f32_e32 v[14:15], v62
	v_fmac_f64_e32 v[42:43], v[26:27], v[70:71]
	v_fmac_f64_e32 v[58:59], v[14:15], v[70:71]
	v_fmac_f64_e32 v[42:43], v[14:15], v[72:73]
	v_cvt_f64_f32_e32 v[14:15], v22
	v_cvt_f64_f32_e32 v[22:23], v23
	v_fmac_f64_e32 v[54:55], v[14:15], v[70:71]
	v_fma_f64 v[56:57], -v[26:27], v[72:73], v[58:59]
	v_fma_f64 v[26:27], -v[22:23], v[72:73], v[54:55]
	v_fmac_f64_e32 v[40:41], v[22:23], v[70:71]
	v_cvt_f64_f32_e32 v[22:23], v25
	v_fmac_f64_e32 v[40:41], v[14:15], v[72:73]
	v_cvt_f64_f32_e32 v[14:15], v24
	v_fmac_f64_e32 v[38:39], v[22:23], v[70:71]
	v_fmac_f64_e32 v[16:17], v[14:15], v[70:71]
	;; [unrolled: 1-line block ×3, first 2 shown]
	v_cvt_f64_f32_e32 v[14:15], v18
	v_cvt_f64_f32_e32 v[18:19], v19
	v_fmac_f64_e32 v[50:51], v[14:15], v[66:67]
	v_fma_f64 v[50:51], -v[18:19], v[68:69], v[50:51]
	v_fmac_f64_e32 v[44:45], v[18:19], v[66:67]
	v_cvt_f64_f32_e32 v[18:19], v21
	v_fmac_f64_e32 v[44:45], v[14:15], v[68:69]
	v_cvt_f64_f32_e32 v[14:15], v20
	v_fmac_f64_e32 v[42:43], v[18:19], v[66:67]
	v_fmac_f64_e32 v[56:57], v[14:15], v[66:67]
	;; [unrolled: 1-line block ×3, first 2 shown]
	v_cvt_f64_f32_e32 v[14:15], v8
	v_cvt_f64_f32_e32 v[8:9], v9
	v_fmac_f64_e32 v[26:27], v[14:15], v[66:67]
	v_fma_f64 v[16:17], -v[22:23], v[72:73], v[16:17]
	v_fma_f64 v[26:27], -v[8:9], v[68:69], v[26:27]
	v_fmac_f64_e32 v[40:41], v[8:9], v[66:67]
	v_cvt_f64_f32_e32 v[8:9], v10
	v_cvt_f64_f32_e32 v[10:11], v11
	v_fmac_f64_e32 v[16:17], v[8:9], v[66:67]
	v_fmac_f64_e32 v[38:39], v[10:11], v[66:67]
	v_fma_f64 v[54:55], -v[18:19], v[68:69], v[56:57]
	v_fmac_f64_e32 v[40:41], v[14:15], v[68:69]
	v_fma_f64 v[56:57], -v[10:11], v[68:69], v[16:17]
	v_fmac_f64_e32 v[38:39], v[8:9], v[68:69]
	global_load_dwordx4 v[8:11], v[48:49], off offset:112
	global_load_dwordx4 v[14:17], v[48:49], off offset:96
	;; [unrolled: 1-line block ×4, first 2 shown]
	s_waitcnt vmcnt(0)
	v_cvt_f64_f32_e32 v[58:59], v22
	v_cvt_f64_f32_e32 v[22:23], v23
	v_fmac_f64_e32 v[50:51], v[58:59], v[4:5]
	v_fma_f64 v[50:51], -v[22:23], v[6:7], v[50:51]
	v_fmac_f64_e32 v[44:45], v[22:23], v[4:5]
	v_cvt_f64_f32_e32 v[22:23], v24
	v_cvt_f64_f32_e32 v[24:25], v25
	v_fmac_f64_e32 v[42:43], v[24:25], v[4:5]
	v_fmac_f64_e32 v[54:55], v[22:23], v[4:5]
	;; [unrolled: 1-line block ×3, first 2 shown]
	v_cvt_f64_f32_e32 v[22:23], v18
	v_cvt_f64_f32_e32 v[18:19], v19
	v_fmac_f64_e32 v[26:27], v[22:23], v[4:5]
	v_fma_f64 v[54:55], -v[24:25], v[6:7], v[54:55]
	v_fma_f64 v[24:25], -v[18:19], v[6:7], v[26:27]
	v_fmac_f64_e32 v[40:41], v[18:19], v[4:5]
	v_cvt_f64_f32_e32 v[18:19], v20
	v_cvt_f64_f32_e32 v[20:21], v21
	v_fmac_f64_e32 v[56:57], v[18:19], v[4:5]
	v_fmac_f64_e32 v[38:39], v[20:21], v[4:5]
	;; [unrolled: 1-line block ×4, first 2 shown]
	v_fma_f64 v[22:23], -v[20:21], v[6:7], v[56:57]
	v_fmac_f64_e32 v[38:39], v[18:19], v[6:7]
	v_cvt_f64_f32_e32 v[4:5], v14
	v_cvt_f64_f32_e32 v[6:7], v15
	v_fmac_f64_e32 v[50:51], v[4:5], v[0:1]
	v_fmac_f64_e32 v[44:45], v[6:7], v[0:1]
	v_fma_f64 v[20:21], -v[6:7], v[2:3], v[50:51]
	v_fmac_f64_e32 v[44:45], v[4:5], v[2:3]
	v_cvt_f64_f32_e32 v[4:5], v16
	v_cvt_f64_f32_e32 v[6:7], v17
	v_fmac_f64_e32 v[54:55], v[4:5], v[0:1]
	v_fmac_f64_e32 v[42:43], v[6:7], v[0:1]
	;; [unrolled: 6-line block ×4, first 2 shown]
	global_load_dword v0, v[12:13], off offset:64
	v_fma_f64 v[14:15], -v[6:7], v[2:3], v[22:23]
	v_fmac_f64_e32 v[38:39], v[4:5], v[2:3]
	s_waitcnt vmcnt(0)
	v_subrev_u32_e32 v0, s20, v0
	v_lshlrev_b32_e32 v26, 2, v0
	v_ashrrev_i32_e32 v27, 31, v26
	v_lshlrev_b64 v[26:27], 4, v[26:27]
	v_add_co_u32_e32 v26, vcc, s4, v26
	global_load_dwordx4 v[0:3], v[48:49], off offset:2096
	global_load_dwordx4 v[4:7], v[48:49], off offset:2080
	global_load_dwordx4 v[8:11], v[48:49], off offset:2064
	global_load_dwordx4 v[22:25], v[48:49], off offset:2048
	v_addc_co_u32_e32 v27, vcc, v53, v27, vcc
	global_load_dwordx4 v[54:57], v[26:27], off offset:48
	global_load_dwordx4 v[58:61], v[26:27], off offset:32
	;; [unrolled: 1-line block ×3, first 2 shown]
	global_load_dwordx4 v[70:73], v[26:27], off
	s_waitcnt vmcnt(4)
	v_cvt_f64_f32_e32 v[50:51], v22
	v_cvt_f64_f32_e32 v[22:23], v23
	s_waitcnt vmcnt(0)
	v_fmac_f64_e32 v[20:21], v[50:51], v[70:71]
	v_fma_f64 v[20:21], -v[22:23], v[72:73], v[20:21]
	v_fmac_f64_e32 v[44:45], v[22:23], v[70:71]
	v_cvt_f64_f32_e32 v[22:23], v24
	v_cvt_f64_f32_e32 v[24:25], v25
	v_fmac_f64_e32 v[42:43], v[24:25], v[70:71]
	v_fmac_f64_e32 v[18:19], v[22:23], v[70:71]
	;; [unrolled: 1-line block ×3, first 2 shown]
	v_cvt_f64_f32_e32 v[22:23], v8
	v_cvt_f64_f32_e32 v[8:9], v9
	v_fmac_f64_e32 v[16:17], v[22:23], v[70:71]
	v_fma_f64 v[16:17], -v[8:9], v[72:73], v[16:17]
	v_fmac_f64_e32 v[40:41], v[8:9], v[70:71]
	v_cvt_f64_f32_e32 v[8:9], v10
	v_cvt_f64_f32_e32 v[10:11], v11
	v_fmac_f64_e32 v[38:39], v[10:11], v[70:71]
	v_fmac_f64_e32 v[14:15], v[8:9], v[70:71]
	;; [unrolled: 1-line block ×3, first 2 shown]
	v_cvt_f64_f32_e32 v[8:9], v4
	v_fmac_f64_e32 v[44:45], v[50:51], v[72:73]
	v_cvt_f64_f32_e32 v[4:5], v5
	v_fmac_f64_e32 v[20:21], v[8:9], v[66:67]
	v_fma_f64 v[20:21], -v[4:5], v[68:69], v[20:21]
	v_fmac_f64_e32 v[44:45], v[4:5], v[66:67]
	v_cvt_f64_f32_e32 v[4:5], v6
	v_cvt_f64_f32_e32 v[6:7], v7
	v_fma_f64 v[18:19], -v[24:25], v[72:73], v[18:19]
	v_fmac_f64_e32 v[42:43], v[6:7], v[66:67]
	v_fmac_f64_e32 v[18:19], v[4:5], v[66:67]
	;; [unrolled: 1-line block ×3, first 2 shown]
	v_cvt_f64_f32_e32 v[4:5], v0
	v_fmac_f64_e32 v[40:41], v[22:23], v[72:73]
	v_cvt_f64_f32_e32 v[0:1], v1
	v_fmac_f64_e32 v[16:17], v[4:5], v[66:67]
	v_fma_f64 v[14:15], -v[10:11], v[72:73], v[14:15]
	v_fma_f64 v[22:23], -v[0:1], v[68:69], v[16:17]
	v_fmac_f64_e32 v[40:41], v[0:1], v[66:67]
	v_cvt_f64_f32_e32 v[0:1], v2
	v_cvt_f64_f32_e32 v[2:3], v3
	v_fmac_f64_e32 v[14:15], v[0:1], v[66:67]
	v_fmac_f64_e32 v[38:39], v[2:3], v[66:67]
	;; [unrolled: 1-line block ×3, first 2 shown]
	v_fma_f64 v[18:19], -v[6:7], v[68:69], v[18:19]
	v_fmac_f64_e32 v[40:41], v[4:5], v[68:69]
	v_fma_f64 v[24:25], -v[2:3], v[68:69], v[14:15]
	v_fmac_f64_e32 v[38:39], v[0:1], v[68:69]
	global_load_dwordx4 v[0:3], v[48:49], off offset:2160
	global_load_dwordx4 v[4:7], v[48:49], off offset:2144
	;; [unrolled: 1-line block ×4, first 2 shown]
	s_waitcnt vmcnt(0)
	v_cvt_f64_f32_e32 v[26:27], v14
	v_cvt_f64_f32_e32 v[14:15], v15
	v_fmac_f64_e32 v[20:21], v[26:27], v[58:59]
	v_fma_f64 v[20:21], -v[14:15], v[60:61], v[20:21]
	v_fmac_f64_e32 v[44:45], v[14:15], v[58:59]
	v_cvt_f64_f32_e32 v[14:15], v16
	v_cvt_f64_f32_e32 v[16:17], v17
	v_fmac_f64_e32 v[42:43], v[16:17], v[58:59]
	v_fmac_f64_e32 v[18:19], v[14:15], v[58:59]
	;; [unrolled: 1-line block ×3, first 2 shown]
	v_cvt_f64_f32_e32 v[14:15], v8
	v_cvt_f64_f32_e32 v[8:9], v9
	v_fmac_f64_e32 v[22:23], v[14:15], v[58:59]
	v_fma_f64 v[18:19], -v[16:17], v[60:61], v[18:19]
	v_fma_f64 v[16:17], -v[8:9], v[60:61], v[22:23]
	v_fmac_f64_e32 v[40:41], v[8:9], v[58:59]
	v_cvt_f64_f32_e32 v[8:9], v10
	v_cvt_f64_f32_e32 v[10:11], v11
	v_fmac_f64_e32 v[38:39], v[10:11], v[58:59]
	v_fmac_f64_e32 v[24:25], v[8:9], v[58:59]
	;; [unrolled: 1-line block ×3, first 2 shown]
	v_cvt_f64_f32_e32 v[8:9], v4
	v_fmac_f64_e32 v[44:45], v[26:27], v[60:61]
	v_cvt_f64_f32_e32 v[4:5], v5
	v_fmac_f64_e32 v[20:21], v[8:9], v[54:55]
	v_fma_f64 v[26:27], -v[4:5], v[56:57], v[20:21]
	v_fmac_f64_e32 v[44:45], v[4:5], v[54:55]
	v_cvt_f64_f32_e32 v[4:5], v6
	v_cvt_f64_f32_e32 v[6:7], v7
	v_fmac_f64_e32 v[42:43], v[6:7], v[54:55]
	v_fmac_f64_e32 v[18:19], v[4:5], v[54:55]
	;; [unrolled: 1-line block ×3, first 2 shown]
	v_cvt_f64_f32_e32 v[4:5], v0
	v_fmac_f64_e32 v[40:41], v[14:15], v[60:61]
	v_cvt_f64_f32_e32 v[0:1], v1
	v_fmac_f64_e32 v[16:17], v[4:5], v[54:55]
	v_fma_f64 v[50:51], -v[0:1], v[56:57], v[16:17]
	v_fmac_f64_e32 v[40:41], v[0:1], v[54:55]
	v_cvt_f64_f32_e32 v[0:1], v2
	v_cvt_f64_f32_e32 v[2:3], v3
	v_fma_f64 v[14:15], -v[10:11], v[60:61], v[24:25]
	v_fmac_f64_e32 v[38:39], v[2:3], v[54:55]
	v_fmac_f64_e32 v[14:15], v[0:1], v[54:55]
	;; [unrolled: 1-line block ×3, first 2 shown]
	global_load_dword v0, v[12:13], off offset:128
	v_add_co_u32_e32 v20, vcc, s5, v48
	v_addc_co_u32_e32 v21, vcc, 0, v49, vcc
	v_fmac_f64_e32 v[44:45], v[8:9], v[56:57]
	v_fma_f64 v[18:19], -v[6:7], v[56:57], v[18:19]
	v_fmac_f64_e32 v[40:41], v[4:5], v[56:57]
	v_fma_f64 v[62:63], -v[2:3], v[56:57], v[14:15]
	s_waitcnt vmcnt(0)
	v_subrev_u32_e32 v0, s20, v0
	v_lshlrev_b32_e32 v22, 2, v0
	v_ashrrev_i32_e32 v23, 31, v22
	v_lshlrev_b64 v[22:23], 4, v[22:23]
	v_add_co_u32_e32 v72, vcc, s4, v22
	v_addc_co_u32_e32 v73, vcc, v53, v23, vcc
	global_load_dwordx4 v[0:3], v[20:21], off
	global_load_dwordx4 v[4:7], v[20:21], off offset:48
	global_load_dwordx4 v[8:11], v[20:21], off offset:32
	;; [unrolled: 1-line block ×6, first 2 shown]
	global_load_dwordx4 v[66:69], v[72:73], off
	s_waitcnt vmcnt(7)
	v_cvt_f64_f32_e32 v[70:71], v0
	v_cvt_f64_f32_e32 v[0:1], v1
	s_waitcnt vmcnt(0)
	v_fmac_f64_e32 v[26:27], v[70:71], v[66:67]
	v_fma_f64 v[26:27], -v[0:1], v[68:69], v[26:27]
	v_fmac_f64_e32 v[44:45], v[0:1], v[66:67]
	v_cvt_f64_f32_e32 v[0:1], v2
	v_cvt_f64_f32_e32 v[2:3], v3
	v_fmac_f64_e32 v[18:19], v[0:1], v[66:67]
	v_fmac_f64_e32 v[42:43], v[2:3], v[66:67]
	v_fma_f64 v[18:19], -v[2:3], v[68:69], v[18:19]
	v_fmac_f64_e32 v[42:43], v[0:1], v[68:69]
	v_cvt_f64_f32_e32 v[0:1], v14
	v_cvt_f64_f32_e32 v[2:3], v15
	v_fmac_f64_e32 v[50:51], v[0:1], v[66:67]
	;; [unrolled: 6-line block ×3, first 2 shown]
	v_fmac_f64_e32 v[38:39], v[2:3], v[66:67]
	v_fmac_f64_e32 v[44:45], v[70:71], v[68:69]
	v_fma_f64 v[16:17], -v[2:3], v[68:69], v[62:63]
	v_fmac_f64_e32 v[38:39], v[0:1], v[68:69]
	v_cvt_f64_f32_e32 v[0:1], v8
	v_cvt_f64_f32_e32 v[2:3], v9
	v_fmac_f64_e32 v[26:27], v[0:1], v[58:59]
	v_fmac_f64_e32 v[44:45], v[2:3], v[58:59]
	v_fma_f64 v[26:27], -v[2:3], v[60:61], v[26:27]
	v_fmac_f64_e32 v[44:45], v[0:1], v[60:61]
	v_cvt_f64_f32_e32 v[0:1], v10
	v_cvt_f64_f32_e32 v[2:3], v11
	v_fmac_f64_e32 v[18:19], v[0:1], v[58:59]
	v_fmac_f64_e32 v[42:43], v[2:3], v[58:59]
	v_fma_f64 v[18:19], -v[2:3], v[60:61], v[18:19]
	v_fmac_f64_e32 v[42:43], v[0:1], v[60:61]
	v_cvt_f64_f32_e32 v[0:1], v4
	v_cvt_f64_f32_e32 v[2:3], v5
	v_fmac_f64_e32 v[14:15], v[0:1], v[58:59]
	v_fmac_f64_e32 v[40:41], v[2:3], v[58:59]
	v_fma_f64 v[50:51], -v[2:3], v[60:61], v[14:15]
	v_fmac_f64_e32 v[40:41], v[0:1], v[60:61]
	v_cvt_f64_f32_e32 v[0:1], v6
	v_cvt_f64_f32_e32 v[2:3], v7
	v_fmac_f64_e32 v[16:17], v[0:1], v[58:59]
	v_fmac_f64_e32 v[38:39], v[2:3], v[58:59]
	v_fma_f64 v[62:63], -v[2:3], v[60:61], v[16:17]
	v_fmac_f64_e32 v[38:39], v[0:1], v[60:61]
	global_load_dwordx4 v[0:3], v[20:21], off offset:112
	global_load_dwordx4 v[4:7], v[20:21], off offset:96
	global_load_dwordx4 v[8:11], v[20:21], off offset:80
	global_load_dwordx4 v[14:17], v[20:21], off offset:64
	s_waitcnt vmcnt(0)
	v_cvt_f64_f32_e32 v[58:59], v14
	v_cvt_f64_f32_e32 v[14:15], v15
	v_fmac_f64_e32 v[26:27], v[58:59], v[22:23]
	v_fma_f64 v[26:27], -v[14:15], v[24:25], v[26:27]
	v_fmac_f64_e32 v[44:45], v[14:15], v[22:23]
	v_cvt_f64_f32_e32 v[14:15], v16
	v_cvt_f64_f32_e32 v[16:17], v17
	v_fmac_f64_e32 v[42:43], v[16:17], v[22:23]
	v_fmac_f64_e32 v[18:19], v[14:15], v[22:23]
	v_fmac_f64_e32 v[42:43], v[14:15], v[24:25]
	v_cvt_f64_f32_e32 v[14:15], v8
	v_cvt_f64_f32_e32 v[8:9], v9
	v_fmac_f64_e32 v[50:51], v[14:15], v[22:23]
	v_fma_f64 v[18:19], -v[16:17], v[24:25], v[18:19]
	v_fma_f64 v[16:17], -v[8:9], v[24:25], v[50:51]
	v_fmac_f64_e32 v[40:41], v[8:9], v[22:23]
	v_cvt_f64_f32_e32 v[8:9], v10
	v_cvt_f64_f32_e32 v[10:11], v11
	v_fmac_f64_e32 v[38:39], v[10:11], v[22:23]
	v_fmac_f64_e32 v[62:63], v[8:9], v[22:23]
	;; [unrolled: 1-line block ×3, first 2 shown]
	v_cvt_f64_f32_e32 v[8:9], v4
	v_fmac_f64_e32 v[44:45], v[58:59], v[24:25]
	v_cvt_f64_f32_e32 v[4:5], v5
	v_fmac_f64_e32 v[26:27], v[8:9], v[54:55]
	v_fma_f64 v[50:51], -v[4:5], v[56:57], v[26:27]
	v_fmac_f64_e32 v[44:45], v[4:5], v[54:55]
	v_cvt_f64_f32_e32 v[4:5], v6
	v_cvt_f64_f32_e32 v[6:7], v7
	v_fmac_f64_e32 v[42:43], v[6:7], v[54:55]
	v_fmac_f64_e32 v[18:19], v[4:5], v[54:55]
	v_fmac_f64_e32 v[42:43], v[4:5], v[56:57]
	v_cvt_f64_f32_e32 v[4:5], v0
	v_fmac_f64_e32 v[40:41], v[14:15], v[24:25]
	v_cvt_f64_f32_e32 v[0:1], v1
	v_fmac_f64_e32 v[16:17], v[4:5], v[54:55]
	v_fma_f64 v[14:15], -v[10:11], v[24:25], v[62:63]
	v_fma_f64 v[24:25], -v[0:1], v[56:57], v[16:17]
	v_fmac_f64_e32 v[40:41], v[0:1], v[54:55]
	v_cvt_f64_f32_e32 v[0:1], v2
	v_cvt_f64_f32_e32 v[2:3], v3
	v_fmac_f64_e32 v[38:39], v[2:3], v[54:55]
	v_fmac_f64_e32 v[14:15], v[0:1], v[54:55]
	;; [unrolled: 1-line block ×3, first 2 shown]
	global_load_dword v0, v[12:13], off offset:192
	v_fmac_f64_e32 v[44:45], v[8:9], v[56:57]
	v_fma_f64 v[26:27], -v[6:7], v[56:57], v[18:19]
	v_fmac_f64_e32 v[40:41], v[4:5], v[56:57]
	v_fma_f64 v[22:23], -v[2:3], v[56:57], v[14:15]
	s_waitcnt vmcnt(0)
	v_subrev_u32_e32 v0, s20, v0
	v_lshlrev_b32_e32 v12, 2, v0
	v_ashrrev_i32_e32 v13, 31, v12
	v_lshlrev_b64 v[12:13], 4, v[12:13]
	v_add_co_u32_e32 v70, vcc, s4, v12
	global_load_dwordx4 v[0:3], v[20:21], off offset:2096
	global_load_dwordx4 v[4:7], v[20:21], off offset:2080
	;; [unrolled: 1-line block ×4, first 2 shown]
	v_addc_co_u32_e32 v71, vcc, v53, v13, vcc
	global_load_dwordx4 v[12:15], v[70:71], off offset:48
	global_load_dwordx4 v[16:19], v[70:71], off offset:32
	;; [unrolled: 1-line block ×3, first 2 shown]
	global_load_dwordx4 v[66:69], v[70:71], off
	v_add_co_u32_e32 v48, vcc, 0x2000, v48
	v_addc_co_u32_e32 v49, vcc, 0, v49, vcc
	s_waitcnt vmcnt(4)
	v_cvt_f64_f32_e32 v[62:63], v54
	v_cvt_f64_f32_e32 v[54:55], v55
	s_waitcnt vmcnt(0)
	v_fmac_f64_e32 v[50:51], v[62:63], v[66:67]
	v_fma_f64 v[50:51], -v[54:55], v[68:69], v[50:51]
	v_fmac_f64_e32 v[44:45], v[54:55], v[66:67]
	v_cvt_f64_f32_e32 v[54:55], v56
	v_cvt_f64_f32_e32 v[56:57], v57
	v_fmac_f64_e32 v[42:43], v[56:57], v[66:67]
	v_fmac_f64_e32 v[26:27], v[54:55], v[66:67]
	;; [unrolled: 1-line block ×3, first 2 shown]
	v_cvt_f64_f32_e32 v[54:55], v8
	v_cvt_f64_f32_e32 v[8:9], v9
	v_fmac_f64_e32 v[24:25], v[54:55], v[66:67]
	v_fma_f64 v[24:25], -v[8:9], v[68:69], v[24:25]
	v_fmac_f64_e32 v[40:41], v[8:9], v[66:67]
	v_cvt_f64_f32_e32 v[8:9], v10
	v_cvt_f64_f32_e32 v[10:11], v11
	v_fmac_f64_e32 v[38:39], v[10:11], v[66:67]
	v_fmac_f64_e32 v[22:23], v[8:9], v[66:67]
	v_fmac_f64_e32 v[38:39], v[8:9], v[68:69]
	v_cvt_f64_f32_e32 v[8:9], v4
	v_fmac_f64_e32 v[44:45], v[62:63], v[68:69]
	v_cvt_f64_f32_e32 v[4:5], v5
	v_fmac_f64_e32 v[50:51], v[8:9], v[58:59]
	v_fma_f64 v[50:51], -v[4:5], v[60:61], v[50:51]
	v_fmac_f64_e32 v[44:45], v[4:5], v[58:59]
	v_cvt_f64_f32_e32 v[4:5], v6
	v_cvt_f64_f32_e32 v[6:7], v7
	v_fma_f64 v[26:27], -v[56:57], v[68:69], v[26:27]
	v_fmac_f64_e32 v[42:43], v[6:7], v[58:59]
	v_fmac_f64_e32 v[26:27], v[4:5], v[58:59]
	;; [unrolled: 1-line block ×3, first 2 shown]
	v_cvt_f64_f32_e32 v[4:5], v0
	v_fmac_f64_e32 v[40:41], v[54:55], v[68:69]
	v_cvt_f64_f32_e32 v[0:1], v1
	v_fmac_f64_e32 v[24:25], v[4:5], v[58:59]
	v_fma_f64 v[22:23], -v[10:11], v[68:69], v[22:23]
	v_fma_f64 v[54:55], -v[0:1], v[60:61], v[24:25]
	v_fmac_f64_e32 v[40:41], v[0:1], v[58:59]
	v_cvt_f64_f32_e32 v[0:1], v2
	v_cvt_f64_f32_e32 v[2:3], v3
	v_fmac_f64_e32 v[22:23], v[0:1], v[58:59]
	v_fmac_f64_e32 v[38:39], v[2:3], v[58:59]
	;; [unrolled: 1-line block ×3, first 2 shown]
	v_fma_f64 v[26:27], -v[6:7], v[60:61], v[26:27]
	v_fmac_f64_e32 v[40:41], v[4:5], v[60:61]
	v_fma_f64 v[56:57], -v[2:3], v[60:61], v[22:23]
	v_fmac_f64_e32 v[38:39], v[0:1], v[60:61]
	global_load_dwordx4 v[0:3], v[20:21], off offset:2160
	global_load_dwordx4 v[4:7], v[20:21], off offset:2144
	;; [unrolled: 1-line block ×4, first 2 shown]
	s_waitcnt vmcnt(0)
	v_cvt_f64_f32_e32 v[20:21], v22
	v_cvt_f64_f32_e32 v[22:23], v23
	v_fmac_f64_e32 v[50:51], v[20:21], v[16:17]
	v_fma_f64 v[50:51], -v[22:23], v[18:19], v[50:51]
	v_fmac_f64_e32 v[44:45], v[22:23], v[16:17]
	v_cvt_f64_f32_e32 v[22:23], v25
	v_fmac_f64_e32 v[44:45], v[20:21], v[18:19]
	v_cvt_f64_f32_e32 v[20:21], v24
	v_fmac_f64_e32 v[42:43], v[22:23], v[16:17]
	v_fmac_f64_e32 v[26:27], v[20:21], v[16:17]
	;; [unrolled: 1-line block ×3, first 2 shown]
	v_cvt_f64_f32_e32 v[20:21], v8
	v_cvt_f64_f32_e32 v[8:9], v9
	v_fmac_f64_e32 v[54:55], v[20:21], v[16:17]
	v_fma_f64 v[24:25], -v[22:23], v[18:19], v[26:27]
	v_fma_f64 v[22:23], -v[8:9], v[18:19], v[54:55]
	v_fmac_f64_e32 v[40:41], v[8:9], v[16:17]
	v_cvt_f64_f32_e32 v[8:9], v10
	v_cvt_f64_f32_e32 v[10:11], v11
	v_fmac_f64_e32 v[38:39], v[10:11], v[16:17]
	v_fmac_f64_e32 v[56:57], v[8:9], v[16:17]
	;; [unrolled: 1-line block ×3, first 2 shown]
	v_cvt_f64_f32_e32 v[8:9], v4
	v_cvt_f64_f32_e32 v[4:5], v5
	v_fmac_f64_e32 v[50:51], v[8:9], v[12:13]
	v_fmac_f64_e32 v[40:41], v[20:21], v[18:19]
	v_fma_f64 v[20:21], -v[10:11], v[18:19], v[56:57]
	v_fma_f64 v[56:57], -v[4:5], v[14:15], v[50:51]
	v_fmac_f64_e32 v[44:45], v[4:5], v[12:13]
	v_cvt_f64_f32_e32 v[4:5], v6
	v_cvt_f64_f32_e32 v[6:7], v7
	v_fmac_f64_e32 v[42:43], v[6:7], v[12:13]
	v_fmac_f64_e32 v[24:25], v[4:5], v[12:13]
	;; [unrolled: 1-line block ×3, first 2 shown]
	v_cvt_f64_f32_e32 v[4:5], v0
	v_cvt_f64_f32_e32 v[0:1], v1
	v_fmac_f64_e32 v[22:23], v[4:5], v[12:13]
	v_fma_f64 v[54:55], -v[0:1], v[14:15], v[22:23]
	v_fmac_f64_e32 v[40:41], v[0:1], v[12:13]
	v_cvt_f64_f32_e32 v[0:1], v2
	v_cvt_f64_f32_e32 v[2:3], v3
	v_fmac_f64_e32 v[20:21], v[0:1], v[12:13]
	v_fmac_f64_e32 v[38:39], v[2:3], v[12:13]
	;; [unrolled: 1-line block ×3, first 2 shown]
	v_fma_f64 v[58:59], -v[6:7], v[14:15], v[24:25]
	v_fmac_f64_e32 v[40:41], v[4:5], v[14:15]
	v_fma_f64 v[16:17], -v[2:3], v[14:15], v[20:21]
	v_fmac_f64_e32 v[38:39], v[0:1], v[14:15]
	s_andn2_b64 exec, exec, s[10:11]
	s_cbranch_execnz .LBB167_35
; %bb.36:
	s_or_b64 exec, exec, s[10:11]
.LBB167_37:
	s_or_b64 exec, exec, s[8:9]
.LBB167_38:
	s_or_b64 exec, exec, s[2:3]
.LBB167_39:
	v_mov_b32_dpp v22, v40 row_shr:1 row_mask:0xf bank_mask:0xf
	v_mov_b32_dpp v23, v41 row_shr:1 row_mask:0xf bank_mask:0xf
	;; [unrolled: 1-line block ×12, first 2 shown]
	v_add_f64 v[22:23], v[40:41], v[22:23]
	v_mov_b32_dpp v26, v16 row_shr:1 row_mask:0xf bank_mask:0xf
	v_mov_b32_dpp v27, v17 row_shr:1 row_mask:0xf bank_mask:0xf
	;; [unrolled: 1-line block ×4, first 2 shown]
	v_add_f64 v[0:1], v[56:57], v[0:1]
	v_add_f64 v[4:5], v[44:45], v[4:5]
	v_add_f64 v[8:9], v[58:59], v[8:9]
	v_add_f64 v[12:13], v[42:43], v[12:13]
	v_add_f64 v[18:19], v[54:55], v[18:19]
	v_add_f64 v[16:17], v[16:17], v[26:27]
	v_add_f64 v[38:39], v[38:39], v[40:41]
	v_mov_b32_dpp v2, v0 row_shr:2 row_mask:0xf bank_mask:0xf
	v_mov_b32_dpp v3, v1 row_shr:2 row_mask:0xf bank_mask:0xf
	;; [unrolled: 1-line block ×16, first 2 shown]
	v_add_f64 v[0:1], v[0:1], v[2:3]
	v_add_f64 v[4:5], v[4:5], v[6:7]
	;; [unrolled: 1-line block ×8, first 2 shown]
	v_mov_b32_dpp v2, v0 row_shr:4 row_mask:0xf bank_mask:0xe
	v_mov_b32_dpp v3, v1 row_shr:4 row_mask:0xf bank_mask:0xe
	;; [unrolled: 1-line block ×16, first 2 shown]
	v_add_f64 v[0:1], v[0:1], v[2:3]
	v_add_f64 v[4:5], v[4:5], v[6:7]
	v_add_f64 v[8:9], v[8:9], v[10:11]
	v_add_f64 v[12:13], v[12:13], v[14:15]
	v_add_f64 v[18:19], v[18:19], v[20:21]
	v_add_f64 v[22:23], v[22:23], v[24:25]
	v_add_f64 v[16:17], v[16:17], v[26:27]
	v_add_f64 v[38:39], v[38:39], v[40:41]
	v_mov_b32_dpp v2, v0 row_shr:8 row_mask:0xf bank_mask:0xc
	v_mov_b32_dpp v3, v1 row_shr:8 row_mask:0xf bank_mask:0xc
	;; [unrolled: 1-line block ×16, first 2 shown]
	v_cmp_eq_u32_e32 vcc, 15, v37
	s_and_b64 exec, exec, vcc
	s_cbranch_execz .LBB167_12
; %bb.40:
	s_load_dwordx2 s[2:3], s[6:7], 0x60
	v_add_f64 v[42:43], v[0:1], v[2:3]
	v_add_f64 v[0:1], v[4:5], v[6:7]
	;; [unrolled: 1-line block ×8, first 2 shown]
	v_cmp_eq_f64_e32 vcc, 0, v[28:29]
	v_cmp_eq_f64_e64 s[0:1], 0, v[30:31]
	v_mul_f64 v[12:13], v[0:1], -v[34:35]
	v_mul_f64 v[14:15], v[32:33], v[0:1]
	v_mul_f64 v[8:9], v[2:3], -v[34:35]
	v_mul_f64 v[10:11], v[32:33], v[2:3]
	;; [unrolled: 2-line block ×4, first 2 shown]
	s_and_b64 s[0:1], vcc, s[0:1]
	v_fmac_f64_e32 v[12:13], v[32:33], v[42:43]
	v_fmac_f64_e32 v[14:15], v[34:35], v[42:43]
	v_lshlrev_b32_e32 v16, 2, v36
	v_fmac_f64_e32 v[8:9], v[32:33], v[44:45]
	v_fmac_f64_e32 v[10:11], v[34:35], v[44:45]
	;; [unrolled: 1-line block ×6, first 2 shown]
	s_and_saveexec_b64 s[4:5], s[0:1]
	s_xor_b64 s[0:1], exec, s[4:5]
	s_cbranch_execz .LBB167_42
; %bb.41:
	v_ashrrev_i32_e32 v17, 31, v16
	v_lshlrev_b64 v[16:17], 4, v[16:17]
	s_waitcnt lgkmcnt(0)
	v_mov_b32_e32 v18, s3
	v_add_co_u32_e32 v16, vcc, s2, v16
	v_addc_co_u32_e32 v17, vcc, v18, v17, vcc
	global_store_dwordx4 v[16:17], v[12:15], off
	global_store_dwordx4 v[16:17], v[8:11], off offset:16
	global_store_dwordx4 v[16:17], v[4:7], off offset:32
	;; [unrolled: 1-line block ×3, first 2 shown]
                                        ; implicit-def: $vgpr28_vgpr29
                                        ; implicit-def: $vgpr30_vgpr31
                                        ; implicit-def: $vgpr12_vgpr13
                                        ; implicit-def: $vgpr16
                                        ; implicit-def: $vgpr8_vgpr9
                                        ; implicit-def: $vgpr4_vgpr5
                                        ; implicit-def: $vgpr0_vgpr1
.LBB167_42:
	s_andn2_saveexec_b64 s[0:1], s[0:1]
	s_cbranch_execz .LBB167_12
; %bb.43:
	v_ashrrev_i32_e32 v17, 31, v16
	v_lshlrev_b64 v[16:17], 4, v[16:17]
	s_waitcnt lgkmcnt(0)
	v_mov_b32_e32 v18, s3
	v_add_co_u32_e32 v36, vcc, s2, v16
	v_addc_co_u32_e32 v37, vcc, v18, v17, vcc
	global_load_dwordx4 v[16:19], v[36:37], off
	global_load_dwordx4 v[20:23], v[36:37], off offset:16
	global_load_dwordx4 v[24:27], v[36:37], off offset:32
	;; [unrolled: 1-line block ×3, first 2 shown]
	s_waitcnt vmcnt(3)
	v_fmac_f64_e32 v[12:13], v[28:29], v[16:17]
	v_fmac_f64_e32 v[14:15], v[30:31], v[16:17]
	s_waitcnt vmcnt(2)
	v_fmac_f64_e32 v[8:9], v[28:29], v[20:21]
	v_fmac_f64_e32 v[10:11], v[30:31], v[20:21]
	;; [unrolled: 3-line block ×4, first 2 shown]
	v_fma_f64 v[12:13], -v[30:31], v[18:19], v[12:13]
	v_fmac_f64_e32 v[14:15], v[28:29], v[18:19]
	v_fma_f64 v[8:9], -v[30:31], v[22:23], v[8:9]
	v_fmac_f64_e32 v[10:11], v[28:29], v[22:23]
	;; [unrolled: 2-line block ×4, first 2 shown]
	global_store_dwordx4 v[36:37], v[12:15], off
	global_store_dwordx4 v[36:37], v[8:11], off offset:16
	global_store_dwordx4 v[36:37], v[4:7], off offset:32
	;; [unrolled: 1-line block ×3, first 2 shown]
	s_endpgm
	.section	.rodata,"a",@progbits
	.p2align	6, 0x0
	.amdhsa_kernel _ZN9rocsparseL18bsrxmvn_4x4_kernelILj128ELj16E21rocsparse_complex_numIdEiiS1_IfES2_S2_EEvT3_20rocsparse_direction_NS_24const_host_device_scalarIT1_EES4_PKS4_PKT2_SD_SA_PKT4_PKT5_S8_PT6_21rocsparse_index_base_b
		.amdhsa_group_segment_fixed_size 2048
		.amdhsa_private_segment_fixed_size 0
		.amdhsa_kernarg_size 112
		.amdhsa_user_sgpr_count 8
		.amdhsa_user_sgpr_private_segment_buffer 1
		.amdhsa_user_sgpr_dispatch_ptr 1
		.amdhsa_user_sgpr_queue_ptr 0
		.amdhsa_user_sgpr_kernarg_segment_ptr 1
		.amdhsa_user_sgpr_dispatch_id 0
		.amdhsa_user_sgpr_flat_scratch_init 0
		.amdhsa_user_sgpr_kernarg_preload_length 0
		.amdhsa_user_sgpr_kernarg_preload_offset 0
		.amdhsa_user_sgpr_private_segment_size 0
		.amdhsa_uses_dynamic_stack 0
		.amdhsa_system_sgpr_private_segment_wavefront_offset 0
		.amdhsa_system_sgpr_workgroup_id_x 1
		.amdhsa_system_sgpr_workgroup_id_y 0
		.amdhsa_system_sgpr_workgroup_id_z 0
		.amdhsa_system_sgpr_workgroup_info 0
		.amdhsa_system_vgpr_workitem_id 2
		.amdhsa_next_free_vgpr 120
		.amdhsa_next_free_sgpr 22
		.amdhsa_accum_offset 120
		.amdhsa_reserve_vcc 1
		.amdhsa_reserve_flat_scratch 0
		.amdhsa_float_round_mode_32 0
		.amdhsa_float_round_mode_16_64 0
		.amdhsa_float_denorm_mode_32 3
		.amdhsa_float_denorm_mode_16_64 3
		.amdhsa_dx10_clamp 1
		.amdhsa_ieee_mode 1
		.amdhsa_fp16_overflow 0
		.amdhsa_tg_split 0
		.amdhsa_exception_fp_ieee_invalid_op 0
		.amdhsa_exception_fp_denorm_src 0
		.amdhsa_exception_fp_ieee_div_zero 0
		.amdhsa_exception_fp_ieee_overflow 0
		.amdhsa_exception_fp_ieee_underflow 0
		.amdhsa_exception_fp_ieee_inexact 0
		.amdhsa_exception_int_div_zero 0
	.end_amdhsa_kernel
	.section	.text._ZN9rocsparseL18bsrxmvn_4x4_kernelILj128ELj16E21rocsparse_complex_numIdEiiS1_IfES2_S2_EEvT3_20rocsparse_direction_NS_24const_host_device_scalarIT1_EES4_PKS4_PKT2_SD_SA_PKT4_PKT5_S8_PT6_21rocsparse_index_base_b,"axG",@progbits,_ZN9rocsparseL18bsrxmvn_4x4_kernelILj128ELj16E21rocsparse_complex_numIdEiiS1_IfES2_S2_EEvT3_20rocsparse_direction_NS_24const_host_device_scalarIT1_EES4_PKS4_PKT2_SD_SA_PKT4_PKT5_S8_PT6_21rocsparse_index_base_b,comdat
.Lfunc_end167:
	.size	_ZN9rocsparseL18bsrxmvn_4x4_kernelILj128ELj16E21rocsparse_complex_numIdEiiS1_IfES2_S2_EEvT3_20rocsparse_direction_NS_24const_host_device_scalarIT1_EES4_PKS4_PKT2_SD_SA_PKT4_PKT5_S8_PT6_21rocsparse_index_base_b, .Lfunc_end167-_ZN9rocsparseL18bsrxmvn_4x4_kernelILj128ELj16E21rocsparse_complex_numIdEiiS1_IfES2_S2_EEvT3_20rocsparse_direction_NS_24const_host_device_scalarIT1_EES4_PKS4_PKT2_SD_SA_PKT4_PKT5_S8_PT6_21rocsparse_index_base_b
                                        ; -- End function
	.section	.AMDGPU.csdata,"",@progbits
; Kernel info:
; codeLenInByte = 8756
; NumSgprs: 26
; NumVgprs: 120
; NumAgprs: 0
; TotalNumVgprs: 120
; ScratchSize: 0
; MemoryBound: 0
; FloatMode: 240
; IeeeMode: 1
; LDSByteSize: 2048 bytes/workgroup (compile time only)
; SGPRBlocks: 3
; VGPRBlocks: 14
; NumSGPRsForWavesPerEU: 26
; NumVGPRsForWavesPerEU: 120
; AccumOffset: 120
; Occupancy: 4
; WaveLimiterHint : 1
; COMPUTE_PGM_RSRC2:SCRATCH_EN: 0
; COMPUTE_PGM_RSRC2:USER_SGPR: 8
; COMPUTE_PGM_RSRC2:TRAP_HANDLER: 0
; COMPUTE_PGM_RSRC2:TGID_X_EN: 1
; COMPUTE_PGM_RSRC2:TGID_Y_EN: 0
; COMPUTE_PGM_RSRC2:TGID_Z_EN: 0
; COMPUTE_PGM_RSRC2:TIDIG_COMP_CNT: 2
; COMPUTE_PGM_RSRC3_GFX90A:ACCUM_OFFSET: 29
; COMPUTE_PGM_RSRC3_GFX90A:TG_SPLIT: 0
	.section	.text._ZN9rocsparseL18bsrxmvn_4x4_kernelILj128ELj32E21rocsparse_complex_numIdEiiS1_IfES2_S2_EEvT3_20rocsparse_direction_NS_24const_host_device_scalarIT1_EES4_PKS4_PKT2_SD_SA_PKT4_PKT5_S8_PT6_21rocsparse_index_base_b,"axG",@progbits,_ZN9rocsparseL18bsrxmvn_4x4_kernelILj128ELj32E21rocsparse_complex_numIdEiiS1_IfES2_S2_EEvT3_20rocsparse_direction_NS_24const_host_device_scalarIT1_EES4_PKS4_PKT2_SD_SA_PKT4_PKT5_S8_PT6_21rocsparse_index_base_b,comdat
	.globl	_ZN9rocsparseL18bsrxmvn_4x4_kernelILj128ELj32E21rocsparse_complex_numIdEiiS1_IfES2_S2_EEvT3_20rocsparse_direction_NS_24const_host_device_scalarIT1_EES4_PKS4_PKT2_SD_SA_PKT4_PKT5_S8_PT6_21rocsparse_index_base_b ; -- Begin function _ZN9rocsparseL18bsrxmvn_4x4_kernelILj128ELj32E21rocsparse_complex_numIdEiiS1_IfES2_S2_EEvT3_20rocsparse_direction_NS_24const_host_device_scalarIT1_EES4_PKS4_PKT2_SD_SA_PKT4_PKT5_S8_PT6_21rocsparse_index_base_b
	.p2align	8
	.type	_ZN9rocsparseL18bsrxmvn_4x4_kernelILj128ELj32E21rocsparse_complex_numIdEiiS1_IfES2_S2_EEvT3_20rocsparse_direction_NS_24const_host_device_scalarIT1_EES4_PKS4_PKT2_SD_SA_PKT4_PKT5_S8_PT6_21rocsparse_index_base_b,@function
_ZN9rocsparseL18bsrxmvn_4x4_kernelILj128ELj32E21rocsparse_complex_numIdEiiS1_IfES2_S2_EEvT3_20rocsparse_direction_NS_24const_host_device_scalarIT1_EES4_PKS4_PKT2_SD_SA_PKT4_PKT5_S8_PT6_21rocsparse_index_base_b: ; @_ZN9rocsparseL18bsrxmvn_4x4_kernelILj128ELj32E21rocsparse_complex_numIdEiiS1_IfES2_S2_EEvT3_20rocsparse_direction_NS_24const_host_device_scalarIT1_EES4_PKS4_PKT2_SD_SA_PKT4_PKT5_S8_PT6_21rocsparse_index_base_b
; %bb.0:
	s_load_dwordx2 s[20:21], s[6:7], 0x68
	s_load_dwordx4 s[12:15], s[6:7], 0x8
	s_load_dwordx2 s[10:11], s[4:5], 0x4
	s_load_dwordx4 s[16:19], s[6:7], 0x50
	s_mov_b64 s[2:3], src_shared_base
	v_bfe_u32 v2, v0, 10, 10
	s_waitcnt lgkmcnt(0)
	s_bitcmp1_b32 s21, 0
	s_cselect_b64 s[0:1], -1, 0
	s_and_b64 vcc, s[0:1], exec
	s_cselect_b32 s2, s3, s13
	s_lshr_b32 s4, s10, 16
	v_and_b32_e32 v1, 0x3ff, v0
	s_mul_i32 s4, s4, s11
	v_mul_u32_u24_e32 v2, s11, v2
	v_mad_u32_u24 v2, s4, v1, v2
	v_bfe_u32 v0, v0, 20, 10
	v_add_lshl_u32 v0, v2, v0, 3
	v_mov_b32_e32 v6, s12
	v_add_u32_e32 v7, 0x400, v0
	v_pk_mov_b32 v[2:3], s[12:13], s[12:13] op_sel:[0,1]
	v_pk_mov_b32 v[4:5], s[16:17], s[16:17] op_sel:[0,1]
	ds_write2st64_b64 v0, v[4:5], v[2:3] offset1:2
	v_cndmask_b32_e64 v2, v6, v7, s[0:1]
	v_mov_b32_e32 v3, s2
	flat_load_dwordx2 v[20:21], v[2:3]
	s_xor_b64 s[4:5], s[0:1], -1
	v_pk_mov_b32 v[22:23], s[14:15], s[14:15] op_sel:[0,1]
	s_cbranch_vccnz .LBB168_2
; %bb.1:
	v_pk_mov_b32 v[2:3], s[12:13], s[12:13] op_sel:[0,1]
	flat_load_dwordx2 v[22:23], v[2:3] offset:8
.LBB168_2:
	s_and_b64 s[10:11], s[0:1], exec
	s_cselect_b32 s2, s3, s17
	v_mov_b32_e32 v2, s16
	v_cndmask_b32_e64 v2, v2, v0, s[0:1]
	v_mov_b32_e32 v3, s2
	flat_load_dwordx2 v[16:17], v[2:3]
	s_andn2_b64 vcc, exec, s[4:5]
	v_pk_mov_b32 v[18:19], s[18:19], s[18:19] op_sel:[0,1]
	s_cbranch_vccnz .LBB168_4
; %bb.3:
	v_pk_mov_b32 v[2:3], s[16:17], s[16:17] op_sel:[0,1]
	flat_load_dwordx2 v[18:19], v[2:3] offset:8
.LBB168_4:
	s_waitcnt vmcnt(0) lgkmcnt(0)
	v_cmp_eq_f64_e32 vcc, 0, v[20:21]
	v_cmp_eq_f64_e64 s[0:1], 0, v[22:23]
	s_and_b64 s[4:5], vcc, s[0:1]
	s_mov_b64 s[0:1], -1
	s_and_saveexec_b64 s[2:3], s[4:5]
; %bb.5:
	v_cmp_neq_f64_e32 vcc, 1.0, v[16:17]
	v_cmp_neq_f64_e64 s[0:1], 0, v[18:19]
	s_or_b64 s[0:1], vcc, s[0:1]
	s_orn2_b64 s[0:1], s[0:1], exec
; %bb.6:
	s_or_b64 exec, exec, s[2:3]
	s_and_saveexec_b64 s[2:3], s[0:1]
	s_cbranch_execz .LBB168_12
; %bb.7:
	s_load_dwordx2 s[4:5], s[6:7], 0x20
	s_load_dwordx2 s[0:1], s[6:7], 0x0
	v_lshrrev_b32_e32 v0, 5, v1
	v_lshl_or_b32 v24, s8, 2, v0
	s_mov_b64 s[2:3], 0
	s_waitcnt lgkmcnt(0)
	s_cmp_lg_u64 s[4:5], 0
	s_cbranch_scc0 .LBB168_13
; %bb.8:
	s_load_dword s8, s[6:7], 0x18
                                        ; implicit-def: $vgpr0
	s_waitcnt lgkmcnt(0)
	v_cmp_gt_i32_e32 vcc, s8, v24
	s_and_saveexec_b64 s[8:9], vcc
	s_xor_b64 s[8:9], exec, s[8:9]
	s_cbranch_execz .LBB168_10
; %bb.9:
	v_ashrrev_i32_e32 v25, 31, v24
	v_lshlrev_b64 v[2:3], 2, v[24:25]
	v_mov_b32_e32 v0, s5
	v_add_co_u32_e32 v2, vcc, s4, v2
	v_addc_co_u32_e32 v3, vcc, v0, v3, vcc
	global_load_dword v0, v[2:3], off
	s_mov_b64 s[2:3], exec
	s_waitcnt vmcnt(0)
	v_subrev_u32_e32 v0, s20, v0
.LBB168_10:
	s_or_b64 exec, exec, s[8:9]
	s_branch .LBB168_14
.LBB168_11:
	v_cmp_gt_i32_e32 vcc, s0, v24
	s_andn2_b64 s[2:3], s[2:3], exec
	s_and_b64 s[4:5], vcc, exec
	s_or_b64 s[2:3], s[2:3], s[4:5]
	s_and_b64 exec, exec, s[2:3]
	s_cbranch_execnz .LBB168_15
.LBB168_12:
	s_endpgm
.LBB168_13:
                                        ; implicit-def: $vgpr0
	s_cbranch_execnz .LBB168_11
.LBB168_14:
	v_mov_b32_e32 v24, v0
	s_and_b64 exec, exec, s[2:3]
	s_cbranch_execz .LBB168_12
.LBB168_15:
	s_load_dwordx8 s[8:15], s[6:7], 0x28
	v_ashrrev_i32_e32 v25, 31, v24
	v_lshlrev_b64 v[2:3], 2, v[24:25]
	v_and_b32_e32 v25, 31, v1
	s_load_dwordx2 s[4:5], s[6:7], 0x48
	s_waitcnt lgkmcnt(0)
	v_mov_b32_e32 v0, s9
	v_add_co_u32_e32 v4, vcc, s8, v2
	v_addc_co_u32_e32 v5, vcc, v0, v3, vcc
	v_add_co_u32_e32 v0, vcc, 4, v4
	global_load_dword v57, v[4:5], off
	v_addc_co_u32_e32 v4, vcc, 0, v5, vcc
	v_mov_b32_e32 v5, s11
	v_add_co_u32_e32 v2, vcc, s10, v2
	s_cmp_eq_u64 s[10:11], 0
	v_addc_co_u32_e32 v3, vcc, v5, v3, vcc
	s_cselect_b64 vcc, -1, 0
	v_cndmask_b32_e32 v3, v3, v4, vcc
	v_cndmask_b32_e32 v2, v2, v0, vcc
	global_load_dword v0, v[2:3], off
	v_mov_b32_e32 v2, s15
	s_cmp_eq_u32 s1, 1
	s_waitcnt vmcnt(1)
	v_subrev_u32_e32 v1, s20, v57
	v_add_u32_e32 v34, v1, v25
	v_ashrrev_i32_e32 v35, 31, v34
	s_waitcnt vmcnt(0)
	v_subrev_u32_e32 v56, s20, v0
	v_lshlrev_b64 v[0:1], 7, v[34:35]
	v_add_co_u32_e32 v36, vcc, s14, v0
	v_addc_co_u32_e32 v37, vcc, v2, v1, vcc
	v_cmp_lt_i32_e64 s[0:1], v34, v56
	s_cbranch_scc1 .LBB168_27
; %bb.16:
	v_pk_mov_b32 v[32:33], 0, 0
	s_mov_b64 s[8:9], 0
	v_pk_mov_b32 v[44:45], v[32:33], v[32:33] op_sel:[0,1]
	v_pk_mov_b32 v[30:31], v[32:33], v[32:33] op_sel:[0,1]
	;; [unrolled: 1-line block ×7, first 2 shown]
	s_and_saveexec_b64 s[10:11], s[0:1]
	s_cbranch_execz .LBB168_26
; %bb.17:
	v_add_u32_e32 v0, v57, v25
	v_subrev_u32_e32 v0, s20, v0
	v_add_u32_e32 v0, 32, v0
	v_max_i32_e32 v0, v0, v56
	v_not_b32_e32 v1, v57
	v_add3_u32 v0, v0, s20, v1
	v_sub_u32_e32 v12, v0, v25
	v_lshrrev_b32_e32 v0, 5, v12
	v_add_u32_e32 v0, 1, v0
	v_and_b32_e32 v0, 3, v0
	v_pk_mov_b32 v[46:47], 0, 0
	v_cmp_ne_u32_e32 vcc, 0, v0
	v_pk_mov_b32 v[26:27], v[46:47], v[46:47] op_sel:[0,1]
	v_pk_mov_b32 v[42:43], v[46:47], v[46:47] op_sel:[0,1]
	;; [unrolled: 1-line block ×8, first 2 shown]
	v_mov_b32_e32 v38, v34
	s_and_saveexec_b64 s[14:15], vcc
	s_cbranch_execz .LBB168_21
; %bb.18:
	v_pk_mov_b32 v[32:33], 0, 0
	v_lshlrev_b32_e32 v13, 7, v0
	s_mov_b64 s[16:17], 0
	v_mov_b32_e32 v14, s13
	v_mov_b32_e32 v15, s5
	;; [unrolled: 1-line block ×3, first 2 shown]
	v_pk_mov_b32 v[40:41], v[36:37], v[36:37] op_sel:[0,1]
	v_pk_mov_b32 v[44:45], v[32:33], v[32:33] op_sel:[0,1]
	;; [unrolled: 1-line block ×8, first 2 shown]
.LBB168_19:                             ; =>This Inner Loop Header: Depth=1
	v_ashrrev_i32_e32 v39, 31, v38
	v_lshlrev_b64 v[54:55], 2, v[38:39]
	v_add_co_u32_e64 v54, s[2:3], s12, v54
	v_addc_co_u32_e64 v55, s[2:3], v14, v55, s[2:3]
	global_load_dwordx4 v[8:11], v[40:41], off
	global_load_dwordx4 v[4:7], v[40:41], off offset:16
	global_load_dwordx4 v[0:3], v[40:41], off offset:32
	;; [unrolled: 1-line block ×7, first 2 shown]
	global_load_dword v35, v[54:55], off
	v_add_co_u32_e32 v40, vcc, 0x1000, v40
	v_add_u32_e32 v13, 0xffffff80, v13
	v_addc_co_u32_e32 v41, vcc, 0, v41, vcc
	v_cmp_eq_u32_e32 vcc, 0, v13
	s_or_b64 s[16:17], vcc, s[16:17]
	v_add_u32_e32 v38, 32, v38
	s_waitcnt vmcnt(6)
	v_cvt_f64_f32_e32 v[92:93], v0
	v_cvt_f64_f32_e32 v[94:95], v1
	;; [unrolled: 1-line block ×6, first 2 shown]
	s_waitcnt vmcnt(0)
	v_subrev_u32_e32 v0, s20, v35
	v_lshlrev_b32_e32 v0, 2, v0
	v_ashrrev_i32_e32 v1, 31, v0
	v_lshlrev_b64 v[0:1], 4, v[0:1]
	v_add_co_u32_e32 v104, vcc, s4, v0
	v_addc_co_u32_e32 v105, vcc, v15, v1, vcc
	v_cvt_f64_f32_e32 v[82:83], v11
	v_cvt_f64_f32_e32 v[84:85], v4
	v_cvt_f64_f32_e32 v[86:87], v5
	v_cvt_f64_f32_e32 v[88:89], v6
	v_cvt_f64_f32_e32 v[90:91], v7
	v_cvt_f64_f32_e32 v[98:99], v3
	global_load_dwordx4 v[0:3], v[104:105], off
	global_load_dwordx4 v[4:7], v[104:105], off offset:16
	global_load_dwordx4 v[8:11], v[104:105], off offset:32
	;; [unrolled: 1-line block ×3, first 2 shown]
	v_cvt_f64_f32_e32 v[100:101], v58
	v_cvt_f64_f32_e32 v[58:59], v59
	;; [unrolled: 1-line block ×20, first 2 shown]
	s_waitcnt vmcnt(3)
	v_fmac_f64_e32 v[44:45], v[54:55], v[0:1]
	v_fmac_f64_e32 v[32:33], v[78:79], v[0:1]
	v_fmac_f64_e32 v[48:49], v[92:93], v[0:1]
	v_fmac_f64_e32 v[30:31], v[94:95], v[0:1]
	v_fmac_f64_e32 v[42:43], v[100:101], v[0:1]
	v_fmac_f64_e32 v[28:29], v[58:59], v[0:1]
	v_fmac_f64_e32 v[46:47], v[102:103], v[0:1]
	v_fmac_f64_e32 v[26:27], v[66:67], v[0:1]
	v_fma_f64 v[0:1], -v[78:79], v[2:3], v[44:45]
	v_fmac_f64_e32 v[32:33], v[54:55], v[2:3]
	v_fma_f64 v[44:45], -v[94:95], v[2:3], v[48:49]
	v_fmac_f64_e32 v[30:31], v[92:93], v[2:3]
	v_fma_f64 v[42:43], -v[58:59], v[2:3], v[42:43]
	v_fmac_f64_e32 v[28:29], v[100:101], v[2:3]
	v_fma_f64 v[46:47], -v[66:67], v[2:3], v[46:47]
	v_fmac_f64_e32 v[26:27], v[102:103], v[2:3]
	s_waitcnt vmcnt(2)
	v_fmac_f64_e32 v[0:1], v[80:81], v[4:5]
	v_fmac_f64_e32 v[32:33], v[82:83], v[4:5]
	v_fmac_f64_e32 v[44:45], v[96:97], v[4:5]
	v_fmac_f64_e32 v[30:31], v[98:99], v[4:5]
	v_fmac_f64_e32 v[42:43], v[108:109], v[4:5]
	v_fmac_f64_e32 v[28:29], v[60:61], v[4:5]
	v_fmac_f64_e32 v[46:47], v[114:115], v[4:5]
	v_fmac_f64_e32 v[26:27], v[68:69], v[4:5]
	v_fma_f64 v[0:1], -v[82:83], v[6:7], v[0:1]
	v_fmac_f64_e32 v[32:33], v[80:81], v[6:7]
	v_fma_f64 v[2:3], -v[98:99], v[6:7], v[44:45]
	v_fmac_f64_e32 v[30:31], v[96:97], v[6:7]
	v_fma_f64 v[4:5], -v[60:61], v[6:7], v[42:43]
	v_fmac_f64_e32 v[28:29], v[108:109], v[6:7]
	v_fma_f64 v[42:43], -v[68:69], v[6:7], v[46:47]
	v_fmac_f64_e32 v[26:27], v[114:115], v[6:7]
	;; [unrolled: 17-line block ×4, first 2 shown]
	s_andn2_b64 exec, exec, s[16:17]
	s_cbranch_execnz .LBB168_19
; %bb.20:
	s_or_b64 exec, exec, s[16:17]
.LBB168_21:
	s_or_b64 exec, exec, s[14:15]
	s_movk_i32 s2, 0x5f
	v_cmp_lt_u32_e32 vcc, s2, v12
	s_and_saveexec_b64 s[14:15], vcc
	s_cbranch_execz .LBB168_25
; %bb.22:
	s_mov_b64 s[16:17], 0
	v_mov_b32_e32 v35, s13
	v_mov_b32_e32 v58, s5
	s_movk_i32 s18, 0x1000
	s_movk_i32 s19, 0x2000
	;; [unrolled: 1-line block ×3, first 2 shown]
.LBB168_23:                             ; =>This Inner Loop Header: Depth=1
	v_ashrrev_i32_e32 v39, 31, v38
	v_lshlrev_b64 v[0:1], 2, v[38:39]
	v_add_co_u32_e32 v50, vcc, s12, v0
	v_addc_co_u32_e32 v51, vcc, v35, v1, vcc
	global_load_dword v0, v[50:51], off
	global_load_dwordx4 v[52:55], v[40:41], off offset:48
	global_load_dwordx4 v[60:63], v[40:41], off offset:32
	;; [unrolled: 1-line block ×3, first 2 shown]
	global_load_dwordx4 v[68:71], v[40:41], off
	v_add_u32_e32 v38, 0x80, v38
	v_cmp_ge_i32_e64 s[2:3], v38, v56
	s_or_b64 s[16:17], s[2:3], s[16:17]
	s_waitcnt vmcnt(4)
	v_subrev_u32_e32 v0, s20, v0
	v_lshlrev_b32_e32 v0, 2, v0
	v_ashrrev_i32_e32 v1, 31, v0
	v_lshlrev_b64 v[0:1], 4, v[0:1]
	v_add_co_u32_e32 v74, vcc, s4, v0
	v_addc_co_u32_e32 v75, vcc, v58, v1, vcc
	global_load_dwordx4 v[0:3], v[74:75], off offset:48
	global_load_dwordx4 v[4:7], v[74:75], off offset:32
	;; [unrolled: 1-line block ×3, first 2 shown]
	global_load_dwordx4 v[12:15], v[74:75], off
	s_waitcnt vmcnt(4)
	v_cvt_f64_f32_e32 v[72:73], v68
	v_cvt_f64_f32_e32 v[68:69], v69
	v_add_co_u32_e32 v78, vcc, s18, v40
	v_addc_co_u32_e32 v79, vcc, 0, v41, vcc
	s_waitcnt vmcnt(0)
	v_fmac_f64_e32 v[44:45], v[72:73], v[12:13]
	v_fmac_f64_e32 v[32:33], v[68:69], v[12:13]
	v_fma_f64 v[44:45], -v[68:69], v[14:15], v[44:45]
	v_fmac_f64_e32 v[32:33], v[72:73], v[14:15]
	v_cvt_f64_f32_e32 v[68:69], v70
	v_cvt_f64_f32_e32 v[70:71], v71
	v_fmac_f64_e32 v[44:45], v[68:69], v[8:9]
	v_fmac_f64_e32 v[32:33], v[70:71], v[8:9]
	v_fma_f64 v[44:45], -v[70:71], v[10:11], v[44:45]
	v_fmac_f64_e32 v[32:33], v[68:69], v[10:11]
	v_cvt_f64_f32_e32 v[68:69], v64
	v_cvt_f64_f32_e32 v[64:65], v65
	;; [unrolled: 6-line block ×3, first 2 shown]
	v_fmac_f64_e32 v[32:33], v[66:67], v[0:1]
	v_fmac_f64_e32 v[44:45], v[64:65], v[0:1]
	;; [unrolled: 1-line block ×3, first 2 shown]
	v_cvt_f64_f32_e32 v[64:65], v60
	v_cvt_f64_f32_e32 v[60:61], v61
	v_fmac_f64_e32 v[48:49], v[64:65], v[12:13]
	v_fmac_f64_e32 v[30:31], v[60:61], v[12:13]
	v_fma_f64 v[48:49], -v[60:61], v[14:15], v[48:49]
	v_fmac_f64_e32 v[30:31], v[64:65], v[14:15]
	v_cvt_f64_f32_e32 v[60:61], v62
	v_cvt_f64_f32_e32 v[62:63], v63
	v_fmac_f64_e32 v[48:49], v[60:61], v[8:9]
	v_fmac_f64_e32 v[30:31], v[62:63], v[8:9]
	v_fma_f64 v[48:49], -v[62:63], v[10:11], v[48:49]
	v_fmac_f64_e32 v[30:31], v[60:61], v[10:11]
	;; [unrolled: 6-line block ×3, first 2 shown]
	v_cvt_f64_f32_e32 v[52:53], v54
	v_cvt_f64_f32_e32 v[54:55], v55
	v_fmac_f64_e32 v[48:49], v[52:53], v[0:1]
	v_fmac_f64_e32 v[30:31], v[54:55], v[0:1]
	v_fma_f64 v[44:45], -v[66:67], v[2:3], v[44:45]
	v_fma_f64 v[48:49], -v[54:55], v[2:3], v[48:49]
	v_fmac_f64_e32 v[30:31], v[52:53], v[2:3]
	global_load_dwordx4 v[52:55], v[40:41], off offset:112
	global_load_dwordx4 v[60:63], v[40:41], off offset:96
	;; [unrolled: 1-line block ×4, first 2 shown]
	s_waitcnt vmcnt(0)
	v_cvt_f64_f32_e32 v[72:73], v68
	v_cvt_f64_f32_e32 v[68:69], v69
	v_fmac_f64_e32 v[42:43], v[72:73], v[12:13]
	v_fmac_f64_e32 v[28:29], v[68:69], v[12:13]
	v_fma_f64 v[42:43], -v[68:69], v[14:15], v[42:43]
	v_fmac_f64_e32 v[28:29], v[72:73], v[14:15]
	v_cvt_f64_f32_e32 v[68:69], v70
	v_cvt_f64_f32_e32 v[70:71], v71
	v_fmac_f64_e32 v[42:43], v[68:69], v[8:9]
	v_fmac_f64_e32 v[28:29], v[70:71], v[8:9]
	v_fma_f64 v[42:43], -v[70:71], v[10:11], v[42:43]
	v_fmac_f64_e32 v[28:29], v[68:69], v[10:11]
	v_cvt_f64_f32_e32 v[68:69], v64
	v_cvt_f64_f32_e32 v[64:65], v65
	v_fmac_f64_e32 v[42:43], v[68:69], v[4:5]
	v_fma_f64 v[42:43], -v[64:65], v[6:7], v[42:43]
	v_fmac_f64_e32 v[28:29], v[64:65], v[4:5]
	v_cvt_f64_f32_e32 v[64:65], v66
	v_cvt_f64_f32_e32 v[66:67], v67
	v_fmac_f64_e32 v[42:43], v[64:65], v[0:1]
	v_fma_f64 v[76:77], -v[66:67], v[2:3], v[42:43]
	v_cvt_f64_f32_e32 v[42:43], v60
	v_cvt_f64_f32_e32 v[60:61], v61
	v_fmac_f64_e32 v[46:47], v[42:43], v[12:13]
	v_fmac_f64_e32 v[26:27], v[60:61], v[12:13]
	v_fma_f64 v[46:47], -v[60:61], v[14:15], v[46:47]
	v_fmac_f64_e32 v[26:27], v[42:43], v[14:15]
	v_cvt_f64_f32_e32 v[12:13], v62
	v_cvt_f64_f32_e32 v[14:15], v63
	v_fmac_f64_e32 v[46:47], v[12:13], v[8:9]
	v_fmac_f64_e32 v[26:27], v[14:15], v[8:9]
	v_fma_f64 v[42:43], -v[14:15], v[10:11], v[46:47]
	v_fmac_f64_e32 v[26:27], v[12:13], v[10:11]
	v_cvt_f64_f32_e32 v[8:9], v52
	v_cvt_f64_f32_e32 v[10:11], v53
	v_fmac_f64_e32 v[42:43], v[8:9], v[4:5]
	v_fmac_f64_e32 v[26:27], v[10:11], v[4:5]
	;; [unrolled: 1-line block ×3, first 2 shown]
	v_fma_f64 v[12:13], -v[10:11], v[6:7], v[42:43]
	v_fmac_f64_e32 v[26:27], v[8:9], v[6:7]
	v_cvt_f64_f32_e32 v[4:5], v54
	v_cvt_f64_f32_e32 v[6:7], v55
	v_fmac_f64_e32 v[28:29], v[66:67], v[0:1]
	v_fmac_f64_e32 v[12:13], v[4:5], v[0:1]
	;; [unrolled: 1-line block ×3, first 2 shown]
	global_load_dword v0, v[50:51], off offset:128
	v_add_co_u32_e32 v46, vcc, s19, v40
	v_addc_co_u32_e32 v47, vcc, 0, v41, vcc
	v_fmac_f64_e32 v[28:29], v[64:65], v[2:3]
	v_fma_f64 v[54:55], -v[6:7], v[2:3], v[12:13]
	v_fmac_f64_e32 v[26:27], v[4:5], v[2:3]
	s_waitcnt vmcnt(0)
	v_subrev_u32_e32 v0, s20, v0
	v_lshlrev_b32_e32 v42, 2, v0
	v_ashrrev_i32_e32 v43, 31, v42
	v_lshlrev_b64 v[42:43], 4, v[42:43]
	v_add_co_u32_e32 v42, vcc, s4, v42
	v_addc_co_u32_e32 v43, vcc, v58, v43, vcc
	global_load_dwordx4 v[0:3], v[46:47], off offset:-4096
	global_load_dwordx4 v[4:7], v[78:79], off offset:48
	global_load_dwordx4 v[8:11], v[78:79], off offset:32
	;; [unrolled: 1-line block ×6, first 2 shown]
	global_load_dwordx4 v[72:75], v[42:43], off
	s_waitcnt vmcnt(7)
	v_cvt_f64_f32_e32 v[52:53], v0
	v_cvt_f64_f32_e32 v[0:1], v1
	s_waitcnt vmcnt(0)
	v_fmac_f64_e32 v[44:45], v[52:53], v[72:73]
	v_fmac_f64_e32 v[32:33], v[0:1], v[72:73]
	v_fma_f64 v[42:43], -v[0:1], v[74:75], v[44:45]
	v_fmac_f64_e32 v[32:33], v[52:53], v[74:75]
	v_cvt_f64_f32_e32 v[0:1], v2
	v_cvt_f64_f32_e32 v[2:3], v3
	v_fmac_f64_e32 v[42:43], v[0:1], v[68:69]
	v_fmac_f64_e32 v[32:33], v[2:3], v[68:69]
	v_fma_f64 v[42:43], -v[2:3], v[70:71], v[42:43]
	v_fmac_f64_e32 v[32:33], v[0:1], v[70:71]
	v_cvt_f64_f32_e32 v[0:1], v12
	v_cvt_f64_f32_e32 v[2:3], v13
	;; [unrolled: 6-line block ×7, first 2 shown]
	v_fmac_f64_e32 v[4:5], v[0:1], v[60:61]
	v_fmac_f64_e32 v[30:31], v[2:3], v[60:61]
	v_fma_f64 v[52:53], -v[2:3], v[62:63], v[4:5]
	v_fmac_f64_e32 v[30:31], v[0:1], v[62:63]
	global_load_dwordx4 v[0:3], v[78:79], off offset:112
	global_load_dwordx4 v[4:7], v[78:79], off offset:96
	;; [unrolled: 1-line block ×4, first 2 shown]
	s_waitcnt vmcnt(0)
	v_cvt_f64_f32_e32 v[44:45], v12
	v_cvt_f64_f32_e32 v[12:13], v13
	v_fmac_f64_e32 v[76:77], v[44:45], v[72:73]
	v_fmac_f64_e32 v[28:29], v[12:13], v[72:73]
	v_fma_f64 v[48:49], -v[12:13], v[74:75], v[76:77]
	v_fmac_f64_e32 v[28:29], v[44:45], v[74:75]
	v_cvt_f64_f32_e32 v[12:13], v14
	v_cvt_f64_f32_e32 v[14:15], v15
	v_fmac_f64_e32 v[48:49], v[12:13], v[68:69]
	v_fmac_f64_e32 v[28:29], v[14:15], v[68:69]
	v_fma_f64 v[44:45], -v[14:15], v[70:71], v[48:49]
	v_fmac_f64_e32 v[28:29], v[12:13], v[70:71]
	v_cvt_f64_f32_e32 v[12:13], v8
	v_cvt_f64_f32_e32 v[8:9], v9
	v_fmac_f64_e32 v[44:45], v[12:13], v[64:65]
	v_fmac_f64_e32 v[28:29], v[8:9], v[64:65]
	v_fma_f64 v[14:15], -v[8:9], v[66:67], v[44:45]
	v_fmac_f64_e32 v[28:29], v[12:13], v[66:67]
	v_cvt_f64_f32_e32 v[8:9], v10
	v_cvt_f64_f32_e32 v[10:11], v11
	v_fmac_f64_e32 v[28:29], v[10:11], v[60:61]
	v_fmac_f64_e32 v[14:15], v[8:9], v[60:61]
	v_fmac_f64_e32 v[28:29], v[8:9], v[62:63]
	v_cvt_f64_f32_e32 v[8:9], v4
	v_cvt_f64_f32_e32 v[4:5], v5
	v_fmac_f64_e32 v[54:55], v[8:9], v[72:73]
	v_fmac_f64_e32 v[26:27], v[4:5], v[72:73]
	v_fma_f64 v[48:49], -v[10:11], v[62:63], v[14:15]
	v_fma_f64 v[10:11], -v[4:5], v[74:75], v[54:55]
	v_fmac_f64_e32 v[26:27], v[8:9], v[74:75]
	v_cvt_f64_f32_e32 v[4:5], v6
	v_cvt_f64_f32_e32 v[6:7], v7
	v_fmac_f64_e32 v[10:11], v[4:5], v[68:69]
	v_fmac_f64_e32 v[26:27], v[6:7], v[68:69]
	v_fma_f64 v[8:9], -v[6:7], v[70:71], v[10:11]
	v_fmac_f64_e32 v[26:27], v[4:5], v[70:71]
	v_cvt_f64_f32_e32 v[4:5], v0
	v_cvt_f64_f32_e32 v[0:1], v1
	v_fmac_f64_e32 v[8:9], v[4:5], v[64:65]
	v_fmac_f64_e32 v[26:27], v[0:1], v[64:65]
	;; [unrolled: 6-line block ×3, first 2 shown]
	v_fmac_f64_e32 v[26:27], v[0:1], v[62:63]
	global_load_dword v0, v[50:51], off offset:256
	v_fma_f64 v[54:55], -v[2:3], v[62:63], v[6:7]
	global_load_dwordx4 v[60:63], v[46:47], off
	global_load_dwordx4 v[64:67], v[46:47], off offset:48
	global_load_dwordx4 v[68:71], v[46:47], off offset:32
	global_load_dwordx4 v[72:75], v[46:47], off offset:16
	s_waitcnt vmcnt(3)
	v_cvt_f64_f32_e32 v[44:45], v60
	v_subrev_u32_e32 v0, s20, v0
	v_lshlrev_b32_e32 v0, 2, v0
	v_ashrrev_i32_e32 v1, 31, v0
	v_lshlrev_b64 v[0:1], 4, v[0:1]
	v_add_co_u32_e32 v76, vcc, s4, v0
	v_addc_co_u32_e32 v77, vcc, v58, v1, vcc
	global_load_dwordx4 v[0:3], v[76:77], off offset:48
	global_load_dwordx4 v[4:7], v[76:77], off offset:32
	;; [unrolled: 1-line block ×3, first 2 shown]
	global_load_dwordx4 v[12:15], v[76:77], off
	v_cvt_f64_f32_e32 v[60:61], v61
	s_waitcnt vmcnt(0)
	v_fmac_f64_e32 v[42:43], v[44:45], v[12:13]
	v_fmac_f64_e32 v[32:33], v[60:61], v[12:13]
	v_fma_f64 v[42:43], -v[60:61], v[14:15], v[42:43]
	v_fmac_f64_e32 v[32:33], v[44:45], v[14:15]
	v_cvt_f64_f32_e32 v[44:45], v62
	v_cvt_f64_f32_e32 v[60:61], v63
	v_fmac_f64_e32 v[42:43], v[44:45], v[8:9]
	v_fmac_f64_e32 v[32:33], v[60:61], v[8:9]
	v_fma_f64 v[42:43], -v[60:61], v[10:11], v[42:43]
	v_fmac_f64_e32 v[32:33], v[44:45], v[10:11]
	v_cvt_f64_f32_e32 v[44:45], v72
	v_cvt_f64_f32_e32 v[60:61], v73
	v_fmac_f64_e32 v[42:43], v[44:45], v[4:5]
	v_fmac_f64_e32 v[32:33], v[60:61], v[4:5]
	v_fma_f64 v[42:43], -v[60:61], v[6:7], v[42:43]
	v_fmac_f64_e32 v[32:33], v[44:45], v[6:7]
	v_cvt_f64_f32_e32 v[60:61], v74
	v_cvt_f64_f32_e32 v[62:63], v75
	v_fmac_f64_e32 v[42:43], v[60:61], v[0:1]
	v_fmac_f64_e32 v[32:33], v[62:63], v[0:1]
	v_fma_f64 v[44:45], -v[62:63], v[2:3], v[42:43]
	v_fmac_f64_e32 v[32:33], v[60:61], v[2:3]
	v_cvt_f64_f32_e32 v[42:43], v68
	v_cvt_f64_f32_e32 v[60:61], v69
	v_fmac_f64_e32 v[52:53], v[42:43], v[12:13]
	v_fmac_f64_e32 v[30:31], v[60:61], v[12:13]
	v_fma_f64 v[52:53], -v[60:61], v[14:15], v[52:53]
	v_fmac_f64_e32 v[30:31], v[42:43], v[14:15]
	v_cvt_f64_f32_e32 v[42:43], v70
	v_cvt_f64_f32_e32 v[60:61], v71
	v_fmac_f64_e32 v[52:53], v[42:43], v[8:9]
	v_fmac_f64_e32 v[30:31], v[60:61], v[8:9]
	v_fma_f64 v[52:53], -v[60:61], v[10:11], v[52:53]
	v_fmac_f64_e32 v[30:31], v[42:43], v[10:11]
	v_cvt_f64_f32_e32 v[42:43], v64
	v_cvt_f64_f32_e32 v[60:61], v65
	v_fmac_f64_e32 v[52:53], v[42:43], v[4:5]
	v_fmac_f64_e32 v[30:31], v[60:61], v[4:5]
	v_fma_f64 v[52:53], -v[60:61], v[6:7], v[52:53]
	v_fmac_f64_e32 v[30:31], v[42:43], v[6:7]
	v_cvt_f64_f32_e32 v[60:61], v66
	v_cvt_f64_f32_e32 v[62:63], v67
	v_fmac_f64_e32 v[52:53], v[60:61], v[0:1]
	v_fmac_f64_e32 v[30:31], v[62:63], v[0:1]
	v_fma_f64 v[42:43], -v[62:63], v[2:3], v[52:53]
	v_fmac_f64_e32 v[30:31], v[60:61], v[2:3]
	global_load_dwordx4 v[60:63], v[46:47], off offset:112
	global_load_dwordx4 v[64:67], v[46:47], off offset:96
	;; [unrolled: 1-line block ×4, first 2 shown]
	s_waitcnt vmcnt(0)
	v_cvt_f64_f32_e32 v[46:47], v72
	v_cvt_f64_f32_e32 v[52:53], v73
	v_fmac_f64_e32 v[48:49], v[46:47], v[12:13]
	v_fmac_f64_e32 v[28:29], v[52:53], v[12:13]
	v_fma_f64 v[48:49], -v[52:53], v[14:15], v[48:49]
	v_fmac_f64_e32 v[28:29], v[46:47], v[14:15]
	v_cvt_f64_f32_e32 v[46:47], v74
	v_cvt_f64_f32_e32 v[52:53], v75
	v_fmac_f64_e32 v[48:49], v[46:47], v[8:9]
	v_fmac_f64_e32 v[28:29], v[52:53], v[8:9]
	v_fma_f64 v[48:49], -v[52:53], v[10:11], v[48:49]
	v_fmac_f64_e32 v[28:29], v[46:47], v[10:11]
	;; [unrolled: 6-line block ×7, first 2 shown]
	v_cvt_f64_f32_e32 v[4:5], v62
	v_cvt_f64_f32_e32 v[6:7], v63
	v_fmac_f64_e32 v[12:13], v[4:5], v[0:1]
	v_fmac_f64_e32 v[26:27], v[6:7], v[0:1]
	global_load_dword v0, v[50:51], off offset:384
	v_add_co_u32_e32 v50, vcc, s21, v40
	v_addc_co_u32_e32 v51, vcc, 0, v41, vcc
	global_load_dwordx4 v[60:63], v[50:51], off
	global_load_dwordx4 v[64:67], v[50:51], off offset:48
	global_load_dwordx4 v[68:71], v[50:51], off offset:32
	;; [unrolled: 1-line block ×3, first 2 shown]
	v_fma_f64 v[46:47], -v[6:7], v[2:3], v[12:13]
	v_fmac_f64_e32 v[26:27], v[4:5], v[2:3]
	s_waitcnt vmcnt(4)
	v_subrev_u32_e32 v0, s20, v0
	v_lshlrev_b32_e32 v0, 2, v0
	v_ashrrev_i32_e32 v1, 31, v0
	v_lshlrev_b64 v[0:1], 4, v[0:1]
	s_waitcnt vmcnt(3)
	v_cvt_f64_f32_e32 v[48:49], v60
	v_add_co_u32_e32 v60, vcc, s4, v0
	v_cvt_f64_f32_e32 v[54:55], v61
	v_addc_co_u32_e32 v61, vcc, v58, v1, vcc
	global_load_dwordx4 v[0:3], v[60:61], off offset:48
	global_load_dwordx4 v[4:7], v[60:61], off offset:32
	;; [unrolled: 1-line block ×3, first 2 shown]
	global_load_dwordx4 v[12:15], v[60:61], off
	s_waitcnt vmcnt(6)
	v_cvt_f64_f32_e32 v[60:61], v67
	v_add_co_u32_e32 v40, vcc, 0x4000, v40
	v_addc_co_u32_e32 v41, vcc, 0, v41, vcc
	s_waitcnt vmcnt(0)
	v_fmac_f64_e32 v[44:45], v[48:49], v[12:13]
	v_fmac_f64_e32 v[32:33], v[54:55], v[12:13]
	v_fma_f64 v[44:45], -v[54:55], v[14:15], v[44:45]
	v_fmac_f64_e32 v[32:33], v[48:49], v[14:15]
	v_cvt_f64_f32_e32 v[48:49], v62
	v_cvt_f64_f32_e32 v[54:55], v63
	v_fmac_f64_e32 v[44:45], v[48:49], v[8:9]
	v_fmac_f64_e32 v[32:33], v[54:55], v[8:9]
	v_fma_f64 v[44:45], -v[54:55], v[10:11], v[44:45]
	v_fmac_f64_e32 v[32:33], v[48:49], v[10:11]
	v_cvt_f64_f32_e32 v[48:49], v72
	v_cvt_f64_f32_e32 v[54:55], v73
	;; [unrolled: 6-line block ×6, first 2 shown]
	v_fmac_f64_e32 v[42:43], v[48:49], v[4:5]
	v_fma_f64 v[42:43], -v[54:55], v[6:7], v[42:43]
	v_fmac_f64_e32 v[30:31], v[54:55], v[4:5]
	v_cvt_f64_f32_e32 v[54:55], v66
	v_fmac_f64_e32 v[30:31], v[48:49], v[6:7]
	v_fmac_f64_e32 v[42:43], v[54:55], v[0:1]
	v_fma_f64 v[48:49], -v[60:61], v[2:3], v[42:43]
	v_fmac_f64_e32 v[30:31], v[60:61], v[0:1]
	global_load_dwordx4 v[60:63], v[50:51], off offset:112
	global_load_dwordx4 v[64:67], v[50:51], off offset:96
	;; [unrolled: 1-line block ×4, first 2 shown]
	v_fmac_f64_e32 v[30:31], v[54:55], v[2:3]
	s_waitcnt vmcnt(1)
	v_cvt_f64_f32_e32 v[54:55], v71
	s_waitcnt vmcnt(0)
	v_cvt_f64_f32_e32 v[42:43], v72
	v_cvt_f64_f32_e32 v[50:51], v73
	v_fmac_f64_e32 v[52:53], v[42:43], v[12:13]
	v_fmac_f64_e32 v[28:29], v[50:51], v[12:13]
	v_fma_f64 v[52:53], -v[50:51], v[14:15], v[52:53]
	v_fmac_f64_e32 v[28:29], v[42:43], v[14:15]
	v_cvt_f64_f32_e32 v[42:43], v74
	v_cvt_f64_f32_e32 v[50:51], v75
	v_fmac_f64_e32 v[52:53], v[42:43], v[8:9]
	v_fmac_f64_e32 v[28:29], v[50:51], v[8:9]
	v_fma_f64 v[52:53], -v[50:51], v[10:11], v[52:53]
	v_fmac_f64_e32 v[28:29], v[42:43], v[10:11]
	;; [unrolled: 6-line block ×3, first 2 shown]
	v_cvt_f64_f32_e32 v[50:51], v70
	v_fmac_f64_e32 v[52:53], v[50:51], v[0:1]
	v_fmac_f64_e32 v[28:29], v[54:55], v[0:1]
	v_fma_f64 v[42:43], -v[54:55], v[2:3], v[52:53]
	v_fmac_f64_e32 v[28:29], v[50:51], v[2:3]
	v_cvt_f64_f32_e32 v[50:51], v64
	v_cvt_f64_f32_e32 v[52:53], v65
	v_fmac_f64_e32 v[46:47], v[50:51], v[12:13]
	v_fmac_f64_e32 v[26:27], v[52:53], v[12:13]
	v_fma_f64 v[46:47], -v[52:53], v[14:15], v[46:47]
	v_fmac_f64_e32 v[26:27], v[50:51], v[14:15]
	v_cvt_f64_f32_e32 v[12:13], v66
	;; [unrolled: 6-line block ×4, first 2 shown]
	v_cvt_f64_f32_e32 v[6:7], v63
	v_fmac_f64_e32 v[12:13], v[4:5], v[0:1]
	v_fmac_f64_e32 v[26:27], v[6:7], v[0:1]
	v_fma_f64 v[46:47], -v[6:7], v[2:3], v[12:13]
	v_fmac_f64_e32 v[26:27], v[4:5], v[2:3]
	s_andn2_b64 exec, exec, s[16:17]
	s_cbranch_execnz .LBB168_23
; %bb.24:
	s_or_b64 exec, exec, s[16:17]
.LBB168_25:
	s_or_b64 exec, exec, s[14:15]
.LBB168_26:
	s_or_b64 exec, exec, s[10:11]
	s_andn2_b64 vcc, exec, s[8:9]
	s_cbranch_vccz .LBB168_28
	s_branch .LBB168_39
.LBB168_27:
                                        ; implicit-def: $vgpr32_vgpr33
                                        ; implicit-def: $vgpr44_vgpr45
                                        ; implicit-def: $vgpr30_vgpr31
                                        ; implicit-def: $vgpr48_vgpr49
                                        ; implicit-def: $vgpr28_vgpr29
                                        ; implicit-def: $vgpr42_vgpr43
                                        ; implicit-def: $vgpr26_vgpr27
                                        ; implicit-def: $vgpr46_vgpr47
.LBB168_28:
	v_pk_mov_b32 v[32:33], 0, 0
	v_pk_mov_b32 v[44:45], v[32:33], v[32:33] op_sel:[0,1]
	v_pk_mov_b32 v[30:31], v[32:33], v[32:33] op_sel:[0,1]
	;; [unrolled: 1-line block ×7, first 2 shown]
	s_and_saveexec_b64 s[2:3], s[0:1]
	s_cbranch_execz .LBB168_38
; %bb.29:
	v_add_u32_e32 v0, v57, v25
	v_subrev_u32_e32 v0, s20, v0
	v_add_u32_e32 v0, 32, v0
	v_max_i32_e32 v0, v0, v56
	v_not_b32_e32 v1, v57
	v_add3_u32 v0, v0, s20, v1
	v_sub_u32_e32 v38, v0, v25
	v_lshrrev_b32_e32 v0, 5, v38
	v_add_u32_e32 v0, 1, v0
	v_and_b32_e32 v0, 3, v0
	v_pk_mov_b32 v[46:47], 0, 0
	v_cmp_ne_u32_e32 vcc, 0, v0
	v_pk_mov_b32 v[26:27], v[46:47], v[46:47] op_sel:[0,1]
	v_pk_mov_b32 v[42:43], v[46:47], v[46:47] op_sel:[0,1]
	v_pk_mov_b32 v[28:29], v[46:47], v[46:47] op_sel:[0,1]
	v_pk_mov_b32 v[48:49], v[46:47], v[46:47] op_sel:[0,1]
	v_pk_mov_b32 v[30:31], v[46:47], v[46:47] op_sel:[0,1]
	v_pk_mov_b32 v[44:45], v[46:47], v[46:47] op_sel:[0,1]
	v_pk_mov_b32 v[32:33], v[46:47], v[46:47] op_sel:[0,1]
	s_and_saveexec_b64 s[8:9], vcc
	s_cbranch_execz .LBB168_33
; %bb.30:
	v_pk_mov_b32 v[32:33], 0, 0
	v_lshlrev_b32_e32 v39, 7, v0
	s_mov_b64 s[10:11], 0
	v_mov_b32_e32 v40, s13
	v_mov_b32_e32 v41, s5
	v_pk_mov_b32 v[44:45], v[32:33], v[32:33] op_sel:[0,1]
	v_pk_mov_b32 v[30:31], v[32:33], v[32:33] op_sel:[0,1]
	;; [unrolled: 1-line block ×7, first 2 shown]
.LBB168_31:                             ; =>This Inner Loop Header: Depth=1
	v_ashrrev_i32_e32 v35, 31, v34
	v_lshlrev_b64 v[54:55], 2, v[34:35]
	v_add_co_u32_e64 v54, s[0:1], s12, v54
	v_addc_co_u32_e64 v55, s[0:1], v40, v55, s[0:1]
	global_load_dwordx4 v[12:15], v[36:37], off
	global_load_dwordx4 v[8:11], v[36:37], off offset:16
	global_load_dwordx4 v[4:7], v[36:37], off offset:32
	;; [unrolled: 1-line block ×7, first 2 shown]
	global_load_dword v35, v[54:55], off
	v_add_co_u32_e32 v36, vcc, 0x1000, v36
	v_addc_co_u32_e32 v37, vcc, 0, v37, vcc
	v_add_u32_e32 v39, 0xffffff80, v39
	v_cmp_eq_u32_e64 s[0:1], 0, v39
	v_add_u32_e32 v34, 32, v34
	s_or_b64 s[10:11], s[0:1], s[10:11]
	s_waitcnt vmcnt(8)
	v_cvt_f64_f32_e32 v[54:55], v12
	v_cvt_f64_f32_e32 v[74:75], v13
	s_waitcnt vmcnt(6)
	v_cvt_f64_f32_e32 v[88:89], v4
	s_waitcnt vmcnt(5)
	v_cvt_f64_f32_e32 v[98:99], v2
	v_cvt_f64_f32_e32 v[90:91], v5
	;; [unrolled: 1-line block ×4, first 2 shown]
	s_waitcnt vmcnt(0)
	v_subrev_u32_e32 v2, s20, v35
	v_lshlrev_b32_e32 v4, 2, v2
	v_ashrrev_i32_e32 v5, 31, v4
	v_lshlrev_b64 v[4:5], 4, v[4:5]
	v_add_co_u32_e32 v100, vcc, s4, v4
	v_addc_co_u32_e32 v101, vcc, v41, v5, vcc
	v_cvt_f64_f32_e32 v[80:81], v8
	v_cvt_f64_f32_e32 v[82:83], v9
	;; [unrolled: 1-line block ×6, first 2 shown]
	global_load_dwordx4 v[4:7], v[100:101], off
	global_load_dwordx4 v[8:11], v[100:101], off offset:16
	global_load_dwordx4 v[12:15], v[100:101], off offset:32
	;; [unrolled: 1-line block ×3, first 2 shown]
	v_cvt_f64_f32_e32 v[96:97], v0
	v_cvt_f64_f32_e32 v[0:1], v1
	;; [unrolled: 1-line block ×19, first 2 shown]
	s_waitcnt vmcnt(3)
	v_fmac_f64_e32 v[44:45], v[54:55], v[4:5]
	v_fmac_f64_e32 v[32:33], v[74:75], v[4:5]
	v_fmac_f64_e32 v[48:49], v[76:77], v[4:5]
	v_fmac_f64_e32 v[30:31], v[78:79], v[4:5]
	v_fmac_f64_e32 v[42:43], v[80:81], v[4:5]
	v_fmac_f64_e32 v[28:29], v[82:83], v[4:5]
	v_fmac_f64_e32 v[46:47], v[84:85], v[4:5]
	v_fmac_f64_e32 v[26:27], v[86:87], v[4:5]
	v_fma_f64 v[4:5], -v[74:75], v[6:7], v[44:45]
	v_fmac_f64_e32 v[32:33], v[54:55], v[6:7]
	v_fma_f64 v[44:45], -v[78:79], v[6:7], v[48:49]
	v_fmac_f64_e32 v[30:31], v[76:77], v[6:7]
	v_fma_f64 v[42:43], -v[82:83], v[6:7], v[42:43]
	v_fmac_f64_e32 v[28:29], v[80:81], v[6:7]
	v_fma_f64 v[46:47], -v[86:87], v[6:7], v[46:47]
	v_fmac_f64_e32 v[26:27], v[84:85], v[6:7]
	s_waitcnt vmcnt(2)
	v_fmac_f64_e32 v[4:5], v[88:89], v[8:9]
	v_fmac_f64_e32 v[32:33], v[90:91], v[8:9]
	v_fmac_f64_e32 v[44:45], v[92:93], v[8:9]
	v_fmac_f64_e32 v[30:31], v[94:95], v[8:9]
	v_fmac_f64_e32 v[42:43], v[96:97], v[8:9]
	v_fmac_f64_e32 v[28:29], v[0:1], v[8:9]
	v_fmac_f64_e32 v[46:47], v[98:99], v[8:9]
	v_fmac_f64_e32 v[26:27], v[2:3], v[8:9]
	v_fma_f64 v[4:5], -v[90:91], v[10:11], v[4:5]
	v_fmac_f64_e32 v[32:33], v[88:89], v[10:11]
	v_fma_f64 v[6:7], -v[94:95], v[10:11], v[44:45]
	v_fmac_f64_e32 v[30:31], v[92:93], v[10:11]
	v_fma_f64 v[0:1], -v[0:1], v[10:11], v[42:43]
	v_fmac_f64_e32 v[28:29], v[96:97], v[10:11]
	v_fma_f64 v[2:3], -v[2:3], v[10:11], v[46:47]
	v_fmac_f64_e32 v[26:27], v[98:99], v[10:11]
	;; [unrolled: 17-line block ×4, first 2 shown]
	s_andn2_b64 exec, exec, s[10:11]
	s_cbranch_execnz .LBB168_31
; %bb.32:
	s_or_b64 exec, exec, s[10:11]
.LBB168_33:
	s_or_b64 exec, exec, s[8:9]
	s_movk_i32 s0, 0x5f
	v_cmp_lt_u32_e32 vcc, s0, v38
	s_and_saveexec_b64 s[8:9], vcc
	s_cbranch_execz .LBB168_37
; %bb.34:
	s_mov_b64 s[10:11], 0
	v_mov_b32_e32 v50, s13
	v_mov_b32_e32 v51, s5
	s_movk_i32 s5, 0x1000
	s_movk_i32 s13, 0x2000
	;; [unrolled: 1-line block ×3, first 2 shown]
.LBB168_35:                             ; =>This Inner Loop Header: Depth=1
	v_ashrrev_i32_e32 v35, 31, v34
	v_lshlrev_b64 v[0:1], 2, v[34:35]
	v_add_co_u32_e32 v8, vcc, s12, v0
	v_addc_co_u32_e32 v9, vcc, v50, v1, vcc
	global_load_dword v0, v[8:9], off
	global_load_dwordx4 v[10:13], v[36:37], off offset:48
	global_load_dwordx4 v[38:41], v[36:37], off offset:32
	;; [unrolled: 1-line block ×3, first 2 shown]
	global_load_dwordx4 v[58:61], v[36:37], off
	v_add_u32_e32 v34, 0x80, v34
	v_cmp_ge_i32_e64 s[0:1], v34, v56
	s_or_b64 s[10:11], s[0:1], s[10:11]
	s_waitcnt vmcnt(4)
	v_subrev_u32_e32 v0, s20, v0
	v_lshlrev_b32_e32 v0, 2, v0
	v_ashrrev_i32_e32 v1, 31, v0
	v_lshlrev_b64 v[0:1], 4, v[0:1]
	v_add_co_u32_e32 v70, vcc, s4, v0
	v_addc_co_u32_e32 v71, vcc, v51, v1, vcc
	global_load_dwordx4 v[0:3], v[70:71], off offset:48
	global_load_dwordx4 v[4:7], v[70:71], off offset:32
	global_load_dwordx4 v[62:65], v[70:71], off offset:16
	global_load_dwordx4 v[66:69], v[70:71], off
	s_waitcnt vmcnt(4)
	v_cvt_f64_f32_e32 v[14:15], v58
	v_cvt_f64_f32_e32 v[58:59], v59
	v_add_co_u32_e32 v70, vcc, s5, v36
	v_addc_co_u32_e32 v71, vcc, 0, v37, vcc
	s_waitcnt vmcnt(0)
	v_fmac_f64_e32 v[44:45], v[14:15], v[66:67]
	v_fma_f64 v[44:45], -v[58:59], v[68:69], v[44:45]
	v_fmac_f64_e32 v[32:33], v[58:59], v[66:67]
	v_cvt_f64_f32_e32 v[58:59], v61
	v_fmac_f64_e32 v[32:33], v[14:15], v[68:69]
	v_cvt_f64_f32_e32 v[14:15], v60
	v_fmac_f64_e32 v[30:31], v[58:59], v[66:67]
	v_fmac_f64_e32 v[48:49], v[14:15], v[66:67]
	;; [unrolled: 1-line block ×3, first 2 shown]
	v_cvt_f64_f32_e32 v[14:15], v52
	v_cvt_f64_f32_e32 v[52:53], v53
	v_fmac_f64_e32 v[42:43], v[14:15], v[66:67]
	v_fma_f64 v[42:43], -v[52:53], v[68:69], v[42:43]
	v_fmac_f64_e32 v[28:29], v[52:53], v[66:67]
	v_cvt_f64_f32_e32 v[52:53], v55
	v_fmac_f64_e32 v[28:29], v[14:15], v[68:69]
	v_cvt_f64_f32_e32 v[14:15], v54
	v_fmac_f64_e32 v[26:27], v[52:53], v[66:67]
	v_fmac_f64_e32 v[46:47], v[14:15], v[66:67]
	;; [unrolled: 1-line block ×3, first 2 shown]
	v_cvt_f64_f32_e32 v[14:15], v38
	v_cvt_f64_f32_e32 v[38:39], v39
	v_fmac_f64_e32 v[44:45], v[14:15], v[62:63]
	v_fma_f64 v[46:47], -v[52:53], v[68:69], v[46:47]
	v_fma_f64 v[52:53], -v[38:39], v[64:65], v[44:45]
	v_fmac_f64_e32 v[32:33], v[38:39], v[62:63]
	v_cvt_f64_f32_e32 v[38:39], v41
	v_fma_f64 v[48:49], -v[58:59], v[68:69], v[48:49]
	v_fmac_f64_e32 v[32:33], v[14:15], v[64:65]
	v_cvt_f64_f32_e32 v[14:15], v40
	v_fmac_f64_e32 v[30:31], v[38:39], v[62:63]
	v_fmac_f64_e32 v[48:49], v[14:15], v[62:63]
	;; [unrolled: 1-line block ×3, first 2 shown]
	v_cvt_f64_f32_e32 v[14:15], v10
	v_cvt_f64_f32_e32 v[10:11], v11
	v_fmac_f64_e32 v[42:43], v[14:15], v[62:63]
	v_fma_f64 v[58:59], -v[10:11], v[64:65], v[42:43]
	v_fmac_f64_e32 v[28:29], v[10:11], v[62:63]
	v_cvt_f64_f32_e32 v[10:11], v12
	v_cvt_f64_f32_e32 v[12:13], v13
	v_fmac_f64_e32 v[46:47], v[10:11], v[62:63]
	v_fmac_f64_e32 v[26:27], v[12:13], v[62:63]
	v_fma_f64 v[54:55], -v[38:39], v[64:65], v[48:49]
	v_fmac_f64_e32 v[28:29], v[14:15], v[64:65]
	v_fma_f64 v[14:15], -v[12:13], v[64:65], v[46:47]
	v_fmac_f64_e32 v[26:27], v[10:11], v[64:65]
	global_load_dwordx4 v[10:13], v[36:37], off offset:112
	global_load_dwordx4 v[38:41], v[36:37], off offset:96
	;; [unrolled: 1-line block ×4, first 2 shown]
	s_waitcnt vmcnt(0)
	v_cvt_f64_f32_e32 v[60:61], v46
	v_cvt_f64_f32_e32 v[46:47], v47
	v_fmac_f64_e32 v[52:53], v[60:61], v[4:5]
	v_fma_f64 v[52:53], -v[46:47], v[6:7], v[52:53]
	v_fmac_f64_e32 v[32:33], v[46:47], v[4:5]
	v_cvt_f64_f32_e32 v[46:47], v48
	v_cvt_f64_f32_e32 v[48:49], v49
	v_fmac_f64_e32 v[30:31], v[48:49], v[4:5]
	v_fmac_f64_e32 v[54:55], v[46:47], v[4:5]
	;; [unrolled: 1-line block ×3, first 2 shown]
	v_cvt_f64_f32_e32 v[46:47], v42
	v_cvt_f64_f32_e32 v[42:43], v43
	v_fmac_f64_e32 v[58:59], v[46:47], v[4:5]
	v_fma_f64 v[54:55], -v[48:49], v[6:7], v[54:55]
	v_fma_f64 v[48:49], -v[42:43], v[6:7], v[58:59]
	v_fmac_f64_e32 v[28:29], v[42:43], v[4:5]
	v_cvt_f64_f32_e32 v[42:43], v44
	v_cvt_f64_f32_e32 v[44:45], v45
	v_fmac_f64_e32 v[14:15], v[42:43], v[4:5]
	v_fmac_f64_e32 v[26:27], v[44:45], v[4:5]
	;; [unrolled: 1-line block ×4, first 2 shown]
	v_fma_f64 v[14:15], -v[44:45], v[6:7], v[14:15]
	v_fmac_f64_e32 v[26:27], v[42:43], v[6:7]
	v_cvt_f64_f32_e32 v[4:5], v38
	v_cvt_f64_f32_e32 v[6:7], v39
	v_fmac_f64_e32 v[52:53], v[4:5], v[0:1]
	v_fmac_f64_e32 v[32:33], v[6:7], v[0:1]
	v_fma_f64 v[62:63], -v[6:7], v[2:3], v[52:53]
	v_fmac_f64_e32 v[32:33], v[4:5], v[2:3]
	v_cvt_f64_f32_e32 v[4:5], v40
	v_cvt_f64_f32_e32 v[6:7], v41
	v_fmac_f64_e32 v[54:55], v[4:5], v[0:1]
	v_fmac_f64_e32 v[30:31], v[6:7], v[0:1]
	;; [unrolled: 6-line block ×4, first 2 shown]
	global_load_dword v0, v[8:9], off offset:128
	v_add_co_u32_e32 v10, vcc, s13, v36
	v_addc_co_u32_e32 v11, vcc, 0, v37, vcc
	v_fma_f64 v[68:69], -v[6:7], v[2:3], v[14:15]
	v_fmac_f64_e32 v[26:27], v[4:5], v[2:3]
	s_waitcnt vmcnt(0)
	v_subrev_u32_e32 v0, s20, v0
	v_lshlrev_b32_e32 v42, 2, v0
	v_ashrrev_i32_e32 v43, 31, v42
	v_lshlrev_b64 v[42:43], 4, v[42:43]
	v_add_co_u32_e32 v74, vcc, s4, v42
	v_addc_co_u32_e32 v75, vcc, v51, v43, vcc
	global_load_dwordx4 v[0:3], v[10:11], off offset:-4096
	global_load_dwordx4 v[4:7], v[70:71], off offset:48
	global_load_dwordx4 v[12:15], v[70:71], off offset:32
	;; [unrolled: 1-line block ×6, first 2 shown]
	global_load_dwordx4 v[58:61], v[74:75], off
	s_waitcnt vmcnt(7)
	v_cvt_f64_f32_e32 v[72:73], v0
	v_cvt_f64_f32_e32 v[0:1], v1
	s_waitcnt vmcnt(0)
	v_fmac_f64_e32 v[62:63], v[72:73], v[58:59]
	v_fma_f64 v[62:63], -v[0:1], v[60:61], v[62:63]
	v_fmac_f64_e32 v[32:33], v[0:1], v[58:59]
	v_cvt_f64_f32_e32 v[0:1], v2
	v_cvt_f64_f32_e32 v[2:3], v3
	v_fmac_f64_e32 v[64:65], v[0:1], v[58:59]
	v_fmac_f64_e32 v[30:31], v[2:3], v[58:59]
	v_fma_f64 v[64:65], -v[2:3], v[60:61], v[64:65]
	v_fmac_f64_e32 v[30:31], v[0:1], v[60:61]
	v_cvt_f64_f32_e32 v[0:1], v38
	v_cvt_f64_f32_e32 v[2:3], v39
	v_fmac_f64_e32 v[66:67], v[0:1], v[58:59]
	v_fmac_f64_e32 v[28:29], v[2:3], v[58:59]
	v_fma_f64 v[38:39], -v[2:3], v[60:61], v[66:67]
	v_fmac_f64_e32 v[28:29], v[0:1], v[60:61]
	v_cvt_f64_f32_e32 v[0:1], v40
	v_cvt_f64_f32_e32 v[2:3], v41
	v_fmac_f64_e32 v[68:69], v[0:1], v[58:59]
	v_fmac_f64_e32 v[26:27], v[2:3], v[58:59]
	v_fmac_f64_e32 v[32:33], v[72:73], v[60:61]
	v_fma_f64 v[40:41], -v[2:3], v[60:61], v[68:69]
	v_fmac_f64_e32 v[26:27], v[0:1], v[60:61]
	v_cvt_f64_f32_e32 v[0:1], v12
	v_cvt_f64_f32_e32 v[2:3], v13
	v_fmac_f64_e32 v[62:63], v[0:1], v[52:53]
	v_fmac_f64_e32 v[32:33], v[2:3], v[52:53]
	v_fma_f64 v[58:59], -v[2:3], v[54:55], v[62:63]
	v_fmac_f64_e32 v[32:33], v[0:1], v[54:55]
	v_cvt_f64_f32_e32 v[0:1], v14
	v_cvt_f64_f32_e32 v[2:3], v15
	;; [unrolled: 6-line block ×4, first 2 shown]
	v_fmac_f64_e32 v[40:41], v[0:1], v[52:53]
	v_fmac_f64_e32 v[26:27], v[2:3], v[52:53]
	v_fma_f64 v[64:65], -v[2:3], v[54:55], v[40:41]
	v_fmac_f64_e32 v[26:27], v[0:1], v[54:55]
	global_load_dwordx4 v[0:3], v[70:71], off offset:112
	global_load_dwordx4 v[4:7], v[70:71], off offset:96
	;; [unrolled: 1-line block ×4, first 2 shown]
	s_waitcnt vmcnt(0)
	v_cvt_f64_f32_e32 v[52:53], v38
	v_cvt_f64_f32_e32 v[38:39], v39
	v_fmac_f64_e32 v[58:59], v[52:53], v[46:47]
	v_fma_f64 v[54:55], -v[38:39], v[48:49], v[58:59]
	v_fmac_f64_e32 v[32:33], v[38:39], v[46:47]
	v_cvt_f64_f32_e32 v[38:39], v40
	v_cvt_f64_f32_e32 v[40:41], v41
	v_fmac_f64_e32 v[30:31], v[40:41], v[46:47]
	v_fmac_f64_e32 v[60:61], v[38:39], v[46:47]
	;; [unrolled: 1-line block ×3, first 2 shown]
	v_cvt_f64_f32_e32 v[38:39], v12
	v_cvt_f64_f32_e32 v[12:13], v13
	v_fmac_f64_e32 v[62:63], v[38:39], v[46:47]
	v_fmac_f64_e32 v[32:33], v[52:53], v[48:49]
	v_fma_f64 v[52:53], -v[40:41], v[48:49], v[60:61]
	v_fma_f64 v[40:41], -v[12:13], v[48:49], v[62:63]
	v_fmac_f64_e32 v[28:29], v[12:13], v[46:47]
	v_cvt_f64_f32_e32 v[12:13], v14
	v_cvt_f64_f32_e32 v[14:15], v15
	v_fmac_f64_e32 v[64:65], v[12:13], v[46:47]
	v_fma_f64 v[58:59], -v[14:15], v[48:49], v[64:65]
	v_fmac_f64_e32 v[26:27], v[14:15], v[46:47]
	v_cvt_f64_f32_e32 v[14:15], v4
	v_cvt_f64_f32_e32 v[4:5], v5
	v_fmac_f64_e32 v[54:55], v[14:15], v[42:43]
	v_fmac_f64_e32 v[26:27], v[12:13], v[48:49]
	v_fma_f64 v[12:13], -v[4:5], v[44:45], v[54:55]
	v_fmac_f64_e32 v[32:33], v[4:5], v[42:43]
	v_cvt_f64_f32_e32 v[4:5], v6
	v_cvt_f64_f32_e32 v[6:7], v7
	v_fmac_f64_e32 v[30:31], v[6:7], v[42:43]
	v_fmac_f64_e32 v[52:53], v[4:5], v[42:43]
	;; [unrolled: 1-line block ×3, first 2 shown]
	v_cvt_f64_f32_e32 v[4:5], v0
	v_fmac_f64_e32 v[28:29], v[38:39], v[48:49]
	v_cvt_f64_f32_e32 v[0:1], v1
	v_fmac_f64_e32 v[40:41], v[4:5], v[42:43]
	v_fma_f64 v[38:39], -v[0:1], v[44:45], v[40:41]
	v_fmac_f64_e32 v[28:29], v[0:1], v[42:43]
	v_cvt_f64_f32_e32 v[0:1], v2
	v_cvt_f64_f32_e32 v[2:3], v3
	v_fmac_f64_e32 v[26:27], v[2:3], v[42:43]
	v_fmac_f64_e32 v[58:59], v[0:1], v[42:43]
	;; [unrolled: 1-line block ×3, first 2 shown]
	global_load_dword v0, v[8:9], off offset:256
	v_fmac_f64_e32 v[32:33], v[14:15], v[44:45]
	v_fma_f64 v[14:15], -v[6:7], v[44:45], v[52:53]
	v_fmac_f64_e32 v[28:29], v[4:5], v[44:45]
	v_fma_f64 v[40:41], -v[2:3], v[44:45], v[58:59]
	global_load_dwordx4 v[42:45], v[10:11], off
	global_load_dwordx4 v[46:49], v[10:11], off offset:48
	global_load_dwordx4 v[52:55], v[10:11], off offset:32
	;; [unrolled: 1-line block ×3, first 2 shown]
	s_waitcnt vmcnt(4)
	v_subrev_u32_e32 v0, s20, v0
	v_lshlrev_b32_e32 v0, 2, v0
	v_ashrrev_i32_e32 v1, 31, v0
	v_lshlrev_b64 v[0:1], 4, v[0:1]
	v_add_co_u32_e32 v72, vcc, s4, v0
	v_addc_co_u32_e32 v73, vcc, v51, v1, vcc
	global_load_dwordx4 v[0:3], v[72:73], off offset:48
	global_load_dwordx4 v[4:7], v[72:73], off offset:32
	;; [unrolled: 1-line block ×3, first 2 shown]
	global_load_dwordx4 v[66:69], v[72:73], off
	s_waitcnt vmcnt(7)
	v_cvt_f64_f32_e32 v[70:71], v42
	v_cvt_f64_f32_e32 v[42:43], v43
	s_waitcnt vmcnt(0)
	v_fmac_f64_e32 v[12:13], v[70:71], v[66:67]
	v_fma_f64 v[12:13], -v[42:43], v[68:69], v[12:13]
	v_fmac_f64_e32 v[32:33], v[42:43], v[66:67]
	v_cvt_f64_f32_e32 v[42:43], v44
	v_cvt_f64_f32_e32 v[44:45], v45
	v_fmac_f64_e32 v[14:15], v[42:43], v[66:67]
	v_fmac_f64_e32 v[30:31], v[44:45], v[66:67]
	v_fma_f64 v[14:15], -v[44:45], v[68:69], v[14:15]
	v_fmac_f64_e32 v[30:31], v[42:43], v[68:69]
	v_cvt_f64_f32_e32 v[42:43], v58
	v_cvt_f64_f32_e32 v[44:45], v59
	v_fmac_f64_e32 v[38:39], v[42:43], v[66:67]
	;; [unrolled: 6-line block ×3, first 2 shown]
	v_fmac_f64_e32 v[26:27], v[44:45], v[66:67]
	v_fmac_f64_e32 v[32:33], v[70:71], v[68:69]
	v_fma_f64 v[40:41], -v[44:45], v[68:69], v[40:41]
	v_fmac_f64_e32 v[26:27], v[42:43], v[68:69]
	v_cvt_f64_f32_e32 v[42:43], v52
	v_cvt_f64_f32_e32 v[44:45], v53
	v_fmac_f64_e32 v[12:13], v[42:43], v[62:63]
	v_fmac_f64_e32 v[32:33], v[44:45], v[62:63]
	v_fma_f64 v[58:59], -v[44:45], v[64:65], v[12:13]
	v_fmac_f64_e32 v[32:33], v[42:43], v[64:65]
	v_cvt_f64_f32_e32 v[12:13], v54
	v_cvt_f64_f32_e32 v[42:43], v55
	v_fmac_f64_e32 v[14:15], v[12:13], v[62:63]
	v_fmac_f64_e32 v[30:31], v[42:43], v[62:63]
	v_fma_f64 v[60:61], -v[42:43], v[64:65], v[14:15]
	v_fmac_f64_e32 v[30:31], v[12:13], v[64:65]
	v_cvt_f64_f32_e32 v[12:13], v46
	v_cvt_f64_f32_e32 v[14:15], v47
	v_fmac_f64_e32 v[38:39], v[12:13], v[62:63]
	v_fmac_f64_e32 v[28:29], v[14:15], v[62:63]
	v_fma_f64 v[38:39], -v[14:15], v[64:65], v[38:39]
	v_fmac_f64_e32 v[28:29], v[12:13], v[64:65]
	v_cvt_f64_f32_e32 v[12:13], v48
	v_cvt_f64_f32_e32 v[14:15], v49
	v_fmac_f64_e32 v[40:41], v[12:13], v[62:63]
	v_fmac_f64_e32 v[26:27], v[14:15], v[62:63]
	v_fma_f64 v[48:49], -v[14:15], v[64:65], v[40:41]
	v_fmac_f64_e32 v[26:27], v[12:13], v[64:65]
	global_load_dwordx4 v[40:43], v[10:11], off offset:112
	global_load_dwordx4 v[12:15], v[10:11], off offset:96
	;; [unrolled: 1-line block ×4, first 2 shown]
	s_waitcnt vmcnt(0)
	v_cvt_f64_f32_e32 v[10:11], v52
	v_cvt_f64_f32_e32 v[52:53], v53
	v_fmac_f64_e32 v[58:59], v[10:11], v[4:5]
	v_fma_f64 v[58:59], -v[52:53], v[6:7], v[58:59]
	v_fmac_f64_e32 v[32:33], v[52:53], v[4:5]
	v_cvt_f64_f32_e32 v[52:53], v55
	v_fmac_f64_e32 v[32:33], v[10:11], v[6:7]
	v_cvt_f64_f32_e32 v[10:11], v54
	v_fmac_f64_e32 v[30:31], v[52:53], v[4:5]
	v_fmac_f64_e32 v[60:61], v[10:11], v[4:5]
	;; [unrolled: 1-line block ×3, first 2 shown]
	v_cvt_f64_f32_e32 v[10:11], v44
	v_cvt_f64_f32_e32 v[44:45], v45
	v_fmac_f64_e32 v[38:39], v[10:11], v[4:5]
	v_fmac_f64_e32 v[28:29], v[44:45], v[4:5]
	v_fma_f64 v[54:55], -v[52:53], v[6:7], v[60:61]
	v_fma_f64 v[52:53], -v[44:45], v[6:7], v[38:39]
	v_fmac_f64_e32 v[28:29], v[10:11], v[6:7]
	v_cvt_f64_f32_e32 v[10:11], v46
	v_cvt_f64_f32_e32 v[38:39], v47
	v_fmac_f64_e32 v[48:49], v[10:11], v[4:5]
	v_fmac_f64_e32 v[26:27], v[38:39], v[4:5]
	v_fma_f64 v[44:45], -v[38:39], v[6:7], v[48:49]
	v_fmac_f64_e32 v[26:27], v[10:11], v[6:7]
	v_cvt_f64_f32_e32 v[4:5], v12
	v_cvt_f64_f32_e32 v[6:7], v13
	v_fmac_f64_e32 v[58:59], v[4:5], v[0:1]
	v_fmac_f64_e32 v[32:33], v[6:7], v[0:1]
	;; [unrolled: 6-line block ×5, first 2 shown]
	global_load_dword v0, v[8:9], off offset:384
	v_add_co_u32_e32 v8, vcc, s14, v36
	v_addc_co_u32_e32 v9, vcc, 0, v37, vcc
	v_fma_f64 v[10:11], -v[6:7], v[2:3], v[44:45]
	v_fmac_f64_e32 v[26:27], v[4:5], v[2:3]
	global_load_dwordx4 v[40:43], v[8:9], off
	global_load_dwordx4 v[44:47], v[8:9], off offset:48
	global_load_dwordx4 v[52:55], v[8:9], off offset:32
	;; [unrolled: 1-line block ×3, first 2 shown]
	s_waitcnt vmcnt(4)
	v_subrev_u32_e32 v0, s20, v0
	v_lshlrev_b32_e32 v0, 2, v0
	v_ashrrev_i32_e32 v1, 31, v0
	v_lshlrev_b64 v[0:1], 4, v[0:1]
	v_add_co_u32_e32 v70, vcc, s4, v0
	v_addc_co_u32_e32 v71, vcc, v51, v1, vcc
	global_load_dwordx4 v[0:3], v[70:71], off offset:48
	global_load_dwordx4 v[4:7], v[70:71], off offset:32
	global_load_dwordx4 v[62:65], v[70:71], off offset:16
	global_load_dwordx4 v[66:69], v[70:71], off
	s_waitcnt vmcnt(7)
	v_cvt_f64_f32_e32 v[48:49], v40
	v_cvt_f64_f32_e32 v[40:41], v41
	v_add_co_u32_e32 v36, vcc, 0x4000, v36
	v_addc_co_u32_e32 v37, vcc, 0, v37, vcc
	s_waitcnt vmcnt(0)
	v_fmac_f64_e32 v[38:39], v[48:49], v[66:67]
	v_fma_f64 v[38:39], -v[40:41], v[68:69], v[38:39]
	v_fmac_f64_e32 v[32:33], v[40:41], v[66:67]
	v_cvt_f64_f32_e32 v[40:41], v42
	v_cvt_f64_f32_e32 v[42:43], v43
	v_fmac_f64_e32 v[14:15], v[40:41], v[66:67]
	v_fmac_f64_e32 v[30:31], v[42:43], v[66:67]
	v_fma_f64 v[14:15], -v[42:43], v[68:69], v[14:15]
	v_fmac_f64_e32 v[30:31], v[40:41], v[68:69]
	v_cvt_f64_f32_e32 v[40:41], v58
	v_cvt_f64_f32_e32 v[42:43], v59
	v_fmac_f64_e32 v[12:13], v[40:41], v[66:67]
	;; [unrolled: 6-line block ×3, first 2 shown]
	v_fmac_f64_e32 v[26:27], v[42:43], v[66:67]
	v_fmac_f64_e32 v[32:33], v[48:49], v[68:69]
	v_fma_f64 v[10:11], -v[42:43], v[68:69], v[10:11]
	v_fmac_f64_e32 v[26:27], v[40:41], v[68:69]
	v_cvt_f64_f32_e32 v[40:41], v52
	v_cvt_f64_f32_e32 v[42:43], v53
	v_fmac_f64_e32 v[38:39], v[40:41], v[62:63]
	v_fmac_f64_e32 v[32:33], v[42:43], v[62:63]
	v_fma_f64 v[52:53], -v[42:43], v[64:65], v[38:39]
	v_fmac_f64_e32 v[32:33], v[40:41], v[64:65]
	v_cvt_f64_f32_e32 v[38:39], v54
	v_cvt_f64_f32_e32 v[40:41], v55
	;; [unrolled: 6-line block ×4, first 2 shown]
	v_fmac_f64_e32 v[10:11], v[12:13], v[62:63]
	v_fmac_f64_e32 v[26:27], v[38:39], v[62:63]
	v_fma_f64 v[58:59], -v[38:39], v[64:65], v[10:11]
	v_fmac_f64_e32 v[26:27], v[12:13], v[64:65]
	global_load_dwordx4 v[10:13], v[8:9], off offset:112
	global_load_dwordx4 v[38:41], v[8:9], off offset:96
	;; [unrolled: 1-line block ×4, first 2 shown]
	s_waitcnt vmcnt(0)
	v_cvt_f64_f32_e32 v[8:9], v46
	v_cvt_f64_f32_e32 v[46:47], v47
	v_fmac_f64_e32 v[52:53], v[8:9], v[4:5]
	v_fma_f64 v[52:53], -v[46:47], v[6:7], v[52:53]
	v_fmac_f64_e32 v[32:33], v[46:47], v[4:5]
	v_cvt_f64_f32_e32 v[46:47], v49
	v_fmac_f64_e32 v[32:33], v[8:9], v[6:7]
	v_cvt_f64_f32_e32 v[8:9], v48
	v_fmac_f64_e32 v[30:31], v[46:47], v[4:5]
	v_fmac_f64_e32 v[14:15], v[8:9], v[4:5]
	;; [unrolled: 1-line block ×3, first 2 shown]
	v_cvt_f64_f32_e32 v[8:9], v42
	v_cvt_f64_f32_e32 v[42:43], v43
	v_fmac_f64_e32 v[54:55], v[8:9], v[4:5]
	v_fmac_f64_e32 v[28:29], v[42:43], v[4:5]
	v_fma_f64 v[14:15], -v[46:47], v[6:7], v[14:15]
	v_fma_f64 v[46:47], -v[42:43], v[6:7], v[54:55]
	v_fmac_f64_e32 v[28:29], v[8:9], v[6:7]
	v_cvt_f64_f32_e32 v[8:9], v44
	v_cvt_f64_f32_e32 v[42:43], v45
	v_fmac_f64_e32 v[58:59], v[8:9], v[4:5]
	v_fmac_f64_e32 v[26:27], v[42:43], v[4:5]
	v_fma_f64 v[54:55], -v[42:43], v[6:7], v[58:59]
	v_fmac_f64_e32 v[26:27], v[8:9], v[6:7]
	v_cvt_f64_f32_e32 v[4:5], v38
	v_cvt_f64_f32_e32 v[6:7], v39
	v_fmac_f64_e32 v[52:53], v[4:5], v[0:1]
	v_fmac_f64_e32 v[32:33], v[6:7], v[0:1]
	;; [unrolled: 6-line block ×5, first 2 shown]
	v_fma_f64 v[46:47], -v[6:7], v[2:3], v[54:55]
	v_fmac_f64_e32 v[26:27], v[4:5], v[2:3]
	s_andn2_b64 exec, exec, s[10:11]
	s_cbranch_execnz .LBB168_35
; %bb.36:
	s_or_b64 exec, exec, s[10:11]
.LBB168_37:
	s_or_b64 exec, exec, s[8:9]
.LBB168_38:
	s_or_b64 exec, exec, s[2:3]
.LBB168_39:
	v_mov_b32_dpp v12, v30 row_shr:1 row_mask:0xf bank_mask:0xf
	v_mov_b32_dpp v13, v31 row_shr:1 row_mask:0xf bank_mask:0xf
	v_mov_b32_dpp v0, v44 row_shr:1 row_mask:0xf bank_mask:0xf
	v_mov_b32_dpp v1, v45 row_shr:1 row_mask:0xf bank_mask:0xf
	v_mov_b32_dpp v4, v32 row_shr:1 row_mask:0xf bank_mask:0xf
	v_mov_b32_dpp v5, v33 row_shr:1 row_mask:0xf bank_mask:0xf
	v_mov_b32_dpp v8, v48 row_shr:1 row_mask:0xf bank_mask:0xf
	v_mov_b32_dpp v9, v49 row_shr:1 row_mask:0xf bank_mask:0xf
	v_add_f64 v[12:13], v[30:31], v[12:13]
	v_mov_b32_dpp v30, v42 row_shr:1 row_mask:0xf bank_mask:0xf
	v_mov_b32_dpp v31, v43 row_shr:1 row_mask:0xf bank_mask:0xf
	;; [unrolled: 1-line block ×8, first 2 shown]
	v_add_f64 v[0:1], v[44:45], v[0:1]
	v_add_f64 v[4:5], v[32:33], v[4:5]
	v_add_f64 v[8:9], v[48:49], v[8:9]
	v_add_f64 v[30:31], v[42:43], v[30:31]
	v_add_f64 v[28:29], v[28:29], v[34:35]
	v_add_f64 v[36:37], v[46:47], v[36:37]
	v_add_f64 v[26:27], v[26:27], v[40:41]
	v_mov_b32_dpp v2, v0 row_shr:2 row_mask:0xf bank_mask:0xf
	v_mov_b32_dpp v3, v1 row_shr:2 row_mask:0xf bank_mask:0xf
	v_mov_b32_dpp v6, v4 row_shr:2 row_mask:0xf bank_mask:0xf
	v_mov_b32_dpp v7, v5 row_shr:2 row_mask:0xf bank_mask:0xf
	v_mov_b32_dpp v10, v8 row_shr:2 row_mask:0xf bank_mask:0xf
	v_mov_b32_dpp v11, v9 row_shr:2 row_mask:0xf bank_mask:0xf
	v_mov_b32_dpp v14, v12 row_shr:2 row_mask:0xf bank_mask:0xf
	v_mov_b32_dpp v15, v13 row_shr:2 row_mask:0xf bank_mask:0xf
	v_mov_b32_dpp v32, v30 row_shr:2 row_mask:0xf bank_mask:0xf
	v_mov_b32_dpp v33, v31 row_shr:2 row_mask:0xf bank_mask:0xf
	v_mov_b32_dpp v34, v28 row_shr:2 row_mask:0xf bank_mask:0xf
	v_mov_b32_dpp v35, v29 row_shr:2 row_mask:0xf bank_mask:0xf
	v_mov_b32_dpp v38, v36 row_shr:2 row_mask:0xf bank_mask:0xf
	v_mov_b32_dpp v39, v37 row_shr:2 row_mask:0xf bank_mask:0xf
	v_mov_b32_dpp v40, v26 row_shr:2 row_mask:0xf bank_mask:0xf
	v_mov_b32_dpp v41, v27 row_shr:2 row_mask:0xf bank_mask:0xf
	v_add_f64 v[0:1], v[0:1], v[2:3]
	v_add_f64 v[4:5], v[4:5], v[6:7]
	v_add_f64 v[8:9], v[8:9], v[10:11]
	v_add_f64 v[12:13], v[12:13], v[14:15]
	v_add_f64 v[30:31], v[30:31], v[32:33]
	v_add_f64 v[28:29], v[28:29], v[34:35]
	v_add_f64 v[36:37], v[36:37], v[38:39]
	v_add_f64 v[26:27], v[26:27], v[40:41]
	v_mov_b32_dpp v2, v0 row_shr:4 row_mask:0xf bank_mask:0xe
	v_mov_b32_dpp v3, v1 row_shr:4 row_mask:0xf bank_mask:0xe
	v_mov_b32_dpp v6, v4 row_shr:4 row_mask:0xf bank_mask:0xe
	v_mov_b32_dpp v7, v5 row_shr:4 row_mask:0xf bank_mask:0xe
	v_mov_b32_dpp v10, v8 row_shr:4 row_mask:0xf bank_mask:0xe
	v_mov_b32_dpp v11, v9 row_shr:4 row_mask:0xf bank_mask:0xe
	v_mov_b32_dpp v14, v12 row_shr:4 row_mask:0xf bank_mask:0xe
	v_mov_b32_dpp v15, v13 row_shr:4 row_mask:0xf bank_mask:0xe
	v_mov_b32_dpp v32, v30 row_shr:4 row_mask:0xf bank_mask:0xe
	v_mov_b32_dpp v33, v31 row_shr:4 row_mask:0xf bank_mask:0xe
	v_mov_b32_dpp v34, v28 row_shr:4 row_mask:0xf bank_mask:0xe
	v_mov_b32_dpp v35, v29 row_shr:4 row_mask:0xf bank_mask:0xe
	v_mov_b32_dpp v38, v36 row_shr:4 row_mask:0xf bank_mask:0xe
	v_mov_b32_dpp v39, v37 row_shr:4 row_mask:0xf bank_mask:0xe
	v_mov_b32_dpp v40, v26 row_shr:4 row_mask:0xf bank_mask:0xe
	v_mov_b32_dpp v41, v27 row_shr:4 row_mask:0xf bank_mask:0xe
	v_add_f64 v[0:1], v[0:1], v[2:3]
	;; [unrolled: 24-line block ×3, first 2 shown]
	v_add_f64 v[4:5], v[4:5], v[6:7]
	v_add_f64 v[8:9], v[8:9], v[10:11]
	;; [unrolled: 1-line block ×7, first 2 shown]
	v_mov_b32_dpp v2, v0 row_bcast:15 row_mask:0xa bank_mask:0xf
	v_mov_b32_dpp v3, v1 row_bcast:15 row_mask:0xa bank_mask:0xf
	;; [unrolled: 1-line block ×16, first 2 shown]
	v_cmp_eq_u32_e32 vcc, 31, v25
	s_and_b64 exec, exec, vcc
	s_cbranch_execz .LBB168_12
; %bb.40:
	s_load_dwordx2 s[2:3], s[6:7], 0x60
	v_add_f64 v[42:43], v[0:1], v[2:3]
	v_add_f64 v[0:1], v[4:5], v[6:7]
	;; [unrolled: 1-line block ×8, first 2 shown]
	v_cmp_eq_f64_e32 vcc, 0, v[16:17]
	v_cmp_eq_f64_e64 s[0:1], 0, v[18:19]
	v_mul_f64 v[12:13], v[0:1], -v[22:23]
	v_mul_f64 v[14:15], v[20:21], v[0:1]
	v_mul_f64 v[8:9], v[2:3], -v[22:23]
	v_mul_f64 v[10:11], v[20:21], v[2:3]
	v_mul_f64 v[4:5], v[6:7], -v[22:23]
	v_mul_f64 v[6:7], v[20:21], v[6:7]
	v_mul_f64 v[0:1], v[26:27], -v[22:23]
	v_mul_f64 v[2:3], v[20:21], v[26:27]
	s_and_b64 s[0:1], vcc, s[0:1]
	v_fmac_f64_e32 v[12:13], v[20:21], v[42:43]
	v_fmac_f64_e32 v[14:15], v[22:23], v[42:43]
	v_lshlrev_b32_e32 v24, 2, v24
	v_fmac_f64_e32 v[8:9], v[20:21], v[44:45]
	v_fmac_f64_e32 v[10:11], v[22:23], v[44:45]
	;; [unrolled: 1-line block ×6, first 2 shown]
	s_and_saveexec_b64 s[4:5], s[0:1]
	s_xor_b64 s[0:1], exec, s[4:5]
	s_cbranch_execz .LBB168_42
; %bb.41:
	v_ashrrev_i32_e32 v25, 31, v24
	v_lshlrev_b64 v[16:17], 4, v[24:25]
	s_waitcnt lgkmcnt(0)
	v_mov_b32_e32 v18, s3
	v_add_co_u32_e32 v16, vcc, s2, v16
	v_addc_co_u32_e32 v17, vcc, v18, v17, vcc
	global_store_dwordx4 v[16:17], v[12:15], off
	global_store_dwordx4 v[16:17], v[8:11], off offset:16
	global_store_dwordx4 v[16:17], v[4:7], off offset:32
	;; [unrolled: 1-line block ×3, first 2 shown]
                                        ; implicit-def: $vgpr16_vgpr17
                                        ; implicit-def: $vgpr18_vgpr19
                                        ; implicit-def: $vgpr12_vgpr13
                                        ; implicit-def: $vgpr24
                                        ; implicit-def: $vgpr8_vgpr9
                                        ; implicit-def: $vgpr4_vgpr5
                                        ; implicit-def: $vgpr0_vgpr1
.LBB168_42:
	s_andn2_saveexec_b64 s[0:1], s[0:1]
	s_cbranch_execz .LBB168_12
; %bb.43:
	v_ashrrev_i32_e32 v25, 31, v24
	v_lshlrev_b64 v[20:21], 4, v[24:25]
	s_waitcnt lgkmcnt(0)
	v_mov_b32_e32 v22, s3
	v_add_co_u32_e32 v36, vcc, s2, v20
	v_addc_co_u32_e32 v37, vcc, v22, v21, vcc
	global_load_dwordx4 v[20:23], v[36:37], off
	global_load_dwordx4 v[24:27], v[36:37], off offset:16
	global_load_dwordx4 v[28:31], v[36:37], off offset:32
	;; [unrolled: 1-line block ×3, first 2 shown]
	s_waitcnt vmcnt(3)
	v_fmac_f64_e32 v[12:13], v[16:17], v[20:21]
	v_fmac_f64_e32 v[14:15], v[18:19], v[20:21]
	s_waitcnt vmcnt(2)
	v_fmac_f64_e32 v[8:9], v[16:17], v[24:25]
	v_fmac_f64_e32 v[10:11], v[18:19], v[24:25]
	;; [unrolled: 3-line block ×4, first 2 shown]
	v_fma_f64 v[12:13], -v[18:19], v[22:23], v[12:13]
	v_fmac_f64_e32 v[14:15], v[16:17], v[22:23]
	v_fma_f64 v[8:9], -v[18:19], v[26:27], v[8:9]
	v_fmac_f64_e32 v[10:11], v[16:17], v[26:27]
	;; [unrolled: 2-line block ×4, first 2 shown]
	global_store_dwordx4 v[36:37], v[12:15], off
	global_store_dwordx4 v[36:37], v[8:11], off offset:16
	global_store_dwordx4 v[36:37], v[4:7], off offset:32
	;; [unrolled: 1-line block ×3, first 2 shown]
	s_endpgm
	.section	.rodata,"a",@progbits
	.p2align	6, 0x0
	.amdhsa_kernel _ZN9rocsparseL18bsrxmvn_4x4_kernelILj128ELj32E21rocsparse_complex_numIdEiiS1_IfES2_S2_EEvT3_20rocsparse_direction_NS_24const_host_device_scalarIT1_EES4_PKS4_PKT2_SD_SA_PKT4_PKT5_S8_PT6_21rocsparse_index_base_b
		.amdhsa_group_segment_fixed_size 2048
		.amdhsa_private_segment_fixed_size 0
		.amdhsa_kernarg_size 112
		.amdhsa_user_sgpr_count 8
		.amdhsa_user_sgpr_private_segment_buffer 1
		.amdhsa_user_sgpr_dispatch_ptr 1
		.amdhsa_user_sgpr_queue_ptr 0
		.amdhsa_user_sgpr_kernarg_segment_ptr 1
		.amdhsa_user_sgpr_dispatch_id 0
		.amdhsa_user_sgpr_flat_scratch_init 0
		.amdhsa_user_sgpr_kernarg_preload_length 0
		.amdhsa_user_sgpr_kernarg_preload_offset 0
		.amdhsa_user_sgpr_private_segment_size 0
		.amdhsa_uses_dynamic_stack 0
		.amdhsa_system_sgpr_private_segment_wavefront_offset 0
		.amdhsa_system_sgpr_workgroup_id_x 1
		.amdhsa_system_sgpr_workgroup_id_y 0
		.amdhsa_system_sgpr_workgroup_id_z 0
		.amdhsa_system_sgpr_workgroup_info 0
		.amdhsa_system_vgpr_workitem_id 2
		.amdhsa_next_free_vgpr 120
		.amdhsa_next_free_sgpr 22
		.amdhsa_accum_offset 120
		.amdhsa_reserve_vcc 1
		.amdhsa_reserve_flat_scratch 0
		.amdhsa_float_round_mode_32 0
		.amdhsa_float_round_mode_16_64 0
		.amdhsa_float_denorm_mode_32 3
		.amdhsa_float_denorm_mode_16_64 3
		.amdhsa_dx10_clamp 1
		.amdhsa_ieee_mode 1
		.amdhsa_fp16_overflow 0
		.amdhsa_tg_split 0
		.amdhsa_exception_fp_ieee_invalid_op 0
		.amdhsa_exception_fp_denorm_src 0
		.amdhsa_exception_fp_ieee_div_zero 0
		.amdhsa_exception_fp_ieee_overflow 0
		.amdhsa_exception_fp_ieee_underflow 0
		.amdhsa_exception_fp_ieee_inexact 0
		.amdhsa_exception_int_div_zero 0
	.end_amdhsa_kernel
	.section	.text._ZN9rocsparseL18bsrxmvn_4x4_kernelILj128ELj32E21rocsparse_complex_numIdEiiS1_IfES2_S2_EEvT3_20rocsparse_direction_NS_24const_host_device_scalarIT1_EES4_PKS4_PKT2_SD_SA_PKT4_PKT5_S8_PT6_21rocsparse_index_base_b,"axG",@progbits,_ZN9rocsparseL18bsrxmvn_4x4_kernelILj128ELj32E21rocsparse_complex_numIdEiiS1_IfES2_S2_EEvT3_20rocsparse_direction_NS_24const_host_device_scalarIT1_EES4_PKS4_PKT2_SD_SA_PKT4_PKT5_S8_PT6_21rocsparse_index_base_b,comdat
.Lfunc_end168:
	.size	_ZN9rocsparseL18bsrxmvn_4x4_kernelILj128ELj32E21rocsparse_complex_numIdEiiS1_IfES2_S2_EEvT3_20rocsparse_direction_NS_24const_host_device_scalarIT1_EES4_PKS4_PKT2_SD_SA_PKT4_PKT5_S8_PT6_21rocsparse_index_base_b, .Lfunc_end168-_ZN9rocsparseL18bsrxmvn_4x4_kernelILj128ELj32E21rocsparse_complex_numIdEiiS1_IfES2_S2_EEvT3_20rocsparse_direction_NS_24const_host_device_scalarIT1_EES4_PKS4_PKT2_SD_SA_PKT4_PKT5_S8_PT6_21rocsparse_index_base_b
                                        ; -- End function
	.section	.AMDGPU.csdata,"",@progbits
; Kernel info:
; codeLenInByte = 9016
; NumSgprs: 26
; NumVgprs: 120
; NumAgprs: 0
; TotalNumVgprs: 120
; ScratchSize: 0
; MemoryBound: 0
; FloatMode: 240
; IeeeMode: 1
; LDSByteSize: 2048 bytes/workgroup (compile time only)
; SGPRBlocks: 3
; VGPRBlocks: 14
; NumSGPRsForWavesPerEU: 26
; NumVGPRsForWavesPerEU: 120
; AccumOffset: 120
; Occupancy: 4
; WaveLimiterHint : 1
; COMPUTE_PGM_RSRC2:SCRATCH_EN: 0
; COMPUTE_PGM_RSRC2:USER_SGPR: 8
; COMPUTE_PGM_RSRC2:TRAP_HANDLER: 0
; COMPUTE_PGM_RSRC2:TGID_X_EN: 1
; COMPUTE_PGM_RSRC2:TGID_Y_EN: 0
; COMPUTE_PGM_RSRC2:TGID_Z_EN: 0
; COMPUTE_PGM_RSRC2:TIDIG_COMP_CNT: 2
; COMPUTE_PGM_RSRC3_GFX90A:ACCUM_OFFSET: 29
; COMPUTE_PGM_RSRC3_GFX90A:TG_SPLIT: 0
	.section	.text._ZN9rocsparseL18bsrxmvn_4x4_kernelILj128ELj64E21rocsparse_complex_numIdEiiS1_IfES2_S2_EEvT3_20rocsparse_direction_NS_24const_host_device_scalarIT1_EES4_PKS4_PKT2_SD_SA_PKT4_PKT5_S8_PT6_21rocsparse_index_base_b,"axG",@progbits,_ZN9rocsparseL18bsrxmvn_4x4_kernelILj128ELj64E21rocsparse_complex_numIdEiiS1_IfES2_S2_EEvT3_20rocsparse_direction_NS_24const_host_device_scalarIT1_EES4_PKS4_PKT2_SD_SA_PKT4_PKT5_S8_PT6_21rocsparse_index_base_b,comdat
	.globl	_ZN9rocsparseL18bsrxmvn_4x4_kernelILj128ELj64E21rocsparse_complex_numIdEiiS1_IfES2_S2_EEvT3_20rocsparse_direction_NS_24const_host_device_scalarIT1_EES4_PKS4_PKT2_SD_SA_PKT4_PKT5_S8_PT6_21rocsparse_index_base_b ; -- Begin function _ZN9rocsparseL18bsrxmvn_4x4_kernelILj128ELj64E21rocsparse_complex_numIdEiiS1_IfES2_S2_EEvT3_20rocsparse_direction_NS_24const_host_device_scalarIT1_EES4_PKS4_PKT2_SD_SA_PKT4_PKT5_S8_PT6_21rocsparse_index_base_b
	.p2align	8
	.type	_ZN9rocsparseL18bsrxmvn_4x4_kernelILj128ELj64E21rocsparse_complex_numIdEiiS1_IfES2_S2_EEvT3_20rocsparse_direction_NS_24const_host_device_scalarIT1_EES4_PKS4_PKT2_SD_SA_PKT4_PKT5_S8_PT6_21rocsparse_index_base_b,@function
_ZN9rocsparseL18bsrxmvn_4x4_kernelILj128ELj64E21rocsparse_complex_numIdEiiS1_IfES2_S2_EEvT3_20rocsparse_direction_NS_24const_host_device_scalarIT1_EES4_PKS4_PKT2_SD_SA_PKT4_PKT5_S8_PT6_21rocsparse_index_base_b: ; @_ZN9rocsparseL18bsrxmvn_4x4_kernelILj128ELj64E21rocsparse_complex_numIdEiiS1_IfES2_S2_EEvT3_20rocsparse_direction_NS_24const_host_device_scalarIT1_EES4_PKS4_PKT2_SD_SA_PKT4_PKT5_S8_PT6_21rocsparse_index_base_b
; %bb.0:
	s_load_dwordx2 s[20:21], s[6:7], 0x68
	s_load_dwordx4 s[12:15], s[6:7], 0x8
	s_load_dwordx2 s[10:11], s[4:5], 0x4
	s_load_dwordx4 s[16:19], s[6:7], 0x50
	s_mov_b64 s[2:3], src_shared_base
	v_bfe_u32 v2, v0, 10, 10
	s_waitcnt lgkmcnt(0)
	s_bitcmp1_b32 s21, 0
	s_cselect_b64 s[0:1], -1, 0
	s_and_b64 vcc, s[0:1], exec
	s_cselect_b32 s2, s3, s13
	s_lshr_b32 s4, s10, 16
	v_and_b32_e32 v1, 0x3ff, v0
	s_mul_i32 s4, s4, s11
	v_mul_u32_u24_e32 v2, s11, v2
	v_mad_u32_u24 v2, s4, v1, v2
	v_bfe_u32 v0, v0, 20, 10
	v_add_lshl_u32 v0, v2, v0, 3
	v_mov_b32_e32 v6, s12
	v_add_u32_e32 v7, 0x400, v0
	v_pk_mov_b32 v[2:3], s[12:13], s[12:13] op_sel:[0,1]
	v_pk_mov_b32 v[4:5], s[16:17], s[16:17] op_sel:[0,1]
	ds_write2st64_b64 v0, v[4:5], v[2:3] offset1:2
	v_cndmask_b32_e64 v2, v6, v7, s[0:1]
	v_mov_b32_e32 v3, s2
	flat_load_dwordx2 v[20:21], v[2:3]
	s_xor_b64 s[4:5], s[0:1], -1
	v_pk_mov_b32 v[22:23], s[14:15], s[14:15] op_sel:[0,1]
	s_cbranch_vccnz .LBB169_2
; %bb.1:
	v_pk_mov_b32 v[2:3], s[12:13], s[12:13] op_sel:[0,1]
	flat_load_dwordx2 v[22:23], v[2:3] offset:8
.LBB169_2:
	s_and_b64 s[10:11], s[0:1], exec
	s_cselect_b32 s2, s3, s17
	v_mov_b32_e32 v2, s16
	v_cndmask_b32_e64 v2, v2, v0, s[0:1]
	v_mov_b32_e32 v3, s2
	flat_load_dwordx2 v[16:17], v[2:3]
	s_andn2_b64 vcc, exec, s[4:5]
	v_pk_mov_b32 v[18:19], s[18:19], s[18:19] op_sel:[0,1]
	s_cbranch_vccnz .LBB169_4
; %bb.3:
	v_pk_mov_b32 v[2:3], s[16:17], s[16:17] op_sel:[0,1]
	flat_load_dwordx2 v[18:19], v[2:3] offset:8
.LBB169_4:
	s_waitcnt vmcnt(0) lgkmcnt(0)
	v_cmp_eq_f64_e32 vcc, 0, v[20:21]
	v_cmp_eq_f64_e64 s[0:1], 0, v[22:23]
	s_and_b64 s[4:5], vcc, s[0:1]
	s_mov_b64 s[0:1], -1
	s_and_saveexec_b64 s[2:3], s[4:5]
; %bb.5:
	v_cmp_neq_f64_e32 vcc, 1.0, v[16:17]
	v_cmp_neq_f64_e64 s[0:1], 0, v[18:19]
	s_or_b64 s[0:1], vcc, s[0:1]
	s_orn2_b64 s[0:1], s[0:1], exec
; %bb.6:
	s_or_b64 exec, exec, s[2:3]
	s_and_saveexec_b64 s[2:3], s[0:1]
	s_cbranch_execz .LBB169_12
; %bb.7:
	s_load_dwordx2 s[4:5], s[6:7], 0x20
	s_load_dwordx2 s[0:1], s[6:7], 0x0
	v_lshrrev_b32_e32 v0, 6, v1
	v_lshl_or_b32 v24, s8, 1, v0
	s_mov_b64 s[2:3], 0
	s_waitcnt lgkmcnt(0)
	s_cmp_lg_u64 s[4:5], 0
	s_cbranch_scc0 .LBB169_13
; %bb.8:
	s_load_dword s8, s[6:7], 0x18
                                        ; implicit-def: $vgpr0
	s_waitcnt lgkmcnt(0)
	v_cmp_gt_i32_e32 vcc, s8, v24
	s_and_saveexec_b64 s[8:9], vcc
	s_xor_b64 s[8:9], exec, s[8:9]
	s_cbranch_execz .LBB169_10
; %bb.9:
	v_ashrrev_i32_e32 v25, 31, v24
	v_lshlrev_b64 v[2:3], 2, v[24:25]
	v_mov_b32_e32 v0, s5
	v_add_co_u32_e32 v2, vcc, s4, v2
	v_addc_co_u32_e32 v3, vcc, v0, v3, vcc
	global_load_dword v0, v[2:3], off
	s_mov_b64 s[2:3], exec
	s_waitcnt vmcnt(0)
	v_subrev_u32_e32 v0, s20, v0
.LBB169_10:
	s_or_b64 exec, exec, s[8:9]
	s_branch .LBB169_14
.LBB169_11:
	v_cmp_gt_i32_e32 vcc, s0, v24
	s_andn2_b64 s[2:3], s[2:3], exec
	s_and_b64 s[4:5], vcc, exec
	s_or_b64 s[2:3], s[2:3], s[4:5]
	s_and_b64 exec, exec, s[2:3]
	s_cbranch_execnz .LBB169_15
.LBB169_12:
	s_endpgm
.LBB169_13:
                                        ; implicit-def: $vgpr0
	s_cbranch_execnz .LBB169_11
.LBB169_14:
	v_mov_b32_e32 v24, v0
	s_and_b64 exec, exec, s[2:3]
	s_cbranch_execz .LBB169_12
.LBB169_15:
	s_load_dwordx8 s[8:15], s[6:7], 0x28
	v_ashrrev_i32_e32 v25, 31, v24
	v_lshlrev_b64 v[2:3], 2, v[24:25]
	v_and_b32_e32 v25, 63, v1
	s_load_dwordx2 s[4:5], s[6:7], 0x48
	s_waitcnt lgkmcnt(0)
	v_mov_b32_e32 v0, s9
	v_add_co_u32_e32 v4, vcc, s8, v2
	v_addc_co_u32_e32 v5, vcc, v0, v3, vcc
	v_add_co_u32_e32 v0, vcc, 4, v4
	global_load_dword v55, v[4:5], off
	v_addc_co_u32_e32 v4, vcc, 0, v5, vcc
	v_mov_b32_e32 v5, s11
	v_add_co_u32_e32 v2, vcc, s10, v2
	s_cmp_eq_u64 s[10:11], 0
	v_addc_co_u32_e32 v3, vcc, v5, v3, vcc
	s_cselect_b64 vcc, -1, 0
	v_cndmask_b32_e32 v3, v3, v4, vcc
	v_cndmask_b32_e32 v2, v2, v0, vcc
	global_load_dword v0, v[2:3], off
	v_mov_b32_e32 v2, s15
	s_cmp_eq_u32 s1, 1
	s_waitcnt vmcnt(1)
	v_subrev_u32_e32 v1, s20, v55
	v_add_u32_e32 v34, v1, v25
	v_ashrrev_i32_e32 v35, 31, v34
	s_waitcnt vmcnt(0)
	v_subrev_u32_e32 v54, s20, v0
	v_lshlrev_b64 v[0:1], 7, v[34:35]
	v_add_co_u32_e32 v36, vcc, s14, v0
	v_addc_co_u32_e32 v37, vcc, v2, v1, vcc
	v_cmp_lt_i32_e64 s[0:1], v34, v54
	s_cbranch_scc1 .LBB169_27
; %bb.16:
	v_pk_mov_b32 v[32:33], 0, 0
	s_mov_b64 s[8:9], 0
	v_pk_mov_b32 v[46:47], v[32:33], v[32:33] op_sel:[0,1]
	v_pk_mov_b32 v[30:31], v[32:33], v[32:33] op_sel:[0,1]
	;; [unrolled: 1-line block ×7, first 2 shown]
	s_and_saveexec_b64 s[10:11], s[0:1]
	s_cbranch_execz .LBB169_26
; %bb.17:
	v_add_u32_e32 v0, v55, v25
	v_subrev_u32_e32 v0, s20, v0
	v_add_u32_e32 v0, 64, v0
	v_max_i32_e32 v0, v0, v54
	v_not_b32_e32 v1, v55
	v_add3_u32 v0, v0, s20, v1
	v_sub_u32_e32 v12, v0, v25
	v_lshrrev_b32_e32 v0, 6, v12
	v_add_u32_e32 v0, 1, v0
	v_and_b32_e32 v0, 3, v0
	v_pk_mov_b32 v[44:45], 0, 0
	v_cmp_ne_u32_e32 vcc, 0, v0
	v_pk_mov_b32 v[26:27], v[44:45], v[44:45] op_sel:[0,1]
	v_pk_mov_b32 v[42:43], v[44:45], v[44:45] op_sel:[0,1]
	;; [unrolled: 1-line block ×8, first 2 shown]
	v_mov_b32_e32 v38, v34
	s_and_saveexec_b64 s[14:15], vcc
	s_cbranch_execz .LBB169_21
; %bb.18:
	v_pk_mov_b32 v[32:33], 0, 0
	v_lshlrev_b32_e32 v13, 7, v0
	s_mov_b64 s[16:17], 0
	v_mov_b32_e32 v14, s13
	v_mov_b32_e32 v15, s5
	;; [unrolled: 1-line block ×3, first 2 shown]
	v_pk_mov_b32 v[40:41], v[36:37], v[36:37] op_sel:[0,1]
	v_pk_mov_b32 v[46:47], v[32:33], v[32:33] op_sel:[0,1]
	;; [unrolled: 1-line block ×8, first 2 shown]
.LBB169_19:                             ; =>This Inner Loop Header: Depth=1
	v_ashrrev_i32_e32 v39, 31, v38
	v_lshlrev_b64 v[72:73], 2, v[38:39]
	v_add_co_u32_e64 v72, s[2:3], s12, v72
	v_addc_co_u32_e64 v73, s[2:3], v14, v73, s[2:3]
	global_load_dwordx4 v[8:11], v[40:41], off
	global_load_dwordx4 v[4:7], v[40:41], off offset:16
	global_load_dwordx4 v[0:3], v[40:41], off offset:32
	;; [unrolled: 1-line block ×7, first 2 shown]
	global_load_dword v35, v[72:73], off
	v_add_co_u32_e32 v40, vcc, 0x2000, v40
	v_add_u32_e32 v13, 0xffffff80, v13
	v_addc_co_u32_e32 v41, vcc, 0, v41, vcc
	v_cmp_eq_u32_e32 vcc, 0, v13
	s_or_b64 s[16:17], vcc, s[16:17]
	v_add_u32_e32 v38, 64, v38
	s_waitcnt vmcnt(6)
	v_cvt_f64_f32_e32 v[92:93], v0
	v_cvt_f64_f32_e32 v[94:95], v1
	v_cvt_f64_f32_e32 v[96:97], v2
	v_cvt_f64_f32_e32 v[76:77], v8
	v_cvt_f64_f32_e32 v[78:79], v9
	v_cvt_f64_f32_e32 v[80:81], v10
	s_waitcnt vmcnt(0)
	v_subrev_u32_e32 v0, s20, v35
	v_lshlrev_b32_e32 v0, 2, v0
	v_ashrrev_i32_e32 v1, 31, v0
	v_lshlrev_b64 v[0:1], 4, v[0:1]
	v_add_co_u32_e32 v104, vcc, s4, v0
	v_addc_co_u32_e32 v105, vcc, v15, v1, vcc
	v_cvt_f64_f32_e32 v[82:83], v11
	v_cvt_f64_f32_e32 v[84:85], v4
	;; [unrolled: 1-line block ×6, first 2 shown]
	global_load_dwordx4 v[0:3], v[104:105], off
	global_load_dwordx4 v[4:7], v[104:105], off offset:16
	global_load_dwordx4 v[8:11], v[104:105], off offset:32
	;; [unrolled: 1-line block ×3, first 2 shown]
	v_cvt_f64_f32_e32 v[100:101], v56
	v_cvt_f64_f32_e32 v[56:57], v57
	;; [unrolled: 1-line block ×20, first 2 shown]
	s_waitcnt vmcnt(3)
	v_fmac_f64_e32 v[46:47], v[76:77], v[0:1]
	v_fmac_f64_e32 v[32:33], v[78:79], v[0:1]
	v_fmac_f64_e32 v[48:49], v[92:93], v[0:1]
	v_fmac_f64_e32 v[30:31], v[94:95], v[0:1]
	v_fmac_f64_e32 v[42:43], v[100:101], v[0:1]
	v_fmac_f64_e32 v[28:29], v[56:57], v[0:1]
	v_fmac_f64_e32 v[44:45], v[102:103], v[0:1]
	v_fmac_f64_e32 v[26:27], v[64:65], v[0:1]
	v_fma_f64 v[0:1], -v[78:79], v[2:3], v[46:47]
	v_fmac_f64_e32 v[32:33], v[76:77], v[2:3]
	v_fma_f64 v[46:47], -v[94:95], v[2:3], v[48:49]
	v_fmac_f64_e32 v[30:31], v[92:93], v[2:3]
	v_fma_f64 v[42:43], -v[56:57], v[2:3], v[42:43]
	v_fmac_f64_e32 v[28:29], v[100:101], v[2:3]
	v_fma_f64 v[44:45], -v[64:65], v[2:3], v[44:45]
	v_fmac_f64_e32 v[26:27], v[102:103], v[2:3]
	s_waitcnt vmcnt(2)
	v_fmac_f64_e32 v[0:1], v[80:81], v[4:5]
	v_fmac_f64_e32 v[32:33], v[82:83], v[4:5]
	v_fmac_f64_e32 v[46:47], v[96:97], v[4:5]
	v_fmac_f64_e32 v[30:31], v[98:99], v[4:5]
	v_fmac_f64_e32 v[42:43], v[108:109], v[4:5]
	v_fmac_f64_e32 v[28:29], v[58:59], v[4:5]
	v_fmac_f64_e32 v[44:45], v[114:115], v[4:5]
	v_fmac_f64_e32 v[26:27], v[66:67], v[4:5]
	v_fma_f64 v[0:1], -v[82:83], v[6:7], v[0:1]
	v_fmac_f64_e32 v[32:33], v[80:81], v[6:7]
	v_fma_f64 v[2:3], -v[98:99], v[6:7], v[46:47]
	v_fmac_f64_e32 v[30:31], v[96:97], v[6:7]
	v_fma_f64 v[4:5], -v[58:59], v[6:7], v[42:43]
	v_fmac_f64_e32 v[28:29], v[108:109], v[6:7]
	v_fma_f64 v[42:43], -v[66:67], v[6:7], v[44:45]
	v_fmac_f64_e32 v[26:27], v[114:115], v[6:7]
	;; [unrolled: 17-line block ×4, first 2 shown]
	s_andn2_b64 exec, exec, s[16:17]
	s_cbranch_execnz .LBB169_19
; %bb.20:
	s_or_b64 exec, exec, s[16:17]
.LBB169_21:
	s_or_b64 exec, exec, s[14:15]
	s_movk_i32 s2, 0xbf
	v_cmp_lt_u32_e32 vcc, s2, v12
	s_and_saveexec_b64 s[14:15], vcc
	s_cbranch_execz .LBB169_25
; %bb.22:
	s_mov_b64 s[16:17], 0
	v_mov_b32_e32 v35, s13
	v_mov_b32_e32 v56, s5
	s_movk_i32 s18, 0x2000
	s_movk_i32 s19, 0x4000
	;; [unrolled: 1-line block ×3, first 2 shown]
.LBB169_23:                             ; =>This Inner Loop Header: Depth=1
	v_ashrrev_i32_e32 v39, 31, v38
	v_lshlrev_b64 v[0:1], 2, v[38:39]
	v_add_co_u32_e32 v50, vcc, s12, v0
	v_addc_co_u32_e32 v51, vcc, v35, v1, vcc
	global_load_dword v0, v[50:51], off
	global_load_dwordx4 v[58:61], v[40:41], off offset:48
	global_load_dwordx4 v[62:65], v[40:41], off offset:32
	global_load_dwordx4 v[66:69], v[40:41], off offset:16
	global_load_dwordx4 v[70:73], v[40:41], off
	v_add_u32_e32 v38, 0x100, v38
	v_cmp_ge_i32_e64 s[2:3], v38, v54
	s_or_b64 s[16:17], s[2:3], s[16:17]
	s_waitcnt vmcnt(4)
	v_subrev_u32_e32 v0, s20, v0
	v_lshlrev_b32_e32 v0, 2, v0
	v_ashrrev_i32_e32 v1, 31, v0
	v_lshlrev_b64 v[0:1], 4, v[0:1]
	v_add_co_u32_e32 v74, vcc, s4, v0
	v_addc_co_u32_e32 v75, vcc, v56, v1, vcc
	global_load_dwordx4 v[0:3], v[74:75], off offset:48
	global_load_dwordx4 v[4:7], v[74:75], off offset:32
	;; [unrolled: 1-line block ×3, first 2 shown]
	global_load_dwordx4 v[12:15], v[74:75], off
	s_waitcnt vmcnt(4)
	v_cvt_f64_f32_e32 v[52:53], v70
	v_cvt_f64_f32_e32 v[70:71], v71
	s_waitcnt vmcnt(0)
	v_fmac_f64_e32 v[46:47], v[52:53], v[12:13]
	v_fmac_f64_e32 v[32:33], v[70:71], v[12:13]
	v_fma_f64 v[46:47], -v[70:71], v[14:15], v[46:47]
	v_fmac_f64_e32 v[32:33], v[52:53], v[14:15]
	v_cvt_f64_f32_e32 v[52:53], v72
	v_cvt_f64_f32_e32 v[70:71], v73
	v_fmac_f64_e32 v[46:47], v[52:53], v[8:9]
	v_fmac_f64_e32 v[32:33], v[70:71], v[8:9]
	v_fma_f64 v[46:47], -v[70:71], v[10:11], v[46:47]
	v_fmac_f64_e32 v[32:33], v[52:53], v[10:11]
	v_cvt_f64_f32_e32 v[52:53], v66
	v_cvt_f64_f32_e32 v[66:67], v67
	v_fmac_f64_e32 v[46:47], v[52:53], v[4:5]
	v_fma_f64 v[46:47], -v[66:67], v[6:7], v[46:47]
	v_fmac_f64_e32 v[32:33], v[66:67], v[4:5]
	v_cvt_f64_f32_e32 v[66:67], v68
	v_cvt_f64_f32_e32 v[68:69], v69
	v_fmac_f64_e32 v[46:47], v[66:67], v[0:1]
	v_fmac_f64_e32 v[32:33], v[52:53], v[6:7]
	v_fma_f64 v[52:53], -v[68:69], v[2:3], v[46:47]
	v_cvt_f64_f32_e32 v[46:47], v62
	v_cvt_f64_f32_e32 v[62:63], v63
	v_fmac_f64_e32 v[48:49], v[46:47], v[12:13]
	v_fmac_f64_e32 v[30:31], v[62:63], v[12:13]
	v_fma_f64 v[48:49], -v[62:63], v[14:15], v[48:49]
	v_fmac_f64_e32 v[30:31], v[46:47], v[14:15]
	v_cvt_f64_f32_e32 v[46:47], v64
	v_cvt_f64_f32_e32 v[62:63], v65
	v_fmac_f64_e32 v[48:49], v[46:47], v[8:9]
	v_fmac_f64_e32 v[30:31], v[62:63], v[8:9]
	v_fma_f64 v[48:49], -v[62:63], v[10:11], v[48:49]
	v_fmac_f64_e32 v[30:31], v[46:47], v[10:11]
	;; [unrolled: 6-line block ×3, first 2 shown]
	v_cvt_f64_f32_e32 v[58:59], v60
	v_cvt_f64_f32_e32 v[60:61], v61
	v_fmac_f64_e32 v[32:33], v[68:69], v[0:1]
	v_fmac_f64_e32 v[48:49], v[58:59], v[0:1]
	v_fmac_f64_e32 v[30:31], v[60:61], v[0:1]
	v_fmac_f64_e32 v[32:33], v[66:67], v[2:3]
	v_fma_f64 v[46:47], -v[60:61], v[2:3], v[48:49]
	v_fmac_f64_e32 v[30:31], v[58:59], v[2:3]
	global_load_dwordx4 v[58:61], v[40:41], off offset:112
	global_load_dwordx4 v[62:65], v[40:41], off offset:96
	;; [unrolled: 1-line block ×4, first 2 shown]
	s_waitcnt vmcnt(0)
	v_cvt_f64_f32_e32 v[48:49], v70
	v_cvt_f64_f32_e32 v[70:71], v71
	v_fmac_f64_e32 v[42:43], v[48:49], v[12:13]
	v_fmac_f64_e32 v[28:29], v[70:71], v[12:13]
	v_fma_f64 v[42:43], -v[70:71], v[14:15], v[42:43]
	v_fmac_f64_e32 v[28:29], v[48:49], v[14:15]
	v_cvt_f64_f32_e32 v[48:49], v72
	v_cvt_f64_f32_e32 v[70:71], v73
	v_fmac_f64_e32 v[42:43], v[48:49], v[8:9]
	v_fmac_f64_e32 v[28:29], v[70:71], v[8:9]
	v_fma_f64 v[42:43], -v[70:71], v[10:11], v[42:43]
	v_fmac_f64_e32 v[28:29], v[48:49], v[10:11]
	;; [unrolled: 6-line block ×3, first 2 shown]
	v_cvt_f64_f32_e32 v[66:67], v69
	v_cvt_f64_f32_e32 v[48:49], v68
	v_fmac_f64_e32 v[28:29], v[66:67], v[0:1]
	v_fmac_f64_e32 v[42:43], v[48:49], v[0:1]
	;; [unrolled: 1-line block ×3, first 2 shown]
	v_cvt_f64_f32_e32 v[48:49], v62
	v_cvt_f64_f32_e32 v[62:63], v63
	v_fmac_f64_e32 v[44:45], v[48:49], v[12:13]
	v_fmac_f64_e32 v[26:27], v[62:63], v[12:13]
	v_fma_f64 v[44:45], -v[62:63], v[14:15], v[44:45]
	v_fmac_f64_e32 v[26:27], v[48:49], v[14:15]
	v_cvt_f64_f32_e32 v[12:13], v64
	v_cvt_f64_f32_e32 v[14:15], v65
	v_fmac_f64_e32 v[44:45], v[12:13], v[8:9]
	v_fmac_f64_e32 v[26:27], v[14:15], v[8:9]
	v_fma_f64 v[44:45], -v[14:15], v[10:11], v[44:45]
	v_fmac_f64_e32 v[26:27], v[12:13], v[10:11]
	;; [unrolled: 6-line block ×3, first 2 shown]
	v_cvt_f64_f32_e32 v[6:7], v60
	v_cvt_f64_f32_e32 v[8:9], v61
	v_fmac_f64_e32 v[12:13], v[6:7], v[0:1]
	v_fmac_f64_e32 v[26:27], v[8:9], v[0:1]
	global_load_dword v0, v[50:51], off offset:256
	v_fmac_f64_e32 v[26:27], v[6:7], v[2:3]
	v_fma_f64 v[4:5], -v[8:9], v[2:3], v[12:13]
	v_add_co_u32_e32 v8, vcc, s18, v40
	v_addc_co_u32_e32 v9, vcc, 0, v41, vcc
	v_fma_f64 v[42:43], -v[66:67], v[2:3], v[42:43]
	s_waitcnt vmcnt(0)
	v_subrev_u32_e32 v0, s20, v0
	v_lshlrev_b32_e32 v6, 2, v0
	v_ashrrev_i32_e32 v7, 31, v6
	v_lshlrev_b64 v[6:7], 4, v[6:7]
	v_add_co_u32_e32 v6, vcc, s4, v6
	v_addc_co_u32_e32 v7, vcc, v56, v7, vcc
	global_load_dwordx4 v[10:13], v[8:9], off
	global_load_dwordx4 v[0:3], v[8:9], off offset:48
	global_load_dwordx4 v[58:61], v[8:9], off offset:32
	;; [unrolled: 1-line block ×6, first 2 shown]
	global_load_dwordx4 v[78:81], v[6:7], off
	s_waitcnt vmcnt(7)
	v_cvt_f64_f32_e32 v[14:15], v10
	v_cvt_f64_f32_e32 v[10:11], v11
	s_waitcnt vmcnt(0)
	v_fmac_f64_e32 v[52:53], v[14:15], v[78:79]
	v_fmac_f64_e32 v[32:33], v[10:11], v[78:79]
	v_fma_f64 v[6:7], -v[10:11], v[80:81], v[52:53]
	v_fmac_f64_e32 v[32:33], v[14:15], v[80:81]
	v_cvt_f64_f32_e32 v[10:11], v12
	v_cvt_f64_f32_e32 v[12:13], v13
	v_fmac_f64_e32 v[6:7], v[10:11], v[74:75]
	v_fmac_f64_e32 v[32:33], v[12:13], v[74:75]
	v_fma_f64 v[6:7], -v[12:13], v[76:77], v[6:7]
	v_fmac_f64_e32 v[32:33], v[10:11], v[76:77]
	v_cvt_f64_f32_e32 v[10:11], v62
	v_cvt_f64_f32_e32 v[12:13], v63
	;; [unrolled: 6-line block ×7, first 2 shown]
	v_fmac_f64_e32 v[12:13], v[0:1], v[66:67]
	v_fmac_f64_e32 v[30:31], v[2:3], v[66:67]
	v_fma_f64 v[48:49], -v[2:3], v[68:69], v[12:13]
	v_fmac_f64_e32 v[30:31], v[0:1], v[68:69]
	global_load_dwordx4 v[0:3], v[8:9], off offset:112
	global_load_dwordx4 v[10:13], v[8:9], off offset:96
	;; [unrolled: 1-line block ×4, first 2 shown]
	s_waitcnt vmcnt(0)
	v_cvt_f64_f32_e32 v[8:9], v58
	v_cvt_f64_f32_e32 v[14:15], v59
	v_fmac_f64_e32 v[42:43], v[8:9], v[78:79]
	v_fmac_f64_e32 v[28:29], v[14:15], v[78:79]
	v_fma_f64 v[42:43], -v[14:15], v[80:81], v[42:43]
	v_fmac_f64_e32 v[28:29], v[8:9], v[80:81]
	v_cvt_f64_f32_e32 v[8:9], v60
	v_cvt_f64_f32_e32 v[14:15], v61
	v_fmac_f64_e32 v[42:43], v[8:9], v[74:75]
	v_fmac_f64_e32 v[28:29], v[14:15], v[74:75]
	v_fma_f64 v[42:43], -v[14:15], v[76:77], v[42:43]
	v_fmac_f64_e32 v[28:29], v[8:9], v[76:77]
	;; [unrolled: 6-line block ×3, first 2 shown]
	v_cvt_f64_f32_e32 v[14:15], v47
	v_cvt_f64_f32_e32 v[8:9], v46
	v_fmac_f64_e32 v[28:29], v[14:15], v[66:67]
	v_fmac_f64_e32 v[42:43], v[8:9], v[66:67]
	;; [unrolled: 1-line block ×3, first 2 shown]
	v_cvt_f64_f32_e32 v[8:9], v10
	v_cvt_f64_f32_e32 v[10:11], v11
	v_fmac_f64_e32 v[4:5], v[8:9], v[78:79]
	v_fmac_f64_e32 v[26:27], v[10:11], v[78:79]
	v_fma_f64 v[4:5], -v[10:11], v[80:81], v[4:5]
	v_fmac_f64_e32 v[26:27], v[8:9], v[80:81]
	v_cvt_f64_f32_e32 v[8:9], v12
	v_cvt_f64_f32_e32 v[10:11], v13
	v_fmac_f64_e32 v[4:5], v[8:9], v[74:75]
	v_fmac_f64_e32 v[26:27], v[10:11], v[74:75]
	v_fma_f64 v[4:5], -v[10:11], v[76:77], v[4:5]
	v_fmac_f64_e32 v[26:27], v[8:9], v[76:77]
	;; [unrolled: 6-line block ×3, first 2 shown]
	v_cvt_f64_f32_e32 v[0:1], v2
	v_cvt_f64_f32_e32 v[2:3], v3
	v_fmac_f64_e32 v[26:27], v[2:3], v[66:67]
	v_fmac_f64_e32 v[4:5], v[0:1], v[66:67]
	;; [unrolled: 1-line block ×3, first 2 shown]
	global_load_dword v0, v[50:51], off offset:512
	v_fma_f64 v[74:75], -v[2:3], v[68:69], v[4:5]
	v_add_co_u32_e32 v76, vcc, s19, v40
	v_addc_co_u32_e32 v77, vcc, 0, v41, vcc
	v_fma_f64 v[52:53], -v[14:15], v[68:69], v[42:43]
	s_waitcnt vmcnt(0)
	v_subrev_u32_e32 v0, s20, v0
	v_lshlrev_b32_e32 v4, 2, v0
	v_ashrrev_i32_e32 v5, 31, v4
	v_lshlrev_b64 v[4:5], 4, v[4:5]
	v_add_co_u32_e32 v4, vcc, s4, v4
	v_addc_co_u32_e32 v5, vcc, v56, v5, vcc
	global_load_dwordx4 v[0:3], v[76:77], off
	global_load_dwordx4 v[8:11], v[76:77], off offset:48
	global_load_dwordx4 v[12:15], v[76:77], off offset:32
	;; [unrolled: 1-line block ×6, first 2 shown]
	global_load_dwordx4 v[70:73], v[4:5], off
	s_waitcnt vmcnt(7)
	v_cvt_f64_f32_e32 v[46:47], v0
	v_cvt_f64_f32_e32 v[0:1], v1
	s_waitcnt vmcnt(0)
	v_fmac_f64_e32 v[6:7], v[46:47], v[70:71]
	v_fmac_f64_e32 v[32:33], v[0:1], v[70:71]
	v_fma_f64 v[4:5], -v[0:1], v[72:73], v[6:7]
	v_fmac_f64_e32 v[32:33], v[46:47], v[72:73]
	v_cvt_f64_f32_e32 v[0:1], v2
	v_cvt_f64_f32_e32 v[2:3], v3
	v_fmac_f64_e32 v[4:5], v[0:1], v[66:67]
	v_fmac_f64_e32 v[32:33], v[2:3], v[66:67]
	v_fma_f64 v[4:5], -v[2:3], v[68:69], v[4:5]
	v_fmac_f64_e32 v[32:33], v[0:1], v[68:69]
	v_cvt_f64_f32_e32 v[0:1], v42
	v_cvt_f64_f32_e32 v[2:3], v43
	;; [unrolled: 6-line block ×7, first 2 shown]
	v_fmac_f64_e32 v[4:5], v[0:1], v[58:59]
	v_fmac_f64_e32 v[30:31], v[2:3], v[58:59]
	v_fma_f64 v[48:49], -v[2:3], v[60:61], v[4:5]
	v_fmac_f64_e32 v[30:31], v[0:1], v[60:61]
	global_load_dwordx4 v[0:3], v[76:77], off offset:112
	global_load_dwordx4 v[4:7], v[76:77], off offset:96
	;; [unrolled: 1-line block ×4, first 2 shown]
	s_waitcnt vmcnt(0)
	v_cvt_f64_f32_e32 v[42:43], v12
	v_cvt_f64_f32_e32 v[12:13], v13
	v_fmac_f64_e32 v[52:53], v[42:43], v[70:71]
	v_fmac_f64_e32 v[28:29], v[12:13], v[70:71]
	v_fma_f64 v[44:45], -v[12:13], v[72:73], v[52:53]
	v_fmac_f64_e32 v[28:29], v[42:43], v[72:73]
	v_cvt_f64_f32_e32 v[12:13], v14
	v_cvt_f64_f32_e32 v[14:15], v15
	v_fmac_f64_e32 v[44:45], v[12:13], v[66:67]
	v_fmac_f64_e32 v[28:29], v[14:15], v[66:67]
	v_fma_f64 v[42:43], -v[14:15], v[68:69], v[44:45]
	v_fmac_f64_e32 v[28:29], v[12:13], v[68:69]
	v_cvt_f64_f32_e32 v[12:13], v8
	v_cvt_f64_f32_e32 v[8:9], v9
	v_fmac_f64_e32 v[42:43], v[12:13], v[62:63]
	v_fmac_f64_e32 v[28:29], v[8:9], v[62:63]
	v_fma_f64 v[14:15], -v[8:9], v[64:65], v[42:43]
	v_fmac_f64_e32 v[28:29], v[12:13], v[64:65]
	v_cvt_f64_f32_e32 v[8:9], v10
	v_cvt_f64_f32_e32 v[10:11], v11
	v_fmac_f64_e32 v[28:29], v[10:11], v[58:59]
	v_fmac_f64_e32 v[14:15], v[8:9], v[58:59]
	v_fmac_f64_e32 v[28:29], v[8:9], v[60:61]
	v_cvt_f64_f32_e32 v[8:9], v4
	v_cvt_f64_f32_e32 v[4:5], v5
	v_fmac_f64_e32 v[74:75], v[8:9], v[70:71]
	v_fmac_f64_e32 v[26:27], v[4:5], v[70:71]
	v_fma_f64 v[42:43], -v[10:11], v[60:61], v[14:15]
	v_fma_f64 v[10:11], -v[4:5], v[72:73], v[74:75]
	v_fmac_f64_e32 v[26:27], v[8:9], v[72:73]
	v_cvt_f64_f32_e32 v[4:5], v6
	v_cvt_f64_f32_e32 v[6:7], v7
	v_fmac_f64_e32 v[10:11], v[4:5], v[66:67]
	v_fmac_f64_e32 v[26:27], v[6:7], v[66:67]
	v_fma_f64 v[8:9], -v[6:7], v[68:69], v[10:11]
	v_fmac_f64_e32 v[26:27], v[4:5], v[68:69]
	v_cvt_f64_f32_e32 v[4:5], v0
	v_cvt_f64_f32_e32 v[0:1], v1
	v_fmac_f64_e32 v[8:9], v[4:5], v[62:63]
	v_fmac_f64_e32 v[26:27], v[0:1], v[62:63]
	;; [unrolled: 6-line block ×3, first 2 shown]
	v_fmac_f64_e32 v[26:27], v[0:1], v[60:61]
	global_load_dword v0, v[50:51], off offset:768
	v_add_co_u32_e32 v50, vcc, s21, v40
	v_addc_co_u32_e32 v51, vcc, 0, v41, vcc
	v_fma_f64 v[44:45], -v[2:3], v[60:61], v[6:7]
	global_load_dwordx4 v[58:61], v[50:51], off
	global_load_dwordx4 v[62:65], v[50:51], off offset:48
	global_load_dwordx4 v[66:69], v[50:51], off offset:32
	;; [unrolled: 1-line block ×3, first 2 shown]
	s_waitcnt vmcnt(4)
	v_subrev_u32_e32 v0, s20, v0
	v_lshlrev_b32_e32 v0, 2, v0
	v_ashrrev_i32_e32 v1, 31, v0
	v_lshlrev_b64 v[0:1], 4, v[0:1]
	v_add_co_u32_e32 v74, vcc, s4, v0
	v_addc_co_u32_e32 v75, vcc, v56, v1, vcc
	global_load_dwordx4 v[0:3], v[74:75], off offset:48
	global_load_dwordx4 v[4:7], v[74:75], off offset:32
	;; [unrolled: 1-line block ×3, first 2 shown]
	global_load_dwordx4 v[12:15], v[74:75], off
	s_waitcnt vmcnt(7)
	v_cvt_f64_f32_e32 v[52:53], v58
	v_cvt_f64_f32_e32 v[58:59], v59
	v_add_co_u32_e32 v40, vcc, 0x8000, v40
	v_addc_co_u32_e32 v41, vcc, 0, v41, vcc
	s_waitcnt vmcnt(0)
	v_fmac_f64_e32 v[46:47], v[52:53], v[12:13]
	v_fmac_f64_e32 v[32:33], v[58:59], v[12:13]
	v_fma_f64 v[46:47], -v[58:59], v[14:15], v[46:47]
	v_fmac_f64_e32 v[32:33], v[52:53], v[14:15]
	v_cvt_f64_f32_e32 v[52:53], v60
	v_cvt_f64_f32_e32 v[58:59], v61
	v_fmac_f64_e32 v[46:47], v[52:53], v[8:9]
	v_fmac_f64_e32 v[32:33], v[58:59], v[8:9]
	v_fma_f64 v[46:47], -v[58:59], v[10:11], v[46:47]
	v_fmac_f64_e32 v[32:33], v[52:53], v[10:11]
	v_cvt_f64_f32_e32 v[52:53], v70
	v_cvt_f64_f32_e32 v[58:59], v71
	;; [unrolled: 6-line block ×7, first 2 shown]
	v_fmac_f64_e32 v[48:49], v[52:53], v[0:1]
	v_fma_f64 v[48:49], -v[58:59], v[2:3], v[48:49]
	v_fmac_f64_e32 v[30:31], v[58:59], v[0:1]
	global_load_dwordx4 v[58:61], v[50:51], off offset:112
	global_load_dwordx4 v[62:65], v[50:51], off offset:96
	;; [unrolled: 1-line block ×4, first 2 shown]
	v_fmac_f64_e32 v[30:31], v[52:53], v[2:3]
	s_waitcnt vmcnt(0)
	v_cvt_f64_f32_e32 v[50:51], v70
	v_cvt_f64_f32_e32 v[52:53], v71
	v_fmac_f64_e32 v[42:43], v[50:51], v[12:13]
	v_fmac_f64_e32 v[28:29], v[52:53], v[12:13]
	v_fma_f64 v[42:43], -v[52:53], v[14:15], v[42:43]
	v_fmac_f64_e32 v[28:29], v[50:51], v[14:15]
	v_cvt_f64_f32_e32 v[50:51], v72
	v_cvt_f64_f32_e32 v[52:53], v73
	v_fmac_f64_e32 v[42:43], v[50:51], v[8:9]
	v_fmac_f64_e32 v[28:29], v[52:53], v[8:9]
	v_fma_f64 v[42:43], -v[52:53], v[10:11], v[42:43]
	v_fmac_f64_e32 v[28:29], v[50:51], v[10:11]
	;; [unrolled: 6-line block ×8, first 2 shown]
	s_andn2_b64 exec, exec, s[16:17]
	s_cbranch_execnz .LBB169_23
; %bb.24:
	s_or_b64 exec, exec, s[16:17]
.LBB169_25:
	s_or_b64 exec, exec, s[14:15]
.LBB169_26:
	s_or_b64 exec, exec, s[10:11]
	s_andn2_b64 vcc, exec, s[8:9]
	s_cbranch_vccz .LBB169_28
	s_branch .LBB169_39
.LBB169_27:
                                        ; implicit-def: $vgpr32_vgpr33
                                        ; implicit-def: $vgpr46_vgpr47
                                        ; implicit-def: $vgpr30_vgpr31
                                        ; implicit-def: $vgpr48_vgpr49
                                        ; implicit-def: $vgpr28_vgpr29
                                        ; implicit-def: $vgpr42_vgpr43
                                        ; implicit-def: $vgpr26_vgpr27
                                        ; implicit-def: $vgpr44_vgpr45
.LBB169_28:
	v_pk_mov_b32 v[32:33], 0, 0
	v_pk_mov_b32 v[46:47], v[32:33], v[32:33] op_sel:[0,1]
	v_pk_mov_b32 v[30:31], v[32:33], v[32:33] op_sel:[0,1]
	;; [unrolled: 1-line block ×7, first 2 shown]
	s_and_saveexec_b64 s[2:3], s[0:1]
	s_cbranch_execz .LBB169_38
; %bb.29:
	v_add_u32_e32 v0, v55, v25
	v_subrev_u32_e32 v0, s20, v0
	v_add_u32_e32 v0, 64, v0
	v_max_i32_e32 v0, v0, v54
	v_not_b32_e32 v1, v55
	v_add3_u32 v0, v0, s20, v1
	v_sub_u32_e32 v38, v0, v25
	v_lshrrev_b32_e32 v0, 6, v38
	v_add_u32_e32 v0, 1, v0
	v_and_b32_e32 v0, 3, v0
	v_pk_mov_b32 v[44:45], 0, 0
	v_cmp_ne_u32_e32 vcc, 0, v0
	v_pk_mov_b32 v[26:27], v[44:45], v[44:45] op_sel:[0,1]
	v_pk_mov_b32 v[42:43], v[44:45], v[44:45] op_sel:[0,1]
	;; [unrolled: 1-line block ×7, first 2 shown]
	s_and_saveexec_b64 s[8:9], vcc
	s_cbranch_execz .LBB169_33
; %bb.30:
	v_pk_mov_b32 v[32:33], 0, 0
	v_lshlrev_b32_e32 v39, 7, v0
	s_mov_b64 s[10:11], 0
	v_mov_b32_e32 v40, s13
	v_mov_b32_e32 v41, s5
	v_pk_mov_b32 v[46:47], v[32:33], v[32:33] op_sel:[0,1]
	v_pk_mov_b32 v[30:31], v[32:33], v[32:33] op_sel:[0,1]
	;; [unrolled: 1-line block ×7, first 2 shown]
.LBB169_31:                             ; =>This Inner Loop Header: Depth=1
	v_ashrrev_i32_e32 v35, 31, v34
	v_lshlrev_b64 v[68:69], 2, v[34:35]
	v_add_co_u32_e64 v68, s[0:1], s12, v68
	v_addc_co_u32_e64 v69, s[0:1], v40, v69, s[0:1]
	global_load_dwordx4 v[12:15], v[36:37], off
	global_load_dwordx4 v[8:11], v[36:37], off offset:16
	global_load_dwordx4 v[4:7], v[36:37], off offset:32
	;; [unrolled: 1-line block ×7, first 2 shown]
	global_load_dword v35, v[68:69], off
	v_add_co_u32_e32 v36, vcc, 0x2000, v36
	v_addc_co_u32_e32 v37, vcc, 0, v37, vcc
	v_add_u32_e32 v39, 0xffffff80, v39
	v_cmp_eq_u32_e64 s[0:1], 0, v39
	v_add_u32_e32 v34, 64, v34
	s_or_b64 s[10:11], s[0:1], s[10:11]
	s_waitcnt vmcnt(8)
	v_cvt_f64_f32_e32 v[72:73], v12
	v_cvt_f64_f32_e32 v[74:75], v13
	s_waitcnt vmcnt(6)
	v_cvt_f64_f32_e32 v[88:89], v4
	s_waitcnt vmcnt(5)
	v_cvt_f64_f32_e32 v[98:99], v2
	v_cvt_f64_f32_e32 v[90:91], v5
	;; [unrolled: 1-line block ×4, first 2 shown]
	s_waitcnt vmcnt(0)
	v_subrev_u32_e32 v2, s20, v35
	v_lshlrev_b32_e32 v4, 2, v2
	v_ashrrev_i32_e32 v5, 31, v4
	v_lshlrev_b64 v[4:5], 4, v[4:5]
	v_add_co_u32_e32 v100, vcc, s4, v4
	v_addc_co_u32_e32 v101, vcc, v41, v5, vcc
	v_cvt_f64_f32_e32 v[80:81], v8
	v_cvt_f64_f32_e32 v[82:83], v9
	;; [unrolled: 1-line block ×6, first 2 shown]
	global_load_dwordx4 v[4:7], v[100:101], off
	global_load_dwordx4 v[8:11], v[100:101], off offset:16
	global_load_dwordx4 v[12:15], v[100:101], off offset:32
	global_load_dwordx4 v[68:71], v[100:101], off offset:48
	v_cvt_f64_f32_e32 v[96:97], v0
	v_cvt_f64_f32_e32 v[0:1], v1
	;; [unrolled: 1-line block ×19, first 2 shown]
	s_waitcnt vmcnt(3)
	v_fmac_f64_e32 v[46:47], v[72:73], v[4:5]
	v_fmac_f64_e32 v[32:33], v[74:75], v[4:5]
	v_fmac_f64_e32 v[48:49], v[76:77], v[4:5]
	v_fmac_f64_e32 v[30:31], v[78:79], v[4:5]
	v_fmac_f64_e32 v[42:43], v[80:81], v[4:5]
	v_fmac_f64_e32 v[28:29], v[82:83], v[4:5]
	v_fmac_f64_e32 v[44:45], v[84:85], v[4:5]
	v_fmac_f64_e32 v[26:27], v[86:87], v[4:5]
	v_fma_f64 v[4:5], -v[74:75], v[6:7], v[46:47]
	v_fmac_f64_e32 v[32:33], v[72:73], v[6:7]
	v_fma_f64 v[46:47], -v[78:79], v[6:7], v[48:49]
	v_fmac_f64_e32 v[30:31], v[76:77], v[6:7]
	v_fma_f64 v[42:43], -v[82:83], v[6:7], v[42:43]
	v_fmac_f64_e32 v[28:29], v[80:81], v[6:7]
	v_fma_f64 v[44:45], -v[86:87], v[6:7], v[44:45]
	v_fmac_f64_e32 v[26:27], v[84:85], v[6:7]
	s_waitcnt vmcnt(2)
	v_fmac_f64_e32 v[4:5], v[88:89], v[8:9]
	v_fmac_f64_e32 v[32:33], v[90:91], v[8:9]
	v_fmac_f64_e32 v[46:47], v[92:93], v[8:9]
	v_fmac_f64_e32 v[30:31], v[94:95], v[8:9]
	v_fmac_f64_e32 v[42:43], v[96:97], v[8:9]
	v_fmac_f64_e32 v[28:29], v[0:1], v[8:9]
	v_fmac_f64_e32 v[44:45], v[98:99], v[8:9]
	v_fmac_f64_e32 v[26:27], v[2:3], v[8:9]
	v_fma_f64 v[4:5], -v[90:91], v[10:11], v[4:5]
	v_fmac_f64_e32 v[32:33], v[88:89], v[10:11]
	v_fma_f64 v[6:7], -v[94:95], v[10:11], v[46:47]
	v_fmac_f64_e32 v[30:31], v[92:93], v[10:11]
	v_fma_f64 v[0:1], -v[0:1], v[10:11], v[42:43]
	v_fmac_f64_e32 v[28:29], v[96:97], v[10:11]
	v_fma_f64 v[2:3], -v[2:3], v[10:11], v[44:45]
	v_fmac_f64_e32 v[26:27], v[98:99], v[10:11]
	;; [unrolled: 17-line block ×4, first 2 shown]
	s_andn2_b64 exec, exec, s[10:11]
	s_cbranch_execnz .LBB169_31
; %bb.32:
	s_or_b64 exec, exec, s[10:11]
.LBB169_33:
	s_or_b64 exec, exec, s[8:9]
	s_movk_i32 s0, 0xbf
	v_cmp_lt_u32_e32 vcc, s0, v38
	s_and_saveexec_b64 s[8:9], vcc
	s_cbranch_execz .LBB169_37
; %bb.34:
	s_mov_b64 s[10:11], 0
	v_mov_b32_e32 v40, s13
	v_mov_b32_e32 v41, s5
	s_movk_i32 s5, 0x2000
	s_movk_i32 s13, 0x4000
	;; [unrolled: 1-line block ×3, first 2 shown]
.LBB169_35:                             ; =>This Inner Loop Header: Depth=1
	v_ashrrev_i32_e32 v35, 31, v34
	v_lshlrev_b64 v[0:1], 2, v[34:35]
	v_add_co_u32_e32 v8, vcc, s12, v0
	v_addc_co_u32_e32 v9, vcc, v40, v1, vcc
	global_load_dword v0, v[8:9], off
	global_load_dwordx4 v[10:13], v[36:37], off offset:48
	global_load_dwordx4 v[50:53], v[36:37], off offset:32
	global_load_dwordx4 v[56:59], v[36:37], off offset:16
	global_load_dwordx4 v[60:63], v[36:37], off
	v_add_u32_e32 v34, 0x100, v34
	v_cmp_ge_i32_e64 s[0:1], v34, v54
	s_or_b64 s[10:11], s[0:1], s[10:11]
	s_waitcnt vmcnt(4)
	v_subrev_u32_e32 v0, s20, v0
	v_lshlrev_b32_e32 v0, 2, v0
	v_ashrrev_i32_e32 v1, 31, v0
	v_lshlrev_b64 v[0:1], 4, v[0:1]
	s_waitcnt vmcnt(0)
	v_cvt_f64_f32_e32 v[14:15], v60
	v_add_co_u32_e32 v60, vcc, s4, v0
	v_cvt_f64_f32_e32 v[38:39], v61
	v_addc_co_u32_e32 v61, vcc, v41, v1, vcc
	global_load_dwordx4 v[0:3], v[60:61], off offset:48
	global_load_dwordx4 v[4:7], v[60:61], off offset:32
	;; [unrolled: 1-line block ×3, first 2 shown]
	global_load_dwordx4 v[68:71], v[60:61], off
	s_waitcnt vmcnt(0)
	v_fmac_f64_e32 v[46:47], v[14:15], v[68:69]
	v_fma_f64 v[46:47], -v[38:39], v[70:71], v[46:47]
	v_fmac_f64_e32 v[32:33], v[38:39], v[68:69]
	v_cvt_f64_f32_e32 v[38:39], v63
	v_fmac_f64_e32 v[32:33], v[14:15], v[70:71]
	v_cvt_f64_f32_e32 v[14:15], v62
	v_fmac_f64_e32 v[30:31], v[38:39], v[68:69]
	v_fmac_f64_e32 v[48:49], v[14:15], v[68:69]
	;; [unrolled: 1-line block ×3, first 2 shown]
	v_cvt_f64_f32_e32 v[14:15], v56
	v_fma_f64 v[48:49], -v[38:39], v[70:71], v[48:49]
	v_cvt_f64_f32_e32 v[38:39], v57
	v_fmac_f64_e32 v[42:43], v[14:15], v[68:69]
	v_fma_f64 v[42:43], -v[38:39], v[70:71], v[42:43]
	v_fmac_f64_e32 v[28:29], v[38:39], v[68:69]
	v_cvt_f64_f32_e32 v[38:39], v59
	v_fmac_f64_e32 v[28:29], v[14:15], v[70:71]
	v_cvt_f64_f32_e32 v[14:15], v58
	v_fmac_f64_e32 v[26:27], v[38:39], v[68:69]
	v_fmac_f64_e32 v[44:45], v[14:15], v[68:69]
	;; [unrolled: 1-line block ×3, first 2 shown]
	v_cvt_f64_f32_e32 v[14:15], v50
	v_fma_f64 v[44:45], -v[38:39], v[70:71], v[44:45]
	v_cvt_f64_f32_e32 v[38:39], v51
	v_fmac_f64_e32 v[46:47], v[14:15], v[64:65]
	v_fma_f64 v[56:57], -v[38:39], v[66:67], v[46:47]
	v_fmac_f64_e32 v[32:33], v[38:39], v[64:65]
	v_cvt_f64_f32_e32 v[38:39], v53
	v_fmac_f64_e32 v[32:33], v[14:15], v[66:67]
	v_cvt_f64_f32_e32 v[14:15], v52
	v_fmac_f64_e32 v[30:31], v[38:39], v[64:65]
	v_fmac_f64_e32 v[48:49], v[14:15], v[64:65]
	;; [unrolled: 1-line block ×3, first 2 shown]
	v_cvt_f64_f32_e32 v[14:15], v10
	v_cvt_f64_f32_e32 v[10:11], v11
	v_fmac_f64_e32 v[42:43], v[14:15], v[64:65]
	v_fma_f64 v[58:59], -v[38:39], v[66:67], v[48:49]
	v_fma_f64 v[38:39], -v[10:11], v[66:67], v[42:43]
	v_fmac_f64_e32 v[28:29], v[10:11], v[64:65]
	v_cvt_f64_f32_e32 v[10:11], v12
	v_cvt_f64_f32_e32 v[12:13], v13
	v_fmac_f64_e32 v[44:45], v[10:11], v[64:65]
	v_fmac_f64_e32 v[28:29], v[14:15], v[66:67]
	v_fma_f64 v[60:61], -v[12:13], v[66:67], v[44:45]
	v_fmac_f64_e32 v[26:27], v[12:13], v[64:65]
	global_load_dwordx4 v[12:15], v[36:37], off offset:112
	global_load_dwordx4 v[42:45], v[36:37], off offset:96
	;; [unrolled: 1-line block ×4, first 2 shown]
	v_fmac_f64_e32 v[26:27], v[10:11], v[66:67]
	s_waitcnt vmcnt(0)
	v_cvt_f64_f32_e32 v[10:11], v50
	v_cvt_f64_f32_e32 v[50:51], v51
	v_fmac_f64_e32 v[56:57], v[10:11], v[4:5]
	v_fma_f64 v[56:57], -v[50:51], v[6:7], v[56:57]
	v_fmac_f64_e32 v[32:33], v[50:51], v[4:5]
	v_cvt_f64_f32_e32 v[50:51], v53
	v_fmac_f64_e32 v[32:33], v[10:11], v[6:7]
	v_cvt_f64_f32_e32 v[10:11], v52
	v_fmac_f64_e32 v[30:31], v[50:51], v[4:5]
	v_fmac_f64_e32 v[58:59], v[10:11], v[4:5]
	;; [unrolled: 1-line block ×3, first 2 shown]
	v_cvt_f64_f32_e32 v[10:11], v46
	v_cvt_f64_f32_e32 v[46:47], v47
	v_fmac_f64_e32 v[38:39], v[10:11], v[4:5]
	v_fmac_f64_e32 v[28:29], v[46:47], v[4:5]
	v_fma_f64 v[38:39], -v[46:47], v[6:7], v[38:39]
	v_fmac_f64_e32 v[28:29], v[10:11], v[6:7]
	v_cvt_f64_f32_e32 v[10:11], v48
	v_cvt_f64_f32_e32 v[46:47], v49
	v_fmac_f64_e32 v[60:61], v[10:11], v[4:5]
	v_fmac_f64_e32 v[26:27], v[46:47], v[4:5]
	v_cvt_f64_f32_e32 v[4:5], v42
	v_fma_f64 v[52:53], -v[50:51], v[6:7], v[58:59]
	v_fma_f64 v[48:49], -v[46:47], v[6:7], v[60:61]
	v_fmac_f64_e32 v[26:27], v[10:11], v[6:7]
	v_cvt_f64_f32_e32 v[6:7], v43
	v_fmac_f64_e32 v[56:57], v[4:5], v[0:1]
	v_fma_f64 v[72:73], -v[6:7], v[2:3], v[56:57]
	v_fmac_f64_e32 v[32:33], v[6:7], v[0:1]
	v_cvt_f64_f32_e32 v[6:7], v45
	v_fmac_f64_e32 v[32:33], v[4:5], v[2:3]
	v_cvt_f64_f32_e32 v[4:5], v44
	v_fmac_f64_e32 v[30:31], v[6:7], v[0:1]
	v_fmac_f64_e32 v[52:53], v[4:5], v[0:1]
	;; [unrolled: 1-line block ×3, first 2 shown]
	v_cvt_f64_f32_e32 v[4:5], v12
	v_cvt_f64_f32_e32 v[12:13], v13
	v_fmac_f64_e32 v[38:39], v[4:5], v[0:1]
	v_fma_f64 v[10:11], -v[6:7], v[2:3], v[52:53]
	v_fma_f64 v[6:7], -v[12:13], v[2:3], v[38:39]
	v_fmac_f64_e32 v[28:29], v[12:13], v[0:1]
	v_cvt_f64_f32_e32 v[12:13], v14
	v_cvt_f64_f32_e32 v[14:15], v15
	v_fmac_f64_e32 v[48:49], v[12:13], v[0:1]
	v_fmac_f64_e32 v[26:27], v[14:15], v[0:1]
	global_load_dword v0, v[8:9], off offset:256
	v_fmac_f64_e32 v[28:29], v[4:5], v[2:3]
	v_fma_f64 v[4:5], -v[14:15], v[2:3], v[48:49]
	v_fmac_f64_e32 v[26:27], v[12:13], v[2:3]
	v_add_co_u32_e32 v12, vcc, s5, v36
	v_addc_co_u32_e32 v13, vcc, 0, v37, vcc
	s_waitcnt vmcnt(0)
	v_subrev_u32_e32 v0, s20, v0
	v_lshlrev_b32_e32 v14, 2, v0
	v_ashrrev_i32_e32 v15, 31, v14
	v_lshlrev_b64 v[14:15], 4, v[14:15]
	v_add_co_u32_e32 v14, vcc, s4, v14
	v_addc_co_u32_e32 v15, vcc, v41, v15, vcc
	global_load_dwordx4 v[42:45], v[12:13], off
	global_load_dwordx4 v[0:3], v[12:13], off offset:48
	global_load_dwordx4 v[46:49], v[12:13], off offset:32
	;; [unrolled: 1-line block ×6, first 2 shown]
	global_load_dwordx4 v[68:71], v[14:15], off
	s_waitcnt vmcnt(7)
	v_cvt_f64_f32_e32 v[38:39], v42
	v_cvt_f64_f32_e32 v[42:43], v43
	s_waitcnt vmcnt(0)
	v_fmac_f64_e32 v[72:73], v[38:39], v[68:69]
	v_fma_f64 v[14:15], -v[42:43], v[70:71], v[72:73]
	v_fmac_f64_e32 v[32:33], v[42:43], v[68:69]
	v_cvt_f64_f32_e32 v[42:43], v45
	v_fmac_f64_e32 v[32:33], v[38:39], v[70:71]
	v_cvt_f64_f32_e32 v[38:39], v44
	v_fmac_f64_e32 v[30:31], v[42:43], v[68:69]
	v_fmac_f64_e32 v[10:11], v[38:39], v[68:69]
	;; [unrolled: 1-line block ×3, first 2 shown]
	v_cvt_f64_f32_e32 v[38:39], v50
	v_fma_f64 v[10:11], -v[42:43], v[70:71], v[10:11]
	v_cvt_f64_f32_e32 v[42:43], v51
	v_fmac_f64_e32 v[6:7], v[38:39], v[68:69]
	v_fma_f64 v[6:7], -v[42:43], v[70:71], v[6:7]
	v_fmac_f64_e32 v[28:29], v[42:43], v[68:69]
	v_cvt_f64_f32_e32 v[42:43], v53
	v_fmac_f64_e32 v[28:29], v[38:39], v[70:71]
	v_cvt_f64_f32_e32 v[38:39], v52
	v_fmac_f64_e32 v[26:27], v[42:43], v[68:69]
	v_fmac_f64_e32 v[4:5], v[38:39], v[68:69]
	v_fmac_f64_e32 v[26:27], v[38:39], v[70:71]
	v_cvt_f64_f32_e32 v[38:39], v46
	v_fma_f64 v[4:5], -v[42:43], v[70:71], v[4:5]
	v_cvt_f64_f32_e32 v[42:43], v47
	v_fmac_f64_e32 v[14:15], v[38:39], v[64:65]
	v_fma_f64 v[14:15], -v[42:43], v[66:67], v[14:15]
	v_fmac_f64_e32 v[32:33], v[42:43], v[64:65]
	v_cvt_f64_f32_e32 v[42:43], v49
	v_fmac_f64_e32 v[32:33], v[38:39], v[66:67]
	v_cvt_f64_f32_e32 v[38:39], v48
	v_fmac_f64_e32 v[30:31], v[42:43], v[64:65]
	v_fmac_f64_e32 v[10:11], v[38:39], v[64:65]
	;; [unrolled: 1-line block ×3, first 2 shown]
	v_cvt_f64_f32_e32 v[38:39], v0
	v_cvt_f64_f32_e32 v[0:1], v1
	v_fmac_f64_e32 v[6:7], v[38:39], v[64:65]
	v_fma_f64 v[50:51], -v[0:1], v[66:67], v[6:7]
	v_fmac_f64_e32 v[28:29], v[0:1], v[64:65]
	v_cvt_f64_f32_e32 v[0:1], v2
	v_cvt_f64_f32_e32 v[2:3], v3
	v_fmac_f64_e32 v[4:5], v[0:1], v[64:65]
	v_fmac_f64_e32 v[26:27], v[2:3], v[64:65]
	v_fma_f64 v[10:11], -v[42:43], v[66:67], v[10:11]
	v_fmac_f64_e32 v[28:29], v[38:39], v[66:67]
	v_fma_f64 v[38:39], -v[2:3], v[66:67], v[4:5]
	v_fmac_f64_e32 v[26:27], v[0:1], v[66:67]
	global_load_dwordx4 v[0:3], v[12:13], off offset:112
	global_load_dwordx4 v[4:7], v[12:13], off offset:96
	;; [unrolled: 1-line block ×4, first 2 shown]
	v_add_co_u32_e32 v68, vcc, s13, v36
	v_addc_co_u32_e32 v69, vcc, 0, v37, vcc
	s_waitcnt vmcnt(0)
	v_cvt_f64_f32_e32 v[12:13], v46
	v_cvt_f64_f32_e32 v[46:47], v47
	v_fmac_f64_e32 v[14:15], v[12:13], v[60:61]
	v_fma_f64 v[14:15], -v[46:47], v[62:63], v[14:15]
	v_fmac_f64_e32 v[32:33], v[46:47], v[60:61]
	v_cvt_f64_f32_e32 v[46:47], v49
	v_fmac_f64_e32 v[32:33], v[12:13], v[62:63]
	v_cvt_f64_f32_e32 v[12:13], v48
	v_fmac_f64_e32 v[30:31], v[46:47], v[60:61]
	v_fmac_f64_e32 v[10:11], v[12:13], v[60:61]
	;; [unrolled: 1-line block ×3, first 2 shown]
	v_cvt_f64_f32_e32 v[12:13], v42
	v_cvt_f64_f32_e32 v[42:43], v43
	v_fmac_f64_e32 v[50:51], v[12:13], v[60:61]
	v_fma_f64 v[10:11], -v[46:47], v[62:63], v[10:11]
	v_fma_f64 v[46:47], -v[42:43], v[62:63], v[50:51]
	v_fmac_f64_e32 v[28:29], v[42:43], v[60:61]
	v_cvt_f64_f32_e32 v[42:43], v45
	v_fmac_f64_e32 v[28:29], v[12:13], v[62:63]
	v_cvt_f64_f32_e32 v[12:13], v44
	v_fmac_f64_e32 v[26:27], v[42:43], v[60:61]
	v_fmac_f64_e32 v[38:39], v[12:13], v[60:61]
	;; [unrolled: 1-line block ×3, first 2 shown]
	v_cvt_f64_f32_e32 v[12:13], v4
	v_cvt_f64_f32_e32 v[4:5], v5
	v_fmac_f64_e32 v[14:15], v[12:13], v[56:57]
	v_fma_f64 v[14:15], -v[4:5], v[58:59], v[14:15]
	v_fmac_f64_e32 v[32:33], v[4:5], v[56:57]
	v_cvt_f64_f32_e32 v[4:5], v6
	v_cvt_f64_f32_e32 v[6:7], v7
	v_fmac_f64_e32 v[30:31], v[6:7], v[56:57]
	v_fmac_f64_e32 v[10:11], v[4:5], v[56:57]
	;; [unrolled: 1-line block ×3, first 2 shown]
	v_cvt_f64_f32_e32 v[4:5], v0
	v_cvt_f64_f32_e32 v[0:1], v1
	v_fmac_f64_e32 v[46:47], v[4:5], v[56:57]
	v_fma_f64 v[66:67], -v[0:1], v[58:59], v[46:47]
	v_fmac_f64_e32 v[28:29], v[0:1], v[56:57]
	v_cvt_f64_f32_e32 v[0:1], v2
	v_cvt_f64_f32_e32 v[2:3], v3
	v_fma_f64 v[38:39], -v[42:43], v[62:63], v[38:39]
	v_fmac_f64_e32 v[26:27], v[2:3], v[56:57]
	v_fmac_f64_e32 v[38:39], v[0:1], v[56:57]
	;; [unrolled: 1-line block ×3, first 2 shown]
	global_load_dword v0, v[8:9], off offset:512
	v_fmac_f64_e32 v[32:33], v[12:13], v[58:59]
	v_fma_f64 v[64:65], -v[6:7], v[58:59], v[10:11]
	v_fmac_f64_e32 v[28:29], v[4:5], v[58:59]
	v_fma_f64 v[38:39], -v[2:3], v[58:59], v[38:39]
	s_waitcnt vmcnt(0)
	v_subrev_u32_e32 v0, s20, v0
	v_lshlrev_b32_e32 v46, 2, v0
	v_ashrrev_i32_e32 v47, 31, v46
	v_lshlrev_b64 v[46:47], 4, v[46:47]
	v_add_co_u32_e32 v72, vcc, s4, v46
	v_addc_co_u32_e32 v73, vcc, v41, v47, vcc
	global_load_dwordx4 v[0:3], v[68:69], off
	global_load_dwordx4 v[4:7], v[68:69], off offset:48
	global_load_dwordx4 v[10:13], v[68:69], off offset:32
	;; [unrolled: 1-line block ×6, first 2 shown]
	global_load_dwordx4 v[60:63], v[72:73], off
	s_waitcnt vmcnt(7)
	v_cvt_f64_f32_e32 v[70:71], v0
	v_cvt_f64_f32_e32 v[0:1], v1
	s_waitcnt vmcnt(0)
	v_fmac_f64_e32 v[14:15], v[70:71], v[60:61]
	v_fma_f64 v[14:15], -v[0:1], v[62:63], v[14:15]
	v_fmac_f64_e32 v[32:33], v[0:1], v[60:61]
	v_cvt_f64_f32_e32 v[0:1], v2
	v_cvt_f64_f32_e32 v[2:3], v3
	v_fmac_f64_e32 v[64:65], v[0:1], v[60:61]
	v_fmac_f64_e32 v[30:31], v[2:3], v[60:61]
	v_fma_f64 v[64:65], -v[2:3], v[62:63], v[64:65]
	v_fmac_f64_e32 v[30:31], v[0:1], v[62:63]
	v_cvt_f64_f32_e32 v[0:1], v42
	v_cvt_f64_f32_e32 v[2:3], v43
	v_fmac_f64_e32 v[66:67], v[0:1], v[60:61]
	;; [unrolled: 6-line block ×3, first 2 shown]
	v_fmac_f64_e32 v[26:27], v[2:3], v[60:61]
	v_fmac_f64_e32 v[32:33], v[70:71], v[62:63]
	v_fma_f64 v[38:39], -v[2:3], v[62:63], v[38:39]
	v_fmac_f64_e32 v[26:27], v[0:1], v[62:63]
	v_cvt_f64_f32_e32 v[0:1], v10
	v_cvt_f64_f32_e32 v[2:3], v11
	v_fmac_f64_e32 v[14:15], v[0:1], v[56:57]
	v_fmac_f64_e32 v[32:33], v[2:3], v[56:57]
	v_fma_f64 v[14:15], -v[2:3], v[58:59], v[14:15]
	v_fmac_f64_e32 v[32:33], v[0:1], v[58:59]
	v_cvt_f64_f32_e32 v[0:1], v12
	v_cvt_f64_f32_e32 v[2:3], v13
	;; [unrolled: 6-line block ×4, first 2 shown]
	v_fmac_f64_e32 v[38:39], v[0:1], v[56:57]
	v_fmac_f64_e32 v[26:27], v[2:3], v[56:57]
	v_fma_f64 v[38:39], -v[2:3], v[58:59], v[38:39]
	v_fmac_f64_e32 v[26:27], v[0:1], v[58:59]
	global_load_dwordx4 v[0:3], v[68:69], off offset:112
	global_load_dwordx4 v[4:7], v[68:69], off offset:96
	;; [unrolled: 1-line block ×4, first 2 shown]
	s_waitcnt vmcnt(0)
	v_cvt_f64_f32_e32 v[56:57], v42
	v_cvt_f64_f32_e32 v[42:43], v43
	v_fmac_f64_e32 v[14:15], v[56:57], v[50:51]
	v_fma_f64 v[14:15], -v[42:43], v[52:53], v[14:15]
	v_fmac_f64_e32 v[32:33], v[42:43], v[50:51]
	v_cvt_f64_f32_e32 v[42:43], v44
	v_cvt_f64_f32_e32 v[44:45], v45
	v_fmac_f64_e32 v[30:31], v[44:45], v[50:51]
	v_fmac_f64_e32 v[60:61], v[42:43], v[50:51]
	;; [unrolled: 1-line block ×3, first 2 shown]
	v_cvt_f64_f32_e32 v[42:43], v10
	v_cvt_f64_f32_e32 v[10:11], v11
	v_fmac_f64_e32 v[62:63], v[42:43], v[50:51]
	v_fmac_f64_e32 v[32:33], v[56:57], v[52:53]
	v_fma_f64 v[56:57], -v[44:45], v[52:53], v[60:61]
	v_fma_f64 v[44:45], -v[10:11], v[52:53], v[62:63]
	v_fmac_f64_e32 v[28:29], v[10:11], v[50:51]
	v_cvt_f64_f32_e32 v[10:11], v12
	v_cvt_f64_f32_e32 v[12:13], v13
	v_fmac_f64_e32 v[26:27], v[12:13], v[50:51]
	v_fmac_f64_e32 v[38:39], v[10:11], v[50:51]
	;; [unrolled: 1-line block ×3, first 2 shown]
	v_cvt_f64_f32_e32 v[10:11], v4
	v_cvt_f64_f32_e32 v[4:5], v5
	v_fmac_f64_e32 v[14:15], v[10:11], v[46:47]
	v_fmac_f64_e32 v[28:29], v[42:43], v[52:53]
	v_fma_f64 v[42:43], -v[12:13], v[52:53], v[38:39]
	v_fma_f64 v[38:39], -v[4:5], v[48:49], v[14:15]
	v_fmac_f64_e32 v[32:33], v[4:5], v[46:47]
	v_cvt_f64_f32_e32 v[4:5], v6
	v_cvt_f64_f32_e32 v[6:7], v7
	v_fmac_f64_e32 v[30:31], v[6:7], v[46:47]
	v_fmac_f64_e32 v[56:57], v[4:5], v[46:47]
	;; [unrolled: 1-line block ×3, first 2 shown]
	v_cvt_f64_f32_e32 v[4:5], v0
	v_cvt_f64_f32_e32 v[0:1], v1
	v_fmac_f64_e32 v[44:45], v[4:5], v[46:47]
	v_fma_f64 v[12:13], -v[0:1], v[48:49], v[44:45]
	v_fmac_f64_e32 v[28:29], v[0:1], v[46:47]
	v_cvt_f64_f32_e32 v[0:1], v2
	v_cvt_f64_f32_e32 v[2:3], v3
	v_fmac_f64_e32 v[26:27], v[2:3], v[46:47]
	v_fmac_f64_e32 v[42:43], v[0:1], v[46:47]
	;; [unrolled: 1-line block ×3, first 2 shown]
	global_load_dword v0, v[8:9], off offset:768
	v_add_co_u32_e32 v8, vcc, s14, v36
	v_addc_co_u32_e32 v9, vcc, 0, v37, vcc
	v_fmac_f64_e32 v[32:33], v[10:11], v[48:49]
	v_fma_f64 v[14:15], -v[6:7], v[48:49], v[56:57]
	v_fmac_f64_e32 v[28:29], v[4:5], v[48:49]
	v_fma_f64 v[10:11], -v[2:3], v[48:49], v[42:43]
	global_load_dwordx4 v[42:45], v[8:9], off
	global_load_dwordx4 v[46:49], v[8:9], off offset:48
	global_load_dwordx4 v[50:53], v[8:9], off offset:32
	;; [unrolled: 1-line block ×3, first 2 shown]
	s_waitcnt vmcnt(4)
	v_subrev_u32_e32 v0, s20, v0
	v_lshlrev_b32_e32 v0, 2, v0
	v_ashrrev_i32_e32 v1, 31, v0
	v_lshlrev_b64 v[0:1], 4, v[0:1]
	v_add_co_u32_e32 v70, vcc, s4, v0
	v_addc_co_u32_e32 v71, vcc, v41, v1, vcc
	global_load_dwordx4 v[0:3], v[70:71], off offset:48
	global_load_dwordx4 v[4:7], v[70:71], off offset:32
	;; [unrolled: 1-line block ×3, first 2 shown]
	global_load_dwordx4 v[64:67], v[70:71], off
	s_waitcnt vmcnt(7)
	v_cvt_f64_f32_e32 v[68:69], v42
	v_cvt_f64_f32_e32 v[42:43], v43
	v_add_co_u32_e32 v36, vcc, 0x8000, v36
	v_addc_co_u32_e32 v37, vcc, 0, v37, vcc
	s_waitcnt vmcnt(0)
	v_fmac_f64_e32 v[38:39], v[68:69], v[64:65]
	v_fma_f64 v[38:39], -v[42:43], v[66:67], v[38:39]
	v_fmac_f64_e32 v[32:33], v[42:43], v[64:65]
	v_cvt_f64_f32_e32 v[42:43], v44
	v_cvt_f64_f32_e32 v[44:45], v45
	v_fmac_f64_e32 v[14:15], v[42:43], v[64:65]
	v_fmac_f64_e32 v[30:31], v[44:45], v[64:65]
	v_fma_f64 v[14:15], -v[44:45], v[66:67], v[14:15]
	v_fmac_f64_e32 v[30:31], v[42:43], v[66:67]
	v_cvt_f64_f32_e32 v[42:43], v56
	v_cvt_f64_f32_e32 v[44:45], v57
	v_fmac_f64_e32 v[12:13], v[42:43], v[64:65]
	;; [unrolled: 6-line block ×3, first 2 shown]
	v_fmac_f64_e32 v[26:27], v[44:45], v[64:65]
	v_fmac_f64_e32 v[32:33], v[68:69], v[66:67]
	v_fma_f64 v[10:11], -v[44:45], v[66:67], v[10:11]
	v_fmac_f64_e32 v[26:27], v[42:43], v[66:67]
	v_cvt_f64_f32_e32 v[42:43], v50
	v_cvt_f64_f32_e32 v[44:45], v51
	v_fmac_f64_e32 v[38:39], v[42:43], v[60:61]
	v_fmac_f64_e32 v[32:33], v[44:45], v[60:61]
	v_fma_f64 v[38:39], -v[44:45], v[62:63], v[38:39]
	v_fmac_f64_e32 v[32:33], v[42:43], v[62:63]
	v_cvt_f64_f32_e32 v[42:43], v52
	v_cvt_f64_f32_e32 v[44:45], v53
	;; [unrolled: 6-line block ×4, first 2 shown]
	v_fmac_f64_e32 v[10:11], v[12:13], v[60:61]
	v_fmac_f64_e32 v[26:27], v[42:43], v[60:61]
	v_fma_f64 v[58:59], -v[42:43], v[62:63], v[10:11]
	v_fmac_f64_e32 v[26:27], v[12:13], v[62:63]
	global_load_dwordx4 v[10:13], v[8:9], off offset:112
	global_load_dwordx4 v[42:45], v[8:9], off offset:96
	;; [unrolled: 1-line block ×4, first 2 shown]
	s_waitcnt vmcnt(0)
	v_cvt_f64_f32_e32 v[8:9], v50
	v_cvt_f64_f32_e32 v[50:51], v51
	v_fmac_f64_e32 v[38:39], v[8:9], v[4:5]
	v_fma_f64 v[38:39], -v[50:51], v[6:7], v[38:39]
	v_fmac_f64_e32 v[32:33], v[50:51], v[4:5]
	v_cvt_f64_f32_e32 v[50:51], v53
	v_fmac_f64_e32 v[32:33], v[8:9], v[6:7]
	v_cvt_f64_f32_e32 v[8:9], v52
	v_fmac_f64_e32 v[30:31], v[50:51], v[4:5]
	v_fmac_f64_e32 v[14:15], v[8:9], v[4:5]
	;; [unrolled: 1-line block ×3, first 2 shown]
	v_cvt_f64_f32_e32 v[8:9], v46
	v_cvt_f64_f32_e32 v[46:47], v47
	v_fmac_f64_e32 v[56:57], v[8:9], v[4:5]
	v_fmac_f64_e32 v[28:29], v[46:47], v[4:5]
	v_fma_f64 v[14:15], -v[50:51], v[6:7], v[14:15]
	v_fma_f64 v[50:51], -v[46:47], v[6:7], v[56:57]
	v_fmac_f64_e32 v[28:29], v[8:9], v[6:7]
	v_cvt_f64_f32_e32 v[8:9], v48
	v_cvt_f64_f32_e32 v[46:47], v49
	v_fmac_f64_e32 v[58:59], v[8:9], v[4:5]
	v_fmac_f64_e32 v[26:27], v[46:47], v[4:5]
	v_fma_f64 v[52:53], -v[46:47], v[6:7], v[58:59]
	v_fmac_f64_e32 v[26:27], v[8:9], v[6:7]
	v_cvt_f64_f32_e32 v[4:5], v42
	v_cvt_f64_f32_e32 v[6:7], v43
	v_fmac_f64_e32 v[38:39], v[4:5], v[0:1]
	v_fmac_f64_e32 v[32:33], v[6:7], v[0:1]
	;; [unrolled: 6-line block ×5, first 2 shown]
	v_fma_f64 v[44:45], -v[6:7], v[2:3], v[52:53]
	v_fmac_f64_e32 v[26:27], v[4:5], v[2:3]
	s_andn2_b64 exec, exec, s[10:11]
	s_cbranch_execnz .LBB169_35
; %bb.36:
	s_or_b64 exec, exec, s[10:11]
.LBB169_37:
	s_or_b64 exec, exec, s[8:9]
.LBB169_38:
	s_or_b64 exec, exec, s[2:3]
.LBB169_39:
	v_mov_b32_dpp v12, v30 row_shr:1 row_mask:0xf bank_mask:0xf
	v_mov_b32_dpp v13, v31 row_shr:1 row_mask:0xf bank_mask:0xf
	;; [unrolled: 1-line block ×8, first 2 shown]
	v_add_f64 v[12:13], v[30:31], v[12:13]
	v_mov_b32_dpp v30, v42 row_shr:1 row_mask:0xf bank_mask:0xf
	v_mov_b32_dpp v31, v43 row_shr:1 row_mask:0xf bank_mask:0xf
	;; [unrolled: 1-line block ×8, first 2 shown]
	v_add_f64 v[0:1], v[46:47], v[0:1]
	v_add_f64 v[4:5], v[32:33], v[4:5]
	v_add_f64 v[8:9], v[48:49], v[8:9]
	v_add_f64 v[30:31], v[42:43], v[30:31]
	v_add_f64 v[28:29], v[28:29], v[34:35]
	v_add_f64 v[36:37], v[44:45], v[36:37]
	v_add_f64 v[26:27], v[26:27], v[40:41]
	v_mov_b32_dpp v2, v0 row_shr:2 row_mask:0xf bank_mask:0xf
	v_mov_b32_dpp v3, v1 row_shr:2 row_mask:0xf bank_mask:0xf
	v_mov_b32_dpp v6, v4 row_shr:2 row_mask:0xf bank_mask:0xf
	v_mov_b32_dpp v7, v5 row_shr:2 row_mask:0xf bank_mask:0xf
	v_mov_b32_dpp v10, v8 row_shr:2 row_mask:0xf bank_mask:0xf
	v_mov_b32_dpp v11, v9 row_shr:2 row_mask:0xf bank_mask:0xf
	v_mov_b32_dpp v14, v12 row_shr:2 row_mask:0xf bank_mask:0xf
	v_mov_b32_dpp v15, v13 row_shr:2 row_mask:0xf bank_mask:0xf
	v_mov_b32_dpp v32, v30 row_shr:2 row_mask:0xf bank_mask:0xf
	v_mov_b32_dpp v33, v31 row_shr:2 row_mask:0xf bank_mask:0xf
	v_mov_b32_dpp v34, v28 row_shr:2 row_mask:0xf bank_mask:0xf
	v_mov_b32_dpp v35, v29 row_shr:2 row_mask:0xf bank_mask:0xf
	v_mov_b32_dpp v38, v36 row_shr:2 row_mask:0xf bank_mask:0xf
	v_mov_b32_dpp v39, v37 row_shr:2 row_mask:0xf bank_mask:0xf
	v_mov_b32_dpp v40, v26 row_shr:2 row_mask:0xf bank_mask:0xf
	v_mov_b32_dpp v41, v27 row_shr:2 row_mask:0xf bank_mask:0xf
	v_add_f64 v[0:1], v[0:1], v[2:3]
	v_add_f64 v[4:5], v[4:5], v[6:7]
	v_add_f64 v[8:9], v[8:9], v[10:11]
	v_add_f64 v[12:13], v[12:13], v[14:15]
	v_add_f64 v[30:31], v[30:31], v[32:33]
	v_add_f64 v[28:29], v[28:29], v[34:35]
	v_add_f64 v[36:37], v[36:37], v[38:39]
	v_add_f64 v[26:27], v[26:27], v[40:41]
	v_mov_b32_dpp v2, v0 row_shr:4 row_mask:0xf bank_mask:0xe
	v_mov_b32_dpp v3, v1 row_shr:4 row_mask:0xf bank_mask:0xe
	v_mov_b32_dpp v6, v4 row_shr:4 row_mask:0xf bank_mask:0xe
	v_mov_b32_dpp v7, v5 row_shr:4 row_mask:0xf bank_mask:0xe
	v_mov_b32_dpp v10, v8 row_shr:4 row_mask:0xf bank_mask:0xe
	v_mov_b32_dpp v11, v9 row_shr:4 row_mask:0xf bank_mask:0xe
	v_mov_b32_dpp v14, v12 row_shr:4 row_mask:0xf bank_mask:0xe
	v_mov_b32_dpp v15, v13 row_shr:4 row_mask:0xf bank_mask:0xe
	v_mov_b32_dpp v32, v30 row_shr:4 row_mask:0xf bank_mask:0xe
	v_mov_b32_dpp v33, v31 row_shr:4 row_mask:0xf bank_mask:0xe
	v_mov_b32_dpp v34, v28 row_shr:4 row_mask:0xf bank_mask:0xe
	v_mov_b32_dpp v35, v29 row_shr:4 row_mask:0xf bank_mask:0xe
	v_mov_b32_dpp v38, v36 row_shr:4 row_mask:0xf bank_mask:0xe
	v_mov_b32_dpp v39, v37 row_shr:4 row_mask:0xf bank_mask:0xe
	v_mov_b32_dpp v40, v26 row_shr:4 row_mask:0xf bank_mask:0xe
	v_mov_b32_dpp v41, v27 row_shr:4 row_mask:0xf bank_mask:0xe
	v_add_f64 v[0:1], v[0:1], v[2:3]
	;; [unrolled: 24-line block ×3, first 2 shown]
	v_add_f64 v[4:5], v[4:5], v[6:7]
	v_add_f64 v[8:9], v[8:9], v[10:11]
	;; [unrolled: 1-line block ×7, first 2 shown]
	v_mov_b32_dpp v2, v0 row_bcast:15 row_mask:0xa bank_mask:0xf
	v_mov_b32_dpp v3, v1 row_bcast:15 row_mask:0xa bank_mask:0xf
	;; [unrolled: 1-line block ×16, first 2 shown]
	v_add_f64 v[0:1], v[0:1], v[2:3]
	v_add_f64 v[4:5], v[4:5], v[6:7]
	;; [unrolled: 1-line block ×8, first 2 shown]
	v_mov_b32_dpp v2, v0 row_bcast:31 row_mask:0xc bank_mask:0xf
	v_mov_b32_dpp v3, v1 row_bcast:31 row_mask:0xc bank_mask:0xf
	;; [unrolled: 1-line block ×16, first 2 shown]
	v_cmp_eq_u32_e32 vcc, 63, v25
	s_and_b64 exec, exec, vcc
	s_cbranch_execz .LBB169_12
; %bb.40:
	s_load_dwordx2 s[2:3], s[6:7], 0x60
	v_add_f64 v[42:43], v[0:1], v[2:3]
	v_add_f64 v[0:1], v[4:5], v[6:7]
	;; [unrolled: 1-line block ×8, first 2 shown]
	v_cmp_eq_f64_e32 vcc, 0, v[16:17]
	v_cmp_eq_f64_e64 s[0:1], 0, v[18:19]
	v_mul_f64 v[12:13], v[0:1], -v[22:23]
	v_mul_f64 v[14:15], v[20:21], v[0:1]
	v_mul_f64 v[8:9], v[2:3], -v[22:23]
	v_mul_f64 v[10:11], v[20:21], v[2:3]
	;; [unrolled: 2-line block ×4, first 2 shown]
	s_and_b64 s[0:1], vcc, s[0:1]
	v_fmac_f64_e32 v[12:13], v[20:21], v[42:43]
	v_fmac_f64_e32 v[14:15], v[22:23], v[42:43]
	v_lshlrev_b32_e32 v24, 2, v24
	v_fmac_f64_e32 v[8:9], v[20:21], v[44:45]
	v_fmac_f64_e32 v[10:11], v[22:23], v[44:45]
	;; [unrolled: 1-line block ×6, first 2 shown]
	s_and_saveexec_b64 s[4:5], s[0:1]
	s_xor_b64 s[0:1], exec, s[4:5]
	s_cbranch_execz .LBB169_42
; %bb.41:
	v_ashrrev_i32_e32 v25, 31, v24
	v_lshlrev_b64 v[16:17], 4, v[24:25]
	s_waitcnt lgkmcnt(0)
	v_mov_b32_e32 v18, s3
	v_add_co_u32_e32 v16, vcc, s2, v16
	v_addc_co_u32_e32 v17, vcc, v18, v17, vcc
	global_store_dwordx4 v[16:17], v[12:15], off
	global_store_dwordx4 v[16:17], v[8:11], off offset:16
	global_store_dwordx4 v[16:17], v[4:7], off offset:32
	;; [unrolled: 1-line block ×3, first 2 shown]
                                        ; implicit-def: $vgpr16_vgpr17
                                        ; implicit-def: $vgpr18_vgpr19
                                        ; implicit-def: $vgpr12_vgpr13
                                        ; implicit-def: $vgpr24
                                        ; implicit-def: $vgpr8_vgpr9
                                        ; implicit-def: $vgpr4_vgpr5
                                        ; implicit-def: $vgpr0_vgpr1
.LBB169_42:
	s_andn2_saveexec_b64 s[0:1], s[0:1]
	s_cbranch_execz .LBB169_12
; %bb.43:
	v_ashrrev_i32_e32 v25, 31, v24
	v_lshlrev_b64 v[20:21], 4, v[24:25]
	s_waitcnt lgkmcnt(0)
	v_mov_b32_e32 v22, s3
	v_add_co_u32_e32 v36, vcc, s2, v20
	v_addc_co_u32_e32 v37, vcc, v22, v21, vcc
	global_load_dwordx4 v[20:23], v[36:37], off
	global_load_dwordx4 v[24:27], v[36:37], off offset:16
	global_load_dwordx4 v[28:31], v[36:37], off offset:32
	;; [unrolled: 1-line block ×3, first 2 shown]
	s_waitcnt vmcnt(3)
	v_fmac_f64_e32 v[12:13], v[16:17], v[20:21]
	v_fmac_f64_e32 v[14:15], v[18:19], v[20:21]
	s_waitcnt vmcnt(2)
	v_fmac_f64_e32 v[8:9], v[16:17], v[24:25]
	v_fmac_f64_e32 v[10:11], v[18:19], v[24:25]
	;; [unrolled: 3-line block ×4, first 2 shown]
	v_fma_f64 v[12:13], -v[18:19], v[22:23], v[12:13]
	v_fmac_f64_e32 v[14:15], v[16:17], v[22:23]
	v_fma_f64 v[8:9], -v[18:19], v[26:27], v[8:9]
	v_fmac_f64_e32 v[10:11], v[16:17], v[26:27]
	;; [unrolled: 2-line block ×4, first 2 shown]
	global_store_dwordx4 v[36:37], v[12:15], off
	global_store_dwordx4 v[36:37], v[8:11], off offset:16
	global_store_dwordx4 v[36:37], v[4:7], off offset:32
	;; [unrolled: 1-line block ×3, first 2 shown]
	s_endpgm
	.section	.rodata,"a",@progbits
	.p2align	6, 0x0
	.amdhsa_kernel _ZN9rocsparseL18bsrxmvn_4x4_kernelILj128ELj64E21rocsparse_complex_numIdEiiS1_IfES2_S2_EEvT3_20rocsparse_direction_NS_24const_host_device_scalarIT1_EES4_PKS4_PKT2_SD_SA_PKT4_PKT5_S8_PT6_21rocsparse_index_base_b
		.amdhsa_group_segment_fixed_size 2048
		.amdhsa_private_segment_fixed_size 0
		.amdhsa_kernarg_size 112
		.amdhsa_user_sgpr_count 8
		.amdhsa_user_sgpr_private_segment_buffer 1
		.amdhsa_user_sgpr_dispatch_ptr 1
		.amdhsa_user_sgpr_queue_ptr 0
		.amdhsa_user_sgpr_kernarg_segment_ptr 1
		.amdhsa_user_sgpr_dispatch_id 0
		.amdhsa_user_sgpr_flat_scratch_init 0
		.amdhsa_user_sgpr_kernarg_preload_length 0
		.amdhsa_user_sgpr_kernarg_preload_offset 0
		.amdhsa_user_sgpr_private_segment_size 0
		.amdhsa_uses_dynamic_stack 0
		.amdhsa_system_sgpr_private_segment_wavefront_offset 0
		.amdhsa_system_sgpr_workgroup_id_x 1
		.amdhsa_system_sgpr_workgroup_id_y 0
		.amdhsa_system_sgpr_workgroup_id_z 0
		.amdhsa_system_sgpr_workgroup_info 0
		.amdhsa_system_vgpr_workitem_id 2
		.amdhsa_next_free_vgpr 120
		.amdhsa_next_free_sgpr 22
		.amdhsa_accum_offset 120
		.amdhsa_reserve_vcc 1
		.amdhsa_reserve_flat_scratch 0
		.amdhsa_float_round_mode_32 0
		.amdhsa_float_round_mode_16_64 0
		.amdhsa_float_denorm_mode_32 3
		.amdhsa_float_denorm_mode_16_64 3
		.amdhsa_dx10_clamp 1
		.amdhsa_ieee_mode 1
		.amdhsa_fp16_overflow 0
		.amdhsa_tg_split 0
		.amdhsa_exception_fp_ieee_invalid_op 0
		.amdhsa_exception_fp_denorm_src 0
		.amdhsa_exception_fp_ieee_div_zero 0
		.amdhsa_exception_fp_ieee_overflow 0
		.amdhsa_exception_fp_ieee_underflow 0
		.amdhsa_exception_fp_ieee_inexact 0
		.amdhsa_exception_int_div_zero 0
	.end_amdhsa_kernel
	.section	.text._ZN9rocsparseL18bsrxmvn_4x4_kernelILj128ELj64E21rocsparse_complex_numIdEiiS1_IfES2_S2_EEvT3_20rocsparse_direction_NS_24const_host_device_scalarIT1_EES4_PKS4_PKT2_SD_SA_PKT4_PKT5_S8_PT6_21rocsparse_index_base_b,"axG",@progbits,_ZN9rocsparseL18bsrxmvn_4x4_kernelILj128ELj64E21rocsparse_complex_numIdEiiS1_IfES2_S2_EEvT3_20rocsparse_direction_NS_24const_host_device_scalarIT1_EES4_PKS4_PKT2_SD_SA_PKT4_PKT5_S8_PT6_21rocsparse_index_base_b,comdat
.Lfunc_end169:
	.size	_ZN9rocsparseL18bsrxmvn_4x4_kernelILj128ELj64E21rocsparse_complex_numIdEiiS1_IfES2_S2_EEvT3_20rocsparse_direction_NS_24const_host_device_scalarIT1_EES4_PKS4_PKT2_SD_SA_PKT4_PKT5_S8_PT6_21rocsparse_index_base_b, .Lfunc_end169-_ZN9rocsparseL18bsrxmvn_4x4_kernelILj128ELj64E21rocsparse_complex_numIdEiiS1_IfES2_S2_EEvT3_20rocsparse_direction_NS_24const_host_device_scalarIT1_EES4_PKS4_PKT2_SD_SA_PKT4_PKT5_S8_PT6_21rocsparse_index_base_b
                                        ; -- End function
	.section	.AMDGPU.csdata,"",@progbits
; Kernel info:
; codeLenInByte = 9204
; NumSgprs: 26
; NumVgprs: 120
; NumAgprs: 0
; TotalNumVgprs: 120
; ScratchSize: 0
; MemoryBound: 0
; FloatMode: 240
; IeeeMode: 1
; LDSByteSize: 2048 bytes/workgroup (compile time only)
; SGPRBlocks: 3
; VGPRBlocks: 14
; NumSGPRsForWavesPerEU: 26
; NumVGPRsForWavesPerEU: 120
; AccumOffset: 120
; Occupancy: 4
; WaveLimiterHint : 1
; COMPUTE_PGM_RSRC2:SCRATCH_EN: 0
; COMPUTE_PGM_RSRC2:USER_SGPR: 8
; COMPUTE_PGM_RSRC2:TRAP_HANDLER: 0
; COMPUTE_PGM_RSRC2:TGID_X_EN: 1
; COMPUTE_PGM_RSRC2:TGID_Y_EN: 0
; COMPUTE_PGM_RSRC2:TGID_Z_EN: 0
; COMPUTE_PGM_RSRC2:TIDIG_COMP_CNT: 2
; COMPUTE_PGM_RSRC3_GFX90A:ACCUM_OFFSET: 29
; COMPUTE_PGM_RSRC3_GFX90A:TG_SPLIT: 0
	.section	.text._ZN9rocsparseL18bsrxmvn_4x4_kernelILj128ELj4E21rocsparse_complex_numIdEliS1_IfES2_S2_EEvT3_20rocsparse_direction_NS_24const_host_device_scalarIT1_EES4_PKS4_PKT2_SD_SA_PKT4_PKT5_S8_PT6_21rocsparse_index_base_b,"axG",@progbits,_ZN9rocsparseL18bsrxmvn_4x4_kernelILj128ELj4E21rocsparse_complex_numIdEliS1_IfES2_S2_EEvT3_20rocsparse_direction_NS_24const_host_device_scalarIT1_EES4_PKS4_PKT2_SD_SA_PKT4_PKT5_S8_PT6_21rocsparse_index_base_b,comdat
	.globl	_ZN9rocsparseL18bsrxmvn_4x4_kernelILj128ELj4E21rocsparse_complex_numIdEliS1_IfES2_S2_EEvT3_20rocsparse_direction_NS_24const_host_device_scalarIT1_EES4_PKS4_PKT2_SD_SA_PKT4_PKT5_S8_PT6_21rocsparse_index_base_b ; -- Begin function _ZN9rocsparseL18bsrxmvn_4x4_kernelILj128ELj4E21rocsparse_complex_numIdEliS1_IfES2_S2_EEvT3_20rocsparse_direction_NS_24const_host_device_scalarIT1_EES4_PKS4_PKT2_SD_SA_PKT4_PKT5_S8_PT6_21rocsparse_index_base_b
	.p2align	8
	.type	_ZN9rocsparseL18bsrxmvn_4x4_kernelILj128ELj4E21rocsparse_complex_numIdEliS1_IfES2_S2_EEvT3_20rocsparse_direction_NS_24const_host_device_scalarIT1_EES4_PKS4_PKT2_SD_SA_PKT4_PKT5_S8_PT6_21rocsparse_index_base_b,@function
_ZN9rocsparseL18bsrxmvn_4x4_kernelILj128ELj4E21rocsparse_complex_numIdEliS1_IfES2_S2_EEvT3_20rocsparse_direction_NS_24const_host_device_scalarIT1_EES4_PKS4_PKT2_SD_SA_PKT4_PKT5_S8_PT6_21rocsparse_index_base_b: ; @_ZN9rocsparseL18bsrxmvn_4x4_kernelILj128ELj4E21rocsparse_complex_numIdEliS1_IfES2_S2_EEvT3_20rocsparse_direction_NS_24const_host_device_scalarIT1_EES4_PKS4_PKT2_SD_SA_PKT4_PKT5_S8_PT6_21rocsparse_index_base_b
; %bb.0:
	s_load_dwordx2 s[20:21], s[6:7], 0x68
	s_load_dwordx4 s[12:15], s[6:7], 0x8
	s_load_dwordx2 s[10:11], s[4:5], 0x4
	s_load_dwordx4 s[16:19], s[6:7], 0x50
	s_mov_b64 s[2:3], src_shared_base
	v_bfe_u32 v2, v0, 10, 10
	s_waitcnt lgkmcnt(0)
	s_bitcmp1_b32 s21, 0
	s_cselect_b64 s[0:1], -1, 0
	s_and_b64 vcc, s[0:1], exec
	s_cselect_b32 s2, s3, s13
	s_lshr_b32 s4, s10, 16
	v_and_b32_e32 v1, 0x3ff, v0
	s_mul_i32 s4, s4, s11
	v_mul_u32_u24_e32 v2, s11, v2
	v_mad_u32_u24 v2, s4, v1, v2
	v_bfe_u32 v0, v0, 20, 10
	v_add_lshl_u32 v0, v2, v0, 3
	v_mov_b32_e32 v6, s12
	v_add_u32_e32 v7, 0x400, v0
	v_pk_mov_b32 v[2:3], s[12:13], s[12:13] op_sel:[0,1]
	v_pk_mov_b32 v[4:5], s[16:17], s[16:17] op_sel:[0,1]
	ds_write2st64_b64 v0, v[4:5], v[2:3] offset1:2
	v_cndmask_b32_e64 v2, v6, v7, s[0:1]
	v_mov_b32_e32 v3, s2
	flat_load_dwordx2 v[32:33], v[2:3]
	s_xor_b64 s[4:5], s[0:1], -1
	v_pk_mov_b32 v[34:35], s[14:15], s[14:15] op_sel:[0,1]
	s_cbranch_vccnz .LBB170_2
; %bb.1:
	v_pk_mov_b32 v[2:3], s[12:13], s[12:13] op_sel:[0,1]
	flat_load_dwordx2 v[34:35], v[2:3] offset:8
.LBB170_2:
	s_and_b64 s[10:11], s[0:1], exec
	s_cselect_b32 s2, s3, s17
	v_mov_b32_e32 v2, s16
	v_cndmask_b32_e64 v2, v2, v0, s[0:1]
	v_mov_b32_e32 v3, s2
	flat_load_dwordx2 v[28:29], v[2:3]
	s_andn2_b64 vcc, exec, s[4:5]
	v_pk_mov_b32 v[30:31], s[18:19], s[18:19] op_sel:[0,1]
	s_cbranch_vccnz .LBB170_4
; %bb.3:
	v_pk_mov_b32 v[2:3], s[16:17], s[16:17] op_sel:[0,1]
	flat_load_dwordx2 v[30:31], v[2:3] offset:8
.LBB170_4:
	s_waitcnt vmcnt(0) lgkmcnt(0)
	v_cmp_eq_f64_e32 vcc, 0, v[32:33]
	v_cmp_eq_f64_e64 s[0:1], 0, v[34:35]
	s_and_b64 s[4:5], vcc, s[0:1]
	s_mov_b64 s[0:1], -1
	s_and_saveexec_b64 s[2:3], s[4:5]
; %bb.5:
	v_cmp_neq_f64_e32 vcc, 1.0, v[28:29]
	v_cmp_neq_f64_e64 s[0:1], 0, v[30:31]
	s_or_b64 s[0:1], vcc, s[0:1]
	s_orn2_b64 s[0:1], s[0:1], exec
; %bb.6:
	s_or_b64 exec, exec, s[2:3]
	s_and_saveexec_b64 s[2:3], s[0:1]
	s_cbranch_execz .LBB170_12
; %bb.7:
	s_load_dwordx2 s[4:5], s[6:7], 0x20
	s_load_dwordx2 s[0:1], s[6:7], 0x0
	v_lshrrev_b32_e32 v0, 2, v1
	v_lshl_or_b32 v36, s8, 5, v0
	s_mov_b64 s[2:3], 0
	s_waitcnt lgkmcnt(0)
	s_cmp_lg_u64 s[4:5], 0
	s_cbranch_scc0 .LBB170_13
; %bb.8:
	s_load_dword s8, s[6:7], 0x18
                                        ; implicit-def: $vgpr0
	s_waitcnt lgkmcnt(0)
	v_cmp_gt_i32_e32 vcc, s8, v36
	s_and_saveexec_b64 s[8:9], vcc
	s_xor_b64 s[8:9], exec, s[8:9]
	s_cbranch_execz .LBB170_10
; %bb.9:
	v_ashrrev_i32_e32 v37, 31, v36
	v_lshlrev_b64 v[2:3], 2, v[36:37]
	v_mov_b32_e32 v0, s5
	v_add_co_u32_e32 v2, vcc, s4, v2
	v_addc_co_u32_e32 v3, vcc, v0, v3, vcc
	global_load_dword v0, v[2:3], off
	s_mov_b64 s[2:3], exec
	s_waitcnt vmcnt(0)
	v_subrev_u32_e32 v0, s20, v0
.LBB170_10:
	s_or_b64 exec, exec, s[8:9]
	s_branch .LBB170_14
.LBB170_11:
	v_cmp_gt_i32_e32 vcc, s0, v36
	s_andn2_b64 s[2:3], s[2:3], exec
	s_and_b64 s[4:5], vcc, exec
	s_or_b64 s[2:3], s[2:3], s[4:5]
	s_and_b64 exec, exec, s[2:3]
	s_cbranch_execnz .LBB170_15
.LBB170_12:
	s_endpgm
.LBB170_13:
                                        ; implicit-def: $vgpr0
	s_cbranch_execnz .LBB170_11
.LBB170_14:
	v_mov_b32_e32 v36, v0
	s_and_b64 exec, exec, s[2:3]
	s_cbranch_execz .LBB170_12
.LBB170_15:
	s_load_dwordx8 s[8:15], s[6:7], 0x28
	v_ashrrev_i32_e32 v37, 31, v36
	v_lshlrev_b64 v[2:3], 3, v[36:37]
	v_and_b32_e32 v38, 3, v1
	s_load_dwordx2 s[4:5], s[6:7], 0x48
	s_waitcnt lgkmcnt(0)
	v_mov_b32_e32 v0, s9
	v_add_co_u32_e32 v4, vcc, s8, v2
	v_addc_co_u32_e32 v5, vcc, v0, v3, vcc
	v_add_co_u32_e32 v0, vcc, 8, v4
	global_load_dwordx2 v[54:55], v[4:5], off
	v_addc_co_u32_e32 v4, vcc, 0, v5, vcc
	v_mov_b32_e32 v5, s11
	v_add_co_u32_e32 v2, vcc, s10, v2
	s_cmp_eq_u64 s[10:11], 0
	v_addc_co_u32_e32 v3, vcc, v5, v3, vcc
	s_cselect_b64 vcc, -1, 0
	v_cndmask_b32_e32 v3, v3, v4, vcc
	v_cndmask_b32_e32 v2, v2, v0, vcc
	global_load_dwordx2 v[2:3], v[2:3], off
	v_mov_b32_e32 v4, s15
	s_mov_b32 s18, 0
	s_cmp_eq_u32 s1, 1
	s_waitcnt vmcnt(1)
	v_subrev_co_u32_e32 v0, vcc, s20, v54
	v_subbrev_co_u32_e32 v1, vcc, 0, v55, vcc
	v_add_co_u32_e32 v40, vcc, v0, v38
	v_addc_co_u32_e32 v41, vcc, 0, v1, vcc
	v_lshlrev_b64 v[0:1], 7, v[40:41]
	s_waitcnt vmcnt(0)
	v_subrev_co_u32_e32 v42, vcc, s20, v2
	v_subbrev_co_u32_e32 v43, vcc, 0, v3, vcc
	v_add_co_u32_e32 v44, vcc, s14, v0
	v_addc_co_u32_e32 v45, vcc, v4, v1, vcc
	v_cmp_lt_i64_e64 s[0:1], v[40:41], v[42:43]
	s_cbranch_scc1 .LBB170_27
; %bb.16:
	v_pk_mov_b32 v[48:49], 0, 0
	s_mov_b64 s[8:9], 0
	v_pk_mov_b32 v[62:63], v[48:49], v[48:49] op_sel:[0,1]
	v_pk_mov_b32 v[52:53], v[48:49], v[48:49] op_sel:[0,1]
	v_pk_mov_b32 v[66:67], v[48:49], v[48:49] op_sel:[0,1]
	v_pk_mov_b32 v[50:51], v[48:49], v[48:49] op_sel:[0,1]
	v_pk_mov_b32 v[64:65], v[48:49], v[48:49] op_sel:[0,1]
	v_pk_mov_b32 v[46:47], v[48:49], v[48:49] op_sel:[0,1]
	v_pk_mov_b32 v[16:17], v[48:49], v[48:49] op_sel:[0,1]
	s_and_saveexec_b64 s[10:11], s[0:1]
	s_cbranch_execz .LBB170_26
; %bb.17:
	v_or_b32_e32 v0, 4, v38
	v_mov_b32_e32 v1, s18
	v_subrev_co_u32_e32 v0, vcc, s20, v0
	v_subb_co_u32_e32 v1, vcc, 0, v1, vcc
	v_add_co_u32_e32 v0, vcc, v0, v54
	v_addc_co_u32_e32 v1, vcc, v1, v55, vcc
	v_cmp_gt_i64_e32 vcc, v[0:1], v[42:43]
	v_cndmask_b32_e32 v1, v43, v1, vcc
	v_cndmask_b32_e32 v0, v42, v0, vcc
	v_mov_b32_e32 v4, s18
	v_sub_co_u32_e32 v5, vcc, s20, v38
	v_not_b32_e32 v3, v54
	v_subbrev_co_u32_e32 v4, vcc, 0, v4, vcc
	v_not_b32_e32 v2, v55
	v_add_co_u32_e32 v3, vcc, v5, v3
	v_addc_co_u32_e32 v2, vcc, v4, v2, vcc
	v_add_co_u32_e32 v8, vcc, v3, v0
	v_lshrrev_b32_e32 v0, 2, v8
	v_add_u32_e32 v0, 1, v0
	v_addc_co_u32_e32 v9, vcc, v2, v1, vcc
	v_and_b32_e32 v0, 3, v0
	v_pk_mov_b32 v[16:17], 0, 0
	v_cmp_ne_u32_e32 vcc, 0, v0
	s_mov_b64 s[16:17], 0
	v_pk_mov_b32 v[46:47], v[16:17], v[16:17] op_sel:[0,1]
	v_pk_mov_b32 v[64:65], v[16:17], v[16:17] op_sel:[0,1]
	v_pk_mov_b32 v[50:51], v[16:17], v[16:17] op_sel:[0,1]
	v_pk_mov_b32 v[66:67], v[16:17], v[16:17] op_sel:[0,1]
	v_pk_mov_b32 v[52:53], v[16:17], v[16:17] op_sel:[0,1]
	v_pk_mov_b32 v[62:63], v[16:17], v[16:17] op_sel:[0,1]
	v_pk_mov_b32 v[48:49], v[16:17], v[16:17] op_sel:[0,1]
	v_pk_mov_b32 v[56:57], v[44:45], v[44:45] op_sel:[0,1]
	v_pk_mov_b32 v[58:59], v[40:41], v[40:41] op_sel:[0,1]
	s_and_saveexec_b64 s[14:15], vcc
	s_cbranch_execz .LBB170_21
; %bb.18:
	v_lshlrev_b64 v[2:3], 2, v[40:41]
	v_mov_b32_e32 v1, s13
	v_add_co_u32_e32 v12, vcc, s12, v2
	v_pk_mov_b32 v[48:49], 0, 0
	v_mov_b32_e32 v11, 0
	v_addc_co_u32_e32 v13, vcc, v1, v3, vcc
	v_lshlrev_b32_e32 v10, 2, v0
	s_movk_i32 s19, 0x200
	v_mov_b32_e32 v14, s5
	v_pk_mov_b32 v[58:59], v[40:41], v[40:41] op_sel:[0,1]
	v_pk_mov_b32 v[56:57], v[44:45], v[44:45] op_sel:[0,1]
	;; [unrolled: 1-line block ×9, first 2 shown]
.LBB170_19:                             ; =>This Inner Loop Header: Depth=1
	global_load_dword v15, v[12:13], off
	global_load_dwordx4 v[4:7], v[56:57], off
	global_load_dwordx4 v[0:3], v[56:57], off offset:32
	global_load_dwordx4 v[18:21], v[56:57], off offset:64
	;; [unrolled: 1-line block ×7, first 2 shown]
	v_add_co_u32_e64 v58, s[2:3], 4, v58
	v_addc_co_u32_e64 v59, s[2:3], 0, v59, s[2:3]
	v_add_co_u32_e64 v12, s[2:3], 16, v12
	v_addc_co_u32_e64 v13, s[2:3], 0, v13, s[2:3]
	v_add_co_u32_e32 v56, vcc, s19, v56
	v_add_co_u32_e64 v10, s[2:3], -4, v10
	v_addc_co_u32_e64 v11, s[2:3], -1, v11, s[2:3]
	v_addc_co_u32_e32 v57, vcc, 0, v57, vcc
	v_cmp_eq_u64_e32 vcc, 0, v[10:11]
	s_or_b64 s[16:17], vcc, s[16:17]
	s_waitcnt vmcnt(8)
	v_subrev_u32_e32 v15, s20, v15
	s_waitcnt vmcnt(7)
	v_cvt_f64_f32_e32 v[26:27], v4
	v_lshlrev_b32_e32 v4, 2, v15
	v_cvt_f64_f32_e32 v[60:61], v5
	v_ashrrev_i32_e32 v5, 31, v4
	v_lshlrev_b64 v[4:5], 4, v[4:5]
	v_add_co_u32_e32 v112, vcc, s4, v4
	v_addc_co_u32_e32 v113, vcc, v14, v5, vcc
	v_cvt_f64_f32_e32 v[92:93], v6
	v_cvt_f64_f32_e32 v[94:95], v7
	s_waitcnt vmcnt(3)
	v_cvt_f64_f32_e32 v[102:103], v68
	v_cvt_f64_f32_e32 v[104:105], v69
	;; [unrolled: 1-line block ×4, first 2 shown]
	global_load_dwordx4 v[4:7], v[112:113], off
	global_load_dwordx4 v[68:71], v[112:113], off offset:16
	global_load_dwordx4 v[84:87], v[112:113], off offset:32
	;; [unrolled: 1-line block ×3, first 2 shown]
	v_cvt_f64_f32_e32 v[96:97], v0
	v_cvt_f64_f32_e32 v[0:1], v1
	;; [unrolled: 1-line block ×12, first 2 shown]
	s_waitcnt vmcnt(6)
	v_cvt_f64_f32_e32 v[112:113], v72
	v_cvt_f64_f32_e32 v[72:73], v73
	s_waitcnt vmcnt(5)
	v_cvt_f64_f32_e32 v[120:121], v76
	v_cvt_f64_f32_e32 v[76:77], v77
	;; [unrolled: 3-line block ×3, first 2 shown]
	v_cvt_f64_f32_e32 v[114:115], v74
	v_cvt_f64_f32_e32 v[74:75], v75
	;; [unrolled: 1-line block ×6, first 2 shown]
	s_waitcnt vmcnt(3)
	v_fmac_f64_e32 v[62:63], v[26:27], v[4:5]
	v_fmac_f64_e32 v[48:49], v[60:61], v[4:5]
	v_fmac_f64_e32 v[66:67], v[96:97], v[4:5]
	v_fmac_f64_e32 v[52:53], v[0:1], v[4:5]
	v_fmac_f64_e32 v[64:65], v[98:99], v[4:5]
	v_fmac_f64_e32 v[50:51], v[18:19], v[4:5]
	v_fmac_f64_e32 v[16:17], v[100:101], v[4:5]
	v_fmac_f64_e32 v[46:47], v[22:23], v[4:5]
	v_fma_f64 v[4:5], -v[60:61], v[6:7], v[62:63]
	v_fmac_f64_e32 v[48:49], v[26:27], v[6:7]
	v_fma_f64 v[0:1], -v[0:1], v[6:7], v[66:67]
	v_fmac_f64_e32 v[52:53], v[96:97], v[6:7]
	v_fma_f64 v[18:19], -v[18:19], v[6:7], v[64:65]
	v_fmac_f64_e32 v[50:51], v[98:99], v[6:7]
	v_fma_f64 v[16:17], -v[22:23], v[6:7], v[16:17]
	v_fmac_f64_e32 v[46:47], v[100:101], v[6:7]
	s_waitcnt vmcnt(2)
	v_fmac_f64_e32 v[4:5], v[92:93], v[68:69]
	v_fmac_f64_e32 v[48:49], v[94:95], v[68:69]
	v_fmac_f64_e32 v[0:1], v[110:111], v[68:69]
	v_fmac_f64_e32 v[52:53], v[2:3], v[68:69]
	v_fmac_f64_e32 v[18:19], v[116:117], v[68:69]
	v_fmac_f64_e32 v[50:51], v[20:21], v[68:69]
	v_fmac_f64_e32 v[16:17], v[118:119], v[68:69]
	v_fmac_f64_e32 v[46:47], v[24:25], v[68:69]
	v_fma_f64 v[4:5], -v[94:95], v[70:71], v[4:5]
	v_fmac_f64_e32 v[48:49], v[92:93], v[70:71]
	v_fma_f64 v[0:1], -v[2:3], v[70:71], v[0:1]
	v_fmac_f64_e32 v[52:53], v[110:111], v[70:71]
	v_fma_f64 v[2:3], -v[20:21], v[70:71], v[18:19]
	v_fmac_f64_e32 v[50:51], v[116:117], v[70:71]
	v_fma_f64 v[6:7], -v[24:25], v[70:71], v[16:17]
	v_fmac_f64_e32 v[46:47], v[118:119], v[70:71]
	;; [unrolled: 17-line block ×4, first 2 shown]
	s_andn2_b64 exec, exec, s[16:17]
	s_cbranch_execnz .LBB170_19
; %bb.20:
	s_or_b64 exec, exec, s[16:17]
.LBB170_21:
	s_or_b64 exec, exec, s[14:15]
	v_cmp_lt_u64_e32 vcc, 11, v[8:9]
	s_and_saveexec_b64 s[2:3], vcc
	s_cbranch_execz .LBB170_25
; %bb.22:
	v_lshlrev_b64 v[0:1], 2, v[58:59]
	v_mov_b32_e32 v2, s13
	v_add_co_u32_e32 v0, vcc, s12, v0
	v_addc_co_u32_e32 v1, vcc, v1, v2, vcc
	v_add_co_u32_e32 v60, vcc, 32, v0
	v_addc_co_u32_e32 v61, vcc, 0, v1, vcc
	s_mov_b64 s[14:15], 0
	v_mov_b32_e32 v37, s5
	s_movk_i32 s16, 0x800
.LBB170_23:                             ; =>This Inner Loop Header: Depth=1
	global_load_dword v0, v[60:61], off offset:-32
	global_load_dwordx4 v[22:25], v[56:57], off offset:48
	global_load_dwordx4 v[68:71], v[56:57], off offset:32
	;; [unrolled: 1-line block ×3, first 2 shown]
	global_load_dwordx4 v[72:75], v[56:57], off
	s_waitcnt vmcnt(4)
	v_subrev_u32_e32 v0, s20, v0
	v_lshlrev_b32_e32 v0, 2, v0
	v_ashrrev_i32_e32 v1, 31, v0
	v_lshlrev_b64 v[0:1], 4, v[0:1]
	v_add_co_u32_e32 v76, vcc, s4, v0
	v_addc_co_u32_e32 v77, vcc, v37, v1, vcc
	global_load_dwordx4 v[0:3], v[76:77], off offset:48
	global_load_dwordx4 v[4:7], v[76:77], off offset:32
	;; [unrolled: 1-line block ×3, first 2 shown]
	global_load_dwordx4 v[12:15], v[76:77], off
	s_waitcnt vmcnt(4)
	v_cvt_f64_f32_e32 v[26:27], v72
	v_cvt_f64_f32_e32 v[72:73], v73
	s_waitcnt vmcnt(0)
	v_fmac_f64_e32 v[62:63], v[26:27], v[12:13]
	v_fmac_f64_e32 v[48:49], v[72:73], v[12:13]
	v_fma_f64 v[62:63], -v[72:73], v[14:15], v[62:63]
	v_fmac_f64_e32 v[48:49], v[26:27], v[14:15]
	v_cvt_f64_f32_e32 v[26:27], v74
	v_cvt_f64_f32_e32 v[72:73], v75
	v_fmac_f64_e32 v[62:63], v[26:27], v[8:9]
	v_fmac_f64_e32 v[48:49], v[72:73], v[8:9]
	v_fma_f64 v[62:63], -v[72:73], v[10:11], v[62:63]
	v_fmac_f64_e32 v[48:49], v[26:27], v[10:11]
	v_cvt_f64_f32_e32 v[26:27], v18
	v_cvt_f64_f32_e32 v[18:19], v19
	v_fmac_f64_e32 v[62:63], v[26:27], v[4:5]
	v_fmac_f64_e32 v[48:49], v[18:19], v[4:5]
	v_fma_f64 v[62:63], -v[18:19], v[6:7], v[62:63]
	v_fmac_f64_e32 v[48:49], v[26:27], v[6:7]
	v_cvt_f64_f32_e32 v[18:19], v20
	v_cvt_f64_f32_e32 v[26:27], v21
	v_fmac_f64_e32 v[62:63], v[18:19], v[0:1]
	v_fmac_f64_e32 v[48:49], v[26:27], v[0:1]
	v_fma_f64 v[20:21], -v[26:27], v[2:3], v[62:63]
	v_fmac_f64_e32 v[48:49], v[18:19], v[2:3]
	v_cvt_f64_f32_e32 v[18:19], v68
	v_cvt_f64_f32_e32 v[26:27], v69
	v_fmac_f64_e32 v[66:67], v[18:19], v[12:13]
	v_fmac_f64_e32 v[52:53], v[26:27], v[12:13]
	v_fma_f64 v[62:63], -v[26:27], v[14:15], v[66:67]
	v_fmac_f64_e32 v[52:53], v[18:19], v[14:15]
	v_cvt_f64_f32_e32 v[18:19], v70
	v_cvt_f64_f32_e32 v[26:27], v71
	v_fmac_f64_e32 v[62:63], v[18:19], v[8:9]
	v_fmac_f64_e32 v[52:53], v[26:27], v[8:9]
	v_fma_f64 v[62:63], -v[26:27], v[10:11], v[62:63]
	v_fmac_f64_e32 v[52:53], v[18:19], v[10:11]
	v_cvt_f64_f32_e32 v[18:19], v22
	v_cvt_f64_f32_e32 v[22:23], v23
	v_fmac_f64_e32 v[62:63], v[18:19], v[4:5]
	v_fma_f64 v[26:27], -v[22:23], v[6:7], v[62:63]
	v_fmac_f64_e32 v[52:53], v[22:23], v[4:5]
	v_cvt_f64_f32_e32 v[22:23], v24
	v_fmac_f64_e32 v[52:53], v[18:19], v[6:7]
	v_cvt_f64_f32_e32 v[24:25], v25
	v_fmac_f64_e32 v[26:27], v[22:23], v[0:1]
	v_fma_f64 v[18:19], -v[24:25], v[2:3], v[26:27]
	v_fmac_f64_e32 v[52:53], v[24:25], v[0:1]
	global_load_dwordx4 v[24:27], v[56:57], off offset:112
	global_load_dwordx4 v[66:69], v[56:57], off offset:96
	;; [unrolled: 1-line block ×4, first 2 shown]
	v_fmac_f64_e32 v[52:53], v[22:23], v[2:3]
	s_waitcnt vmcnt(0)
	v_cvt_f64_f32_e32 v[22:23], v74
	v_cvt_f64_f32_e32 v[62:63], v75
	v_fmac_f64_e32 v[64:65], v[22:23], v[12:13]
	v_fmac_f64_e32 v[50:51], v[62:63], v[12:13]
	v_fma_f64 v[64:65], -v[62:63], v[14:15], v[64:65]
	v_fmac_f64_e32 v[50:51], v[22:23], v[14:15]
	v_cvt_f64_f32_e32 v[22:23], v76
	v_cvt_f64_f32_e32 v[62:63], v77
	v_fmac_f64_e32 v[64:65], v[22:23], v[8:9]
	v_fmac_f64_e32 v[50:51], v[62:63], v[8:9]
	v_fma_f64 v[64:65], -v[62:63], v[10:11], v[64:65]
	v_fmac_f64_e32 v[50:51], v[22:23], v[10:11]
	;; [unrolled: 6-line block ×7, first 2 shown]
	v_cvt_f64_f32_e32 v[4:5], v26
	v_cvt_f64_f32_e32 v[6:7], v27
	v_fmac_f64_e32 v[12:13], v[4:5], v[0:1]
	v_fmac_f64_e32 v[46:47], v[6:7], v[0:1]
	global_load_dword v0, v[60:61], off offset:-16
	v_fma_f64 v[12:13], -v[6:7], v[2:3], v[12:13]
	v_fmac_f64_e32 v[46:47], v[4:5], v[2:3]
	s_waitcnt vmcnt(0)
	v_subrev_u32_e32 v0, s20, v0
	v_lshlrev_b32_e32 v24, 2, v0
	v_ashrrev_i32_e32 v25, 31, v24
	v_lshlrev_b64 v[24:25], 4, v[24:25]
	v_add_co_u32_e32 v76, vcc, s4, v24
	global_load_dwordx4 v[0:3], v[56:57], off offset:560
	global_load_dwordx4 v[4:7], v[56:57], off offset:544
	global_load_dwordx4 v[8:11], v[56:57], off offset:528
	global_load_dwordx4 v[14:17], v[56:57], off offset:512
	v_addc_co_u32_e32 v77, vcc, v37, v25, vcc
	global_load_dwordx4 v[24:27], v[76:77], off offset:48
	global_load_dwordx4 v[62:65], v[76:77], off offset:32
	;; [unrolled: 1-line block ×3, first 2 shown]
	global_load_dwordx4 v[70:73], v[76:77], off
	s_waitcnt vmcnt(4)
	v_cvt_f64_f32_e32 v[74:75], v14
	v_cvt_f64_f32_e32 v[14:15], v15
	s_waitcnt vmcnt(0)
	v_fmac_f64_e32 v[20:21], v[74:75], v[70:71]
	v_fmac_f64_e32 v[48:49], v[14:15], v[70:71]
	v_fma_f64 v[20:21], -v[14:15], v[72:73], v[20:21]
	v_fmac_f64_e32 v[48:49], v[74:75], v[72:73]
	v_cvt_f64_f32_e32 v[14:15], v16
	v_cvt_f64_f32_e32 v[16:17], v17
	v_fmac_f64_e32 v[20:21], v[14:15], v[66:67]
	v_fmac_f64_e32 v[48:49], v[16:17], v[66:67]
	v_fma_f64 v[20:21], -v[16:17], v[68:69], v[20:21]
	v_fmac_f64_e32 v[48:49], v[14:15], v[68:69]
	v_cvt_f64_f32_e32 v[14:15], v8
	v_cvt_f64_f32_e32 v[8:9], v9
	;; [unrolled: 6-line block ×3, first 2 shown]
	v_fmac_f64_e32 v[16:17], v[14:15], v[24:25]
	v_fma_f64 v[8:9], -v[10:11], v[26:27], v[16:17]
	v_fmac_f64_e32 v[48:49], v[10:11], v[24:25]
	v_cvt_f64_f32_e32 v[10:11], v4
	v_cvt_f64_f32_e32 v[4:5], v5
	v_fmac_f64_e32 v[18:19], v[10:11], v[70:71]
	v_fmac_f64_e32 v[52:53], v[4:5], v[70:71]
	;; [unrolled: 1-line block ×3, first 2 shown]
	v_fma_f64 v[14:15], -v[4:5], v[72:73], v[18:19]
	v_fmac_f64_e32 v[52:53], v[10:11], v[72:73]
	v_cvt_f64_f32_e32 v[4:5], v6
	v_cvt_f64_f32_e32 v[6:7], v7
	v_fmac_f64_e32 v[14:15], v[4:5], v[66:67]
	v_fmac_f64_e32 v[52:53], v[6:7], v[66:67]
	v_fma_f64 v[10:11], -v[6:7], v[68:69], v[14:15]
	v_fmac_f64_e32 v[52:53], v[4:5], v[68:69]
	v_cvt_f64_f32_e32 v[4:5], v0
	v_cvt_f64_f32_e32 v[0:1], v1
	v_fmac_f64_e32 v[10:11], v[4:5], v[62:63]
	v_fmac_f64_e32 v[52:53], v[0:1], v[62:63]
	v_fma_f64 v[6:7], -v[0:1], v[64:65], v[10:11]
	v_fmac_f64_e32 v[52:53], v[4:5], v[64:65]
	v_cvt_f64_f32_e32 v[0:1], v2
	v_cvt_f64_f32_e32 v[2:3], v3
	v_fmac_f64_e32 v[6:7], v[0:1], v[24:25]
	v_fmac_f64_e32 v[52:53], v[2:3], v[24:25]
	v_fma_f64 v[76:77], -v[2:3], v[26:27], v[6:7]
	v_fmac_f64_e32 v[52:53], v[0:1], v[26:27]
	global_load_dwordx4 v[0:3], v[56:57], off offset:624
	global_load_dwordx4 v[4:7], v[56:57], off offset:608
	;; [unrolled: 1-line block ×4, first 2 shown]
	s_waitcnt vmcnt(0)
	v_cvt_f64_f32_e32 v[10:11], v18
	v_cvt_f64_f32_e32 v[18:19], v19
	v_fmac_f64_e32 v[22:23], v[10:11], v[70:71]
	v_fmac_f64_e32 v[50:51], v[18:19], v[70:71]
	v_fma_f64 v[22:23], -v[18:19], v[72:73], v[22:23]
	v_fmac_f64_e32 v[50:51], v[10:11], v[72:73]
	v_cvt_f64_f32_e32 v[10:11], v20
	v_cvt_f64_f32_e32 v[18:19], v21
	v_fmac_f64_e32 v[22:23], v[10:11], v[66:67]
	v_fmac_f64_e32 v[50:51], v[18:19], v[66:67]
	v_fma_f64 v[20:21], -v[18:19], v[68:69], v[22:23]
	v_fmac_f64_e32 v[50:51], v[10:11], v[68:69]
	;; [unrolled: 6-line block ×3, first 2 shown]
	v_cvt_f64_f32_e32 v[14:15], v17
	v_cvt_f64_f32_e32 v[10:11], v16
	v_fmac_f64_e32 v[50:51], v[14:15], v[24:25]
	v_fmac_f64_e32 v[18:19], v[10:11], v[24:25]
	v_fmac_f64_e32 v[50:51], v[10:11], v[26:27]
	v_cvt_f64_f32_e32 v[10:11], v4
	v_cvt_f64_f32_e32 v[4:5], v5
	v_fmac_f64_e32 v[12:13], v[10:11], v[70:71]
	v_fmac_f64_e32 v[46:47], v[4:5], v[70:71]
	v_fma_f64 v[12:13], -v[4:5], v[72:73], v[12:13]
	v_fmac_f64_e32 v[46:47], v[10:11], v[72:73]
	v_cvt_f64_f32_e32 v[4:5], v6
	v_cvt_f64_f32_e32 v[6:7], v7
	v_fmac_f64_e32 v[12:13], v[4:5], v[66:67]
	v_fmac_f64_e32 v[46:47], v[6:7], v[66:67]
	v_fma_f64 v[10:11], -v[6:7], v[68:69], v[12:13]
	v_fmac_f64_e32 v[46:47], v[4:5], v[68:69]
	;; [unrolled: 6-line block ×3, first 2 shown]
	v_cvt_f64_f32_e32 v[0:1], v2
	v_cvt_f64_f32_e32 v[2:3], v3
	v_fmac_f64_e32 v[46:47], v[2:3], v[24:25]
	v_fmac_f64_e32 v[6:7], v[0:1], v[24:25]
	;; [unrolled: 1-line block ×3, first 2 shown]
	global_load_dword v0, v[60:61], off
	v_fma_f64 v[78:79], -v[14:15], v[26:27], v[18:19]
	v_fma_f64 v[80:81], -v[2:3], v[26:27], v[6:7]
	s_waitcnt vmcnt(0)
	v_subrev_u32_e32 v0, s20, v0
	v_lshlrev_b32_e32 v18, 2, v0
	v_ashrrev_i32_e32 v19, 31, v18
	v_lshlrev_b64 v[18:19], 4, v[18:19]
	v_add_co_u32_e32 v62, vcc, s4, v18
	global_load_dwordx4 v[0:3], v[56:57], off offset:1072
	global_load_dwordx4 v[4:7], v[56:57], off offset:1056
	;; [unrolled: 1-line block ×4, first 2 shown]
	v_addc_co_u32_e32 v63, vcc, v37, v19, vcc
	global_load_dwordx4 v[18:21], v[62:63], off offset:48
	global_load_dwordx4 v[22:25], v[62:63], off offset:32
	;; [unrolled: 1-line block ×3, first 2 shown]
	global_load_dwordx4 v[72:75], v[62:63], off
	s_waitcnt vmcnt(4)
	v_cvt_f64_f32_e32 v[26:27], v14
	v_cvt_f64_f32_e32 v[14:15], v15
	s_waitcnt vmcnt(0)
	v_fmac_f64_e32 v[8:9], v[26:27], v[72:73]
	v_fmac_f64_e32 v[48:49], v[14:15], v[72:73]
	v_fma_f64 v[8:9], -v[14:15], v[74:75], v[8:9]
	v_fmac_f64_e32 v[48:49], v[26:27], v[74:75]
	v_cvt_f64_f32_e32 v[14:15], v16
	v_cvt_f64_f32_e32 v[16:17], v17
	v_fmac_f64_e32 v[8:9], v[14:15], v[68:69]
	v_fmac_f64_e32 v[48:49], v[16:17], v[68:69]
	v_fma_f64 v[8:9], -v[16:17], v[70:71], v[8:9]
	v_fmac_f64_e32 v[48:49], v[14:15], v[70:71]
	v_cvt_f64_f32_e32 v[14:15], v10
	v_cvt_f64_f32_e32 v[10:11], v11
	v_fmac_f64_e32 v[8:9], v[14:15], v[22:23]
	v_fma_f64 v[8:9], -v[10:11], v[24:25], v[8:9]
	v_fmac_f64_e32 v[48:49], v[10:11], v[22:23]
	v_cvt_f64_f32_e32 v[10:11], v12
	v_cvt_f64_f32_e32 v[12:13], v13
	v_fmac_f64_e32 v[8:9], v[10:11], v[18:19]
	v_fmac_f64_e32 v[48:49], v[14:15], v[24:25]
	v_fma_f64 v[62:63], -v[12:13], v[20:21], v[8:9]
	v_cvt_f64_f32_e32 v[8:9], v4
	v_cvt_f64_f32_e32 v[4:5], v5
	v_fmac_f64_e32 v[48:49], v[12:13], v[18:19]
	v_fmac_f64_e32 v[76:77], v[8:9], v[72:73]
	;; [unrolled: 1-line block ×4, first 2 shown]
	v_fma_f64 v[10:11], -v[4:5], v[74:75], v[76:77]
	v_fmac_f64_e32 v[52:53], v[8:9], v[74:75]
	v_cvt_f64_f32_e32 v[4:5], v6
	v_cvt_f64_f32_e32 v[6:7], v7
	v_fmac_f64_e32 v[10:11], v[4:5], v[68:69]
	v_fmac_f64_e32 v[52:53], v[6:7], v[68:69]
	v_fma_f64 v[8:9], -v[6:7], v[70:71], v[10:11]
	v_fmac_f64_e32 v[52:53], v[4:5], v[70:71]
	v_cvt_f64_f32_e32 v[4:5], v0
	v_cvt_f64_f32_e32 v[0:1], v1
	v_fmac_f64_e32 v[8:9], v[4:5], v[22:23]
	v_fmac_f64_e32 v[52:53], v[0:1], v[22:23]
	;; [unrolled: 6-line block ×3, first 2 shown]
	v_fma_f64 v[66:67], -v[2:3], v[20:21], v[6:7]
	v_fmac_f64_e32 v[52:53], v[0:1], v[20:21]
	global_load_dwordx4 v[0:3], v[56:57], off offset:1136
	global_load_dwordx4 v[4:7], v[56:57], off offset:1120
	;; [unrolled: 1-line block ×4, first 2 shown]
	s_waitcnt vmcnt(0)
	v_cvt_f64_f32_e32 v[16:17], v12
	v_cvt_f64_f32_e32 v[12:13], v13
	v_fmac_f64_e32 v[78:79], v[16:17], v[72:73]
	v_fmac_f64_e32 v[50:51], v[12:13], v[72:73]
	v_fma_f64 v[26:27], -v[12:13], v[74:75], v[78:79]
	v_fmac_f64_e32 v[50:51], v[16:17], v[74:75]
	v_cvt_f64_f32_e32 v[12:13], v14
	v_cvt_f64_f32_e32 v[14:15], v15
	v_fmac_f64_e32 v[26:27], v[12:13], v[68:69]
	v_fmac_f64_e32 v[50:51], v[14:15], v[68:69]
	v_fma_f64 v[16:17], -v[14:15], v[70:71], v[26:27]
	v_fmac_f64_e32 v[50:51], v[12:13], v[70:71]
	;; [unrolled: 6-line block ×3, first 2 shown]
	v_cvt_f64_f32_e32 v[8:9], v10
	v_cvt_f64_f32_e32 v[10:11], v11
	v_fmac_f64_e32 v[50:51], v[10:11], v[18:19]
	v_fmac_f64_e32 v[14:15], v[8:9], v[18:19]
	;; [unrolled: 1-line block ×3, first 2 shown]
	v_cvt_f64_f32_e32 v[8:9], v4
	v_cvt_f64_f32_e32 v[4:5], v5
	v_fmac_f64_e32 v[80:81], v[8:9], v[72:73]
	v_fmac_f64_e32 v[46:47], v[4:5], v[72:73]
	v_fma_f64 v[64:65], -v[10:11], v[20:21], v[14:15]
	v_fma_f64 v[10:11], -v[4:5], v[74:75], v[80:81]
	v_fmac_f64_e32 v[46:47], v[8:9], v[74:75]
	v_cvt_f64_f32_e32 v[4:5], v6
	v_cvt_f64_f32_e32 v[6:7], v7
	v_fmac_f64_e32 v[10:11], v[4:5], v[68:69]
	v_fmac_f64_e32 v[46:47], v[6:7], v[68:69]
	v_fma_f64 v[8:9], -v[6:7], v[70:71], v[10:11]
	v_fmac_f64_e32 v[46:47], v[4:5], v[70:71]
	v_cvt_f64_f32_e32 v[4:5], v0
	v_cvt_f64_f32_e32 v[0:1], v1
	v_fmac_f64_e32 v[8:9], v[4:5], v[22:23]
	v_fmac_f64_e32 v[46:47], v[0:1], v[22:23]
	;; [unrolled: 6-line block ×3, first 2 shown]
	v_fmac_f64_e32 v[46:47], v[0:1], v[20:21]
	global_load_dword v0, v[60:61], off offset:16
	v_fma_f64 v[68:69], -v[2:3], v[20:21], v[6:7]
	s_waitcnt vmcnt(0)
	v_subrev_u32_e32 v0, s20, v0
	v_lshlrev_b32_e32 v12, 2, v0
	v_ashrrev_i32_e32 v13, 31, v12
	v_lshlrev_b64 v[12:13], 4, v[12:13]
	v_add_co_u32_e32 v76, vcc, s4, v12
	global_load_dwordx4 v[0:3], v[56:57], off offset:1584
	global_load_dwordx4 v[4:7], v[56:57], off offset:1568
	;; [unrolled: 1-line block ×4, first 2 shown]
	v_addc_co_u32_e32 v77, vcc, v37, v13, vcc
	global_load_dwordx4 v[12:15], v[76:77], off offset:48
	global_load_dwordx4 v[16:19], v[76:77], off offset:32
	;; [unrolled: 1-line block ×3, first 2 shown]
	global_load_dwordx4 v[24:27], v[76:77], off
	s_waitcnt vmcnt(4)
	v_cvt_f64_f32_e32 v[74:75], v70
	v_cvt_f64_f32_e32 v[70:71], v71
	s_waitcnt vmcnt(0)
	v_fmac_f64_e32 v[62:63], v[74:75], v[24:25]
	v_fmac_f64_e32 v[48:49], v[70:71], v[24:25]
	v_fma_f64 v[62:63], -v[70:71], v[26:27], v[62:63]
	v_fmac_f64_e32 v[48:49], v[74:75], v[26:27]
	v_cvt_f64_f32_e32 v[70:71], v72
	v_cvt_f64_f32_e32 v[72:73], v73
	v_fmac_f64_e32 v[62:63], v[70:71], v[20:21]
	v_fmac_f64_e32 v[48:49], v[72:73], v[20:21]
	v_fma_f64 v[62:63], -v[72:73], v[22:23], v[62:63]
	v_fmac_f64_e32 v[48:49], v[70:71], v[22:23]
	v_cvt_f64_f32_e32 v[70:71], v8
	v_cvt_f64_f32_e32 v[8:9], v9
	;; [unrolled: 6-line block ×3, first 2 shown]
	v_fmac_f64_e32 v[48:49], v[10:11], v[12:13]
	v_fmac_f64_e32 v[62:63], v[8:9], v[12:13]
	;; [unrolled: 1-line block ×3, first 2 shown]
	v_cvt_f64_f32_e32 v[8:9], v4
	v_cvt_f64_f32_e32 v[4:5], v5
	v_fmac_f64_e32 v[66:67], v[8:9], v[24:25]
	v_fmac_f64_e32 v[52:53], v[4:5], v[24:25]
	v_fma_f64 v[62:63], -v[10:11], v[14:15], v[62:63]
	v_fma_f64 v[10:11], -v[4:5], v[26:27], v[66:67]
	v_fmac_f64_e32 v[52:53], v[8:9], v[26:27]
	v_cvt_f64_f32_e32 v[4:5], v6
	v_cvt_f64_f32_e32 v[6:7], v7
	v_fmac_f64_e32 v[10:11], v[4:5], v[20:21]
	v_fmac_f64_e32 v[52:53], v[6:7], v[20:21]
	v_fma_f64 v[8:9], -v[6:7], v[22:23], v[10:11]
	v_fmac_f64_e32 v[52:53], v[4:5], v[22:23]
	v_cvt_f64_f32_e32 v[4:5], v0
	v_cvt_f64_f32_e32 v[0:1], v1
	v_fmac_f64_e32 v[8:9], v[4:5], v[16:17]
	v_fmac_f64_e32 v[52:53], v[0:1], v[16:17]
	;; [unrolled: 6-line block ×3, first 2 shown]
	v_fma_f64 v[66:67], -v[2:3], v[14:15], v[6:7]
	v_fmac_f64_e32 v[52:53], v[0:1], v[14:15]
	global_load_dwordx4 v[0:3], v[56:57], off offset:1648
	global_load_dwordx4 v[4:7], v[56:57], off offset:1632
	;; [unrolled: 1-line block ×4, first 2 shown]
	v_add_co_u32_e32 v56, vcc, s16, v56
	v_addc_co_u32_e32 v57, vcc, 0, v57, vcc
	v_add_co_u32_e32 v58, vcc, 16, v58
	v_addc_co_u32_e32 v59, vcc, 0, v59, vcc
	;; [unrolled: 2-line block ×3, first 2 shown]
	v_cmp_ge_i64_e32 vcc, v[58:59], v[42:43]
	s_or_b64 s[14:15], vcc, s[14:15]
	s_waitcnt vmcnt(0)
	v_cvt_f64_f32_e32 v[74:75], v70
	v_cvt_f64_f32_e32 v[70:71], v71
	v_fmac_f64_e32 v[64:65], v[74:75], v[24:25]
	v_fmac_f64_e32 v[50:51], v[70:71], v[24:25]
	v_fma_f64 v[64:65], -v[70:71], v[26:27], v[64:65]
	v_fmac_f64_e32 v[50:51], v[74:75], v[26:27]
	v_cvt_f64_f32_e32 v[70:71], v72
	v_cvt_f64_f32_e32 v[72:73], v73
	v_fmac_f64_e32 v[64:65], v[70:71], v[20:21]
	v_fmac_f64_e32 v[50:51], v[72:73], v[20:21]
	v_fma_f64 v[64:65], -v[72:73], v[22:23], v[64:65]
	v_fmac_f64_e32 v[50:51], v[70:71], v[22:23]
	;; [unrolled: 6-line block ×3, first 2 shown]
	v_cvt_f64_f32_e32 v[8:9], v10
	v_cvt_f64_f32_e32 v[10:11], v11
	v_fmac_f64_e32 v[50:51], v[10:11], v[12:13]
	v_fmac_f64_e32 v[64:65], v[8:9], v[12:13]
	;; [unrolled: 1-line block ×3, first 2 shown]
	v_cvt_f64_f32_e32 v[8:9], v4
	v_cvt_f64_f32_e32 v[4:5], v5
	v_fmac_f64_e32 v[68:69], v[8:9], v[24:25]
	v_fmac_f64_e32 v[46:47], v[4:5], v[24:25]
	v_fma_f64 v[64:65], -v[10:11], v[14:15], v[64:65]
	v_fma_f64 v[10:11], -v[4:5], v[26:27], v[68:69]
	v_fmac_f64_e32 v[46:47], v[8:9], v[26:27]
	v_cvt_f64_f32_e32 v[4:5], v6
	v_cvt_f64_f32_e32 v[6:7], v7
	v_fmac_f64_e32 v[10:11], v[4:5], v[20:21]
	v_fmac_f64_e32 v[46:47], v[6:7], v[20:21]
	v_fma_f64 v[8:9], -v[6:7], v[22:23], v[10:11]
	v_fmac_f64_e32 v[46:47], v[4:5], v[22:23]
	v_cvt_f64_f32_e32 v[4:5], v0
	v_cvt_f64_f32_e32 v[0:1], v1
	v_fmac_f64_e32 v[8:9], v[4:5], v[16:17]
	v_fmac_f64_e32 v[46:47], v[0:1], v[16:17]
	;; [unrolled: 6-line block ×3, first 2 shown]
	v_fma_f64 v[16:17], -v[2:3], v[14:15], v[6:7]
	v_fmac_f64_e32 v[46:47], v[0:1], v[14:15]
	s_andn2_b64 exec, exec, s[14:15]
	s_cbranch_execnz .LBB170_23
; %bb.24:
	s_or_b64 exec, exec, s[14:15]
.LBB170_25:
	s_or_b64 exec, exec, s[2:3]
.LBB170_26:
	s_or_b64 exec, exec, s[10:11]
	s_andn2_b64 vcc, exec, s[8:9]
	s_cbranch_vccz .LBB170_28
	s_branch .LBB170_39
.LBB170_27:
                                        ; implicit-def: $vgpr48_vgpr49
                                        ; implicit-def: $vgpr62_vgpr63
                                        ; implicit-def: $vgpr52_vgpr53
                                        ; implicit-def: $vgpr66_vgpr67
                                        ; implicit-def: $vgpr50_vgpr51
                                        ; implicit-def: $vgpr64_vgpr65
                                        ; implicit-def: $vgpr46_vgpr47
                                        ; implicit-def: $vgpr16_vgpr17
.LBB170_28:
	v_pk_mov_b32 v[48:49], 0, 0
	v_pk_mov_b32 v[62:63], v[48:49], v[48:49] op_sel:[0,1]
	v_pk_mov_b32 v[52:53], v[48:49], v[48:49] op_sel:[0,1]
	;; [unrolled: 1-line block ×7, first 2 shown]
	s_and_saveexec_b64 s[2:3], s[0:1]
	s_cbranch_execz .LBB170_38
; %bb.29:
	v_or_b32_e32 v0, 4, v38
	v_mov_b32_e32 v1, s18
	v_subrev_co_u32_e32 v0, vcc, s20, v0
	v_subb_co_u32_e32 v1, vcc, 0, v1, vcc
	v_add_co_u32_e32 v0, vcc, v0, v54
	v_addc_co_u32_e32 v1, vcc, v1, v55, vcc
	v_cmp_gt_i64_e32 vcc, v[0:1], v[42:43]
	v_cndmask_b32_e32 v1, v43, v1, vcc
	v_cndmask_b32_e32 v0, v42, v0, vcc
	v_mov_b32_e32 v4, s18
	v_sub_co_u32_e32 v5, vcc, s20, v38
	v_not_b32_e32 v3, v54
	v_subbrev_co_u32_e32 v4, vcc, 0, v4, vcc
	v_not_b32_e32 v2, v55
	v_add_co_u32_e32 v3, vcc, v5, v3
	v_addc_co_u32_e32 v2, vcc, v4, v2, vcc
	v_add_co_u32_e32 v18, vcc, v3, v0
	v_lshrrev_b32_e32 v0, 2, v18
	v_add_u32_e32 v0, 1, v0
	v_addc_co_u32_e32 v19, vcc, v2, v1, vcc
	v_and_b32_e32 v0, 3, v0
	v_pk_mov_b32 v[16:17], 0, 0
	v_cmp_ne_u32_e32 vcc, 0, v0
	s_mov_b64 s[10:11], 0
	v_pk_mov_b32 v[46:47], v[16:17], v[16:17] op_sel:[0,1]
	v_pk_mov_b32 v[64:65], v[16:17], v[16:17] op_sel:[0,1]
	;; [unrolled: 1-line block ×7, first 2 shown]
	s_and_saveexec_b64 s[8:9], vcc
	s_cbranch_execz .LBB170_33
; %bb.30:
	v_lshlrev_b64 v[2:3], 2, v[40:41]
	v_mov_b32_e32 v1, s13
	v_add_co_u32_e32 v22, vcc, s12, v2
	v_pk_mov_b32 v[48:49], 0, 0
	v_mov_b32_e32 v21, 0
	v_addc_co_u32_e32 v23, vcc, v1, v3, vcc
	v_lshlrev_b32_e32 v20, 2, v0
	s_movk_i32 s14, 0x200
	v_mov_b32_e32 v24, s5
	v_pk_mov_b32 v[62:63], v[48:49], v[48:49] op_sel:[0,1]
	v_pk_mov_b32 v[52:53], v[48:49], v[48:49] op_sel:[0,1]
	;; [unrolled: 1-line block ×7, first 2 shown]
.LBB170_31:                             ; =>This Inner Loop Header: Depth=1
	global_load_dword v25, v[22:23], off
	global_load_dwordx4 v[12:15], v[44:45], off
	global_load_dwordx4 v[8:11], v[44:45], off offset:16
	global_load_dwordx4 v[4:7], v[44:45], off offset:32
	;; [unrolled: 1-line block ×7, first 2 shown]
	v_add_co_u32_e64 v40, s[0:1], 4, v40
	v_addc_co_u32_e64 v41, s[0:1], 0, v41, s[0:1]
	v_add_co_u32_e64 v22, s[0:1], 16, v22
	v_addc_co_u32_e64 v23, s[0:1], 0, v23, s[0:1]
	v_add_co_u32_e32 v44, vcc, s14, v44
	v_add_co_u32_e64 v20, s[0:1], -4, v20
	v_addc_co_u32_e64 v21, s[0:1], -1, v21, s[0:1]
	v_addc_co_u32_e32 v45, vcc, 0, v45, vcc
	v_cmp_eq_u64_e32 vcc, 0, v[20:21]
	s_or_b64 s[10:11], vcc, s[10:11]
	s_waitcnt vmcnt(8)
	v_subrev_u32_e32 v25, s20, v25
	s_waitcnt vmcnt(7)
	v_cvt_f64_f32_e32 v[26:27], v12
	v_cvt_f64_f32_e32 v[80:81], v13
	s_waitcnt vmcnt(5)
	v_cvt_f64_f32_e32 v[94:95], v4
	v_lshlrev_b32_e32 v4, 2, v25
	v_cvt_f64_f32_e32 v[96:97], v5
	v_ashrrev_i32_e32 v5, 31, v4
	v_lshlrev_b64 v[4:5], 4, v[4:5]
	v_add_co_u32_e32 v106, vcc, s4, v4
	v_addc_co_u32_e32 v107, vcc, v24, v5, vcc
	v_cvt_f64_f32_e32 v[82:83], v14
	v_cvt_f64_f32_e32 v[84:85], v15
	;; [unrolled: 1-line block ×8, first 2 shown]
	global_load_dwordx4 v[4:7], v[106:107], off
	global_load_dwordx4 v[8:11], v[106:107], off offset:16
	global_load_dwordx4 v[12:15], v[106:107], off offset:32
	global_load_dwordx4 v[76:79], v[106:107], off offset:48
	s_waitcnt vmcnt(8)
	v_cvt_f64_f32_e32 v[102:103], v0
	v_cvt_f64_f32_e32 v[0:1], v1
	v_cvt_f64_f32_e32 v[104:105], v2
	v_cvt_f64_f32_e32 v[2:3], v3
	s_waitcnt vmcnt(7)
	v_cvt_f64_f32_e32 v[106:107], v54
	v_cvt_f64_f32_e32 v[54:55], v55
	v_cvt_f64_f32_e32 v[108:109], v56
	v_cvt_f64_f32_e32 v[56:57], v57
	;; [unrolled: 5-line block ×5, first 2 shown]
	s_waitcnt vmcnt(3)
	v_fmac_f64_e32 v[62:63], v[26:27], v[4:5]
	v_fmac_f64_e32 v[48:49], v[80:81], v[4:5]
	v_fmac_f64_e32 v[66:67], v[82:83], v[4:5]
	v_fmac_f64_e32 v[52:53], v[84:85], v[4:5]
	v_fmac_f64_e32 v[64:65], v[86:87], v[4:5]
	v_fmac_f64_e32 v[50:51], v[88:89], v[4:5]
	v_fmac_f64_e32 v[16:17], v[90:91], v[4:5]
	v_fmac_f64_e32 v[46:47], v[92:93], v[4:5]
	v_fma_f64 v[4:5], -v[80:81], v[6:7], v[62:63]
	v_fmac_f64_e32 v[48:49], v[26:27], v[6:7]
	v_fma_f64 v[26:27], -v[84:85], v[6:7], v[66:67]
	v_fmac_f64_e32 v[52:53], v[82:83], v[6:7]
	v_fma_f64 v[62:63], -v[88:89], v[6:7], v[64:65]
	v_fmac_f64_e32 v[50:51], v[86:87], v[6:7]
	v_fma_f64 v[16:17], -v[92:93], v[6:7], v[16:17]
	v_fmac_f64_e32 v[46:47], v[90:91], v[6:7]
	s_waitcnt vmcnt(2)
	v_fmac_f64_e32 v[4:5], v[94:95], v[8:9]
	v_fmac_f64_e32 v[48:49], v[96:97], v[8:9]
	v_fmac_f64_e32 v[26:27], v[98:99], v[8:9]
	v_fmac_f64_e32 v[52:53], v[100:101], v[8:9]
	v_fmac_f64_e32 v[62:63], v[102:103], v[8:9]
	v_fmac_f64_e32 v[50:51], v[0:1], v[8:9]
	v_fmac_f64_e32 v[16:17], v[104:105], v[8:9]
	v_fmac_f64_e32 v[46:47], v[2:3], v[8:9]
	v_fma_f64 v[4:5], -v[96:97], v[10:11], v[4:5]
	v_fmac_f64_e32 v[48:49], v[94:95], v[10:11]
	v_fma_f64 v[6:7], -v[100:101], v[10:11], v[26:27]
	v_fmac_f64_e32 v[52:53], v[98:99], v[10:11]
	v_fma_f64 v[0:1], -v[0:1], v[10:11], v[62:63]
	v_fmac_f64_e32 v[50:51], v[102:103], v[10:11]
	v_fma_f64 v[2:3], -v[2:3], v[10:11], v[16:17]
	v_fmac_f64_e32 v[46:47], v[104:105], v[10:11]
	;; [unrolled: 17-line block ×4, first 2 shown]
	s_andn2_b64 exec, exec, s[10:11]
	s_cbranch_execnz .LBB170_31
; %bb.32:
	s_or_b64 exec, exec, s[10:11]
.LBB170_33:
	s_or_b64 exec, exec, s[8:9]
	v_cmp_lt_u64_e32 vcc, 11, v[18:19]
	s_and_saveexec_b64 s[0:1], vcc
	s_cbranch_execz .LBB170_37
; %bb.34:
	v_lshlrev_b64 v[0:1], 2, v[40:41]
	v_mov_b32_e32 v2, s13
	v_add_co_u32_e32 v0, vcc, s12, v0
	v_addc_co_u32_e32 v1, vcc, v1, v2, vcc
	v_add_co_u32_e32 v20, vcc, 32, v0
	v_addc_co_u32_e32 v21, vcc, 0, v1, vcc
	s_mov_b64 s[8:9], 0
	v_mov_b32_e32 v37, s5
	s_movk_i32 s5, 0x800
.LBB170_35:                             ; =>This Inner Loop Header: Depth=1
	global_load_dword v0, v[20:21], off offset:-32
	global_load_dwordx4 v[8:11], v[44:45], off offset:48
	global_load_dwordx4 v[12:15], v[44:45], off offset:32
	;; [unrolled: 1-line block ×3, first 2 shown]
	global_load_dwordx4 v[54:57], v[44:45], off
	s_waitcnt vmcnt(4)
	v_subrev_u32_e32 v0, s20, v0
	v_lshlrev_b32_e32 v0, 2, v0
	v_ashrrev_i32_e32 v1, 31, v0
	v_lshlrev_b64 v[0:1], 4, v[0:1]
	s_waitcnt vmcnt(0)
	v_cvt_f64_f32_e32 v[18:19], v54
	v_add_co_u32_e32 v54, vcc, s4, v0
	v_cvt_f64_f32_e32 v[26:27], v55
	v_addc_co_u32_e32 v55, vcc, v37, v1, vcc
	global_load_dwordx4 v[0:3], v[54:55], off offset:48
	global_load_dwordx4 v[4:7], v[54:55], off offset:32
	;; [unrolled: 1-line block ×3, first 2 shown]
	global_load_dwordx4 v[68:71], v[54:55], off
	s_waitcnt vmcnt(0)
	v_fmac_f64_e32 v[62:63], v[18:19], v[68:69]
	v_fma_f64 v[54:55], -v[26:27], v[70:71], v[62:63]
	v_fmac_f64_e32 v[48:49], v[26:27], v[68:69]
	v_cvt_f64_f32_e32 v[26:27], v57
	v_fmac_f64_e32 v[48:49], v[18:19], v[70:71]
	v_cvt_f64_f32_e32 v[18:19], v56
	v_fmac_f64_e32 v[52:53], v[26:27], v[68:69]
	v_fmac_f64_e32 v[66:67], v[18:19], v[68:69]
	;; [unrolled: 1-line block ×3, first 2 shown]
	v_cvt_f64_f32_e32 v[18:19], v22
	v_cvt_f64_f32_e32 v[22:23], v23
	v_fmac_f64_e32 v[64:65], v[18:19], v[68:69]
	v_fma_f64 v[56:57], -v[26:27], v[70:71], v[66:67]
	v_fma_f64 v[26:27], -v[22:23], v[70:71], v[64:65]
	v_fmac_f64_e32 v[50:51], v[22:23], v[68:69]
	v_cvt_f64_f32_e32 v[22:23], v25
	v_fmac_f64_e32 v[50:51], v[18:19], v[70:71]
	v_cvt_f64_f32_e32 v[18:19], v24
	v_fmac_f64_e32 v[46:47], v[22:23], v[68:69]
	v_fmac_f64_e32 v[16:17], v[18:19], v[68:69]
	;; [unrolled: 1-line block ×3, first 2 shown]
	v_cvt_f64_f32_e32 v[18:19], v12
	v_cvt_f64_f32_e32 v[12:13], v13
	v_fmac_f64_e32 v[54:55], v[18:19], v[58:59]
	v_fma_f64 v[54:55], -v[12:13], v[60:61], v[54:55]
	v_fmac_f64_e32 v[48:49], v[12:13], v[58:59]
	v_cvt_f64_f32_e32 v[12:13], v14
	v_cvt_f64_f32_e32 v[14:15], v15
	v_fmac_f64_e32 v[52:53], v[14:15], v[58:59]
	v_fmac_f64_e32 v[56:57], v[12:13], v[58:59]
	v_fmac_f64_e32 v[52:53], v[12:13], v[60:61]
	v_cvt_f64_f32_e32 v[12:13], v8
	v_cvt_f64_f32_e32 v[8:9], v9
	v_fmac_f64_e32 v[26:27], v[12:13], v[58:59]
	v_fma_f64 v[16:17], -v[22:23], v[70:71], v[16:17]
	v_fma_f64 v[26:27], -v[8:9], v[60:61], v[26:27]
	v_fmac_f64_e32 v[50:51], v[8:9], v[58:59]
	v_cvt_f64_f32_e32 v[8:9], v10
	v_cvt_f64_f32_e32 v[10:11], v11
	v_fmac_f64_e32 v[16:17], v[8:9], v[58:59]
	v_fmac_f64_e32 v[46:47], v[10:11], v[58:59]
	v_fmac_f64_e32 v[48:49], v[18:19], v[60:61]
	v_fma_f64 v[56:57], -v[14:15], v[60:61], v[56:57]
	v_fmac_f64_e32 v[50:51], v[12:13], v[60:61]
	v_fma_f64 v[62:63], -v[10:11], v[60:61], v[16:17]
	v_fmac_f64_e32 v[46:47], v[8:9], v[60:61]
	global_load_dwordx4 v[8:11], v[44:45], off offset:112
	global_load_dwordx4 v[12:15], v[44:45], off offset:96
	;; [unrolled: 1-line block ×4, first 2 shown]
	s_waitcnt vmcnt(0)
	v_cvt_f64_f32_e32 v[58:59], v22
	v_cvt_f64_f32_e32 v[22:23], v23
	v_fmac_f64_e32 v[54:55], v[58:59], v[4:5]
	v_fma_f64 v[54:55], -v[22:23], v[6:7], v[54:55]
	v_fmac_f64_e32 v[48:49], v[22:23], v[4:5]
	v_cvt_f64_f32_e32 v[22:23], v24
	v_cvt_f64_f32_e32 v[24:25], v25
	v_fmac_f64_e32 v[52:53], v[24:25], v[4:5]
	v_fmac_f64_e32 v[56:57], v[22:23], v[4:5]
	;; [unrolled: 1-line block ×3, first 2 shown]
	v_cvt_f64_f32_e32 v[22:23], v16
	v_cvt_f64_f32_e32 v[16:17], v17
	v_fmac_f64_e32 v[26:27], v[22:23], v[4:5]
	v_fma_f64 v[56:57], -v[24:25], v[6:7], v[56:57]
	v_fma_f64 v[24:25], -v[16:17], v[6:7], v[26:27]
	v_fmac_f64_e32 v[50:51], v[16:17], v[4:5]
	v_cvt_f64_f32_e32 v[16:17], v18
	v_cvt_f64_f32_e32 v[18:19], v19
	v_fmac_f64_e32 v[62:63], v[16:17], v[4:5]
	v_fmac_f64_e32 v[46:47], v[18:19], v[4:5]
	;; [unrolled: 1-line block ×4, first 2 shown]
	v_fma_f64 v[22:23], -v[18:19], v[6:7], v[62:63]
	v_fmac_f64_e32 v[46:47], v[16:17], v[6:7]
	v_cvt_f64_f32_e32 v[4:5], v12
	v_cvt_f64_f32_e32 v[6:7], v13
	v_fmac_f64_e32 v[54:55], v[4:5], v[0:1]
	v_fmac_f64_e32 v[48:49], v[6:7], v[0:1]
	v_fma_f64 v[18:19], -v[6:7], v[2:3], v[54:55]
	v_fmac_f64_e32 v[48:49], v[4:5], v[2:3]
	v_cvt_f64_f32_e32 v[4:5], v14
	v_cvt_f64_f32_e32 v[6:7], v15
	v_fmac_f64_e32 v[56:57], v[4:5], v[0:1]
	v_fmac_f64_e32 v[52:53], v[6:7], v[0:1]
	;; [unrolled: 6-line block ×4, first 2 shown]
	global_load_dword v0, v[20:21], off offset:-16
	v_fma_f64 v[12:13], -v[6:7], v[2:3], v[22:23]
	v_fmac_f64_e32 v[46:47], v[4:5], v[2:3]
	s_waitcnt vmcnt(0)
	v_subrev_u32_e32 v0, s20, v0
	v_lshlrev_b32_e32 v26, 2, v0
	v_ashrrev_i32_e32 v27, 31, v26
	v_lshlrev_b64 v[26:27], 4, v[26:27]
	v_add_co_u32_e32 v26, vcc, s4, v26
	global_load_dwordx4 v[0:3], v[44:45], off offset:560
	global_load_dwordx4 v[4:7], v[44:45], off offset:544
	;; [unrolled: 1-line block ×4, first 2 shown]
	v_addc_co_u32_e32 v27, vcc, v37, v27, vcc
	global_load_dwordx4 v[54:57], v[26:27], off offset:48
	global_load_dwordx4 v[58:61], v[26:27], off offset:32
	;; [unrolled: 1-line block ×3, first 2 shown]
	global_load_dwordx4 v[66:69], v[26:27], off
	s_waitcnt vmcnt(4)
	v_cvt_f64_f32_e32 v[70:71], v22
	v_cvt_f64_f32_e32 v[22:23], v23
	s_waitcnt vmcnt(0)
	v_fmac_f64_e32 v[18:19], v[70:71], v[66:67]
	v_fma_f64 v[18:19], -v[22:23], v[68:69], v[18:19]
	v_fmac_f64_e32 v[48:49], v[22:23], v[66:67]
	v_cvt_f64_f32_e32 v[22:23], v24
	v_cvt_f64_f32_e32 v[24:25], v25
	v_fmac_f64_e32 v[52:53], v[24:25], v[66:67]
	v_fmac_f64_e32 v[16:17], v[22:23], v[66:67]
	;; [unrolled: 1-line block ×3, first 2 shown]
	v_cvt_f64_f32_e32 v[22:23], v8
	v_cvt_f64_f32_e32 v[8:9], v9
	v_fmac_f64_e32 v[14:15], v[22:23], v[66:67]
	v_fma_f64 v[14:15], -v[8:9], v[68:69], v[14:15]
	v_fmac_f64_e32 v[50:51], v[8:9], v[66:67]
	v_cvt_f64_f32_e32 v[8:9], v10
	v_cvt_f64_f32_e32 v[10:11], v11
	v_fmac_f64_e32 v[46:47], v[10:11], v[66:67]
	v_fmac_f64_e32 v[12:13], v[8:9], v[66:67]
	;; [unrolled: 1-line block ×3, first 2 shown]
	v_cvt_f64_f32_e32 v[8:9], v4
	v_fmac_f64_e32 v[48:49], v[70:71], v[68:69]
	v_cvt_f64_f32_e32 v[4:5], v5
	v_fmac_f64_e32 v[18:19], v[8:9], v[62:63]
	v_fma_f64 v[18:19], -v[4:5], v[64:65], v[18:19]
	v_fmac_f64_e32 v[48:49], v[4:5], v[62:63]
	v_cvt_f64_f32_e32 v[4:5], v6
	v_cvt_f64_f32_e32 v[6:7], v7
	v_fma_f64 v[16:17], -v[24:25], v[68:69], v[16:17]
	v_fmac_f64_e32 v[52:53], v[6:7], v[62:63]
	v_fmac_f64_e32 v[16:17], v[4:5], v[62:63]
	;; [unrolled: 1-line block ×3, first 2 shown]
	v_cvt_f64_f32_e32 v[4:5], v0
	v_fmac_f64_e32 v[50:51], v[22:23], v[68:69]
	v_cvt_f64_f32_e32 v[0:1], v1
	v_fmac_f64_e32 v[14:15], v[4:5], v[62:63]
	v_fma_f64 v[12:13], -v[10:11], v[68:69], v[12:13]
	v_fma_f64 v[22:23], -v[0:1], v[64:65], v[14:15]
	v_fmac_f64_e32 v[50:51], v[0:1], v[62:63]
	v_cvt_f64_f32_e32 v[0:1], v2
	v_cvt_f64_f32_e32 v[2:3], v3
	v_fmac_f64_e32 v[12:13], v[0:1], v[62:63]
	v_fmac_f64_e32 v[46:47], v[2:3], v[62:63]
	;; [unrolled: 1-line block ×3, first 2 shown]
	v_fma_f64 v[16:17], -v[6:7], v[64:65], v[16:17]
	v_fmac_f64_e32 v[50:51], v[4:5], v[64:65]
	v_fma_f64 v[24:25], -v[2:3], v[64:65], v[12:13]
	v_fmac_f64_e32 v[46:47], v[0:1], v[64:65]
	global_load_dwordx4 v[0:3], v[44:45], off offset:624
	global_load_dwordx4 v[4:7], v[44:45], off offset:608
	;; [unrolled: 1-line block ×4, first 2 shown]
	s_waitcnt vmcnt(0)
	v_cvt_f64_f32_e32 v[26:27], v12
	v_cvt_f64_f32_e32 v[12:13], v13
	v_fmac_f64_e32 v[18:19], v[26:27], v[58:59]
	v_fma_f64 v[18:19], -v[12:13], v[60:61], v[18:19]
	v_fmac_f64_e32 v[48:49], v[12:13], v[58:59]
	v_cvt_f64_f32_e32 v[12:13], v14
	v_cvt_f64_f32_e32 v[14:15], v15
	v_fmac_f64_e32 v[52:53], v[14:15], v[58:59]
	v_fmac_f64_e32 v[16:17], v[12:13], v[58:59]
	;; [unrolled: 1-line block ×3, first 2 shown]
	v_cvt_f64_f32_e32 v[12:13], v8
	v_cvt_f64_f32_e32 v[8:9], v9
	v_fmac_f64_e32 v[22:23], v[12:13], v[58:59]
	v_fma_f64 v[16:17], -v[14:15], v[60:61], v[16:17]
	v_fma_f64 v[14:15], -v[8:9], v[60:61], v[22:23]
	v_fmac_f64_e32 v[50:51], v[8:9], v[58:59]
	v_cvt_f64_f32_e32 v[8:9], v10
	v_cvt_f64_f32_e32 v[10:11], v11
	v_fmac_f64_e32 v[46:47], v[10:11], v[58:59]
	v_fmac_f64_e32 v[24:25], v[8:9], v[58:59]
	;; [unrolled: 1-line block ×3, first 2 shown]
	v_cvt_f64_f32_e32 v[8:9], v4
	v_fmac_f64_e32 v[48:49], v[26:27], v[60:61]
	v_cvt_f64_f32_e32 v[4:5], v5
	v_fmac_f64_e32 v[18:19], v[8:9], v[54:55]
	v_fma_f64 v[26:27], -v[4:5], v[56:57], v[18:19]
	v_fmac_f64_e32 v[48:49], v[4:5], v[54:55]
	v_cvt_f64_f32_e32 v[4:5], v6
	v_cvt_f64_f32_e32 v[6:7], v7
	v_fmac_f64_e32 v[52:53], v[6:7], v[54:55]
	v_fmac_f64_e32 v[16:17], v[4:5], v[54:55]
	v_fmac_f64_e32 v[52:53], v[4:5], v[56:57]
	v_cvt_f64_f32_e32 v[4:5], v0
	v_fmac_f64_e32 v[50:51], v[12:13], v[60:61]
	v_cvt_f64_f32_e32 v[0:1], v1
	v_fmac_f64_e32 v[14:15], v[4:5], v[54:55]
	v_fma_f64 v[64:65], -v[0:1], v[56:57], v[14:15]
	v_fmac_f64_e32 v[50:51], v[0:1], v[54:55]
	v_cvt_f64_f32_e32 v[0:1], v2
	v_cvt_f64_f32_e32 v[2:3], v3
	v_fma_f64 v[12:13], -v[10:11], v[60:61], v[24:25]
	v_fmac_f64_e32 v[46:47], v[2:3], v[54:55]
	v_fmac_f64_e32 v[12:13], v[0:1], v[54:55]
	;; [unrolled: 1-line block ×3, first 2 shown]
	global_load_dword v0, v[20:21], off
	v_fma_f64 v[62:63], -v[6:7], v[56:57], v[16:17]
	v_fmac_f64_e32 v[48:49], v[8:9], v[56:57]
	v_fmac_f64_e32 v[50:51], v[4:5], v[56:57]
	v_fma_f64 v[66:67], -v[2:3], v[56:57], v[12:13]
	s_waitcnt vmcnt(0)
	v_subrev_u32_e32 v0, s20, v0
	v_lshlrev_b32_e32 v16, 2, v0
	v_ashrrev_i32_e32 v17, 31, v16
	v_lshlrev_b64 v[16:17], 4, v[16:17]
	v_add_co_u32_e32 v70, vcc, s4, v16
	global_load_dwordx4 v[0:3], v[44:45], off offset:1072
	global_load_dwordx4 v[4:7], v[44:45], off offset:1056
	;; [unrolled: 1-line block ×4, first 2 shown]
	v_addc_co_u32_e32 v71, vcc, v37, v17, vcc
	global_load_dwordx4 v[16:19], v[70:71], off offset:48
	global_load_dwordx4 v[22:25], v[70:71], off offset:32
	;; [unrolled: 1-line block ×3, first 2 shown]
	global_load_dwordx4 v[58:61], v[70:71], off
	s_waitcnt vmcnt(4)
	v_cvt_f64_f32_e32 v[68:69], v12
	v_cvt_f64_f32_e32 v[12:13], v13
	s_waitcnt vmcnt(0)
	v_fmac_f64_e32 v[26:27], v[68:69], v[58:59]
	v_fma_f64 v[26:27], -v[12:13], v[60:61], v[26:27]
	v_fmac_f64_e32 v[48:49], v[12:13], v[58:59]
	v_cvt_f64_f32_e32 v[12:13], v14
	v_cvt_f64_f32_e32 v[14:15], v15
	v_fmac_f64_e32 v[52:53], v[14:15], v[58:59]
	v_fmac_f64_e32 v[62:63], v[12:13], v[58:59]
	;; [unrolled: 1-line block ×3, first 2 shown]
	v_cvt_f64_f32_e32 v[12:13], v8
	v_cvt_f64_f32_e32 v[8:9], v9
	v_fmac_f64_e32 v[64:65], v[12:13], v[58:59]
	v_fma_f64 v[62:63], -v[14:15], v[60:61], v[62:63]
	v_fma_f64 v[14:15], -v[8:9], v[60:61], v[64:65]
	v_fmac_f64_e32 v[50:51], v[8:9], v[58:59]
	v_cvt_f64_f32_e32 v[8:9], v10
	v_cvt_f64_f32_e32 v[10:11], v11
	v_fmac_f64_e32 v[46:47], v[10:11], v[58:59]
	v_fmac_f64_e32 v[66:67], v[8:9], v[58:59]
	;; [unrolled: 1-line block ×3, first 2 shown]
	v_cvt_f64_f32_e32 v[8:9], v4
	v_fmac_f64_e32 v[48:49], v[68:69], v[60:61]
	v_cvt_f64_f32_e32 v[4:5], v5
	v_fmac_f64_e32 v[26:27], v[8:9], v[54:55]
	v_fma_f64 v[26:27], -v[4:5], v[56:57], v[26:27]
	v_fmac_f64_e32 v[48:49], v[4:5], v[54:55]
	v_cvt_f64_f32_e32 v[4:5], v6
	v_cvt_f64_f32_e32 v[6:7], v7
	v_fmac_f64_e32 v[52:53], v[6:7], v[54:55]
	v_fmac_f64_e32 v[62:63], v[4:5], v[54:55]
	;; [unrolled: 1-line block ×3, first 2 shown]
	v_cvt_f64_f32_e32 v[4:5], v0
	v_fmac_f64_e32 v[50:51], v[12:13], v[60:61]
	v_cvt_f64_f32_e32 v[0:1], v1
	v_fmac_f64_e32 v[14:15], v[4:5], v[54:55]
	v_fma_f64 v[12:13], -v[10:11], v[60:61], v[66:67]
	v_fma_f64 v[60:61], -v[0:1], v[56:57], v[14:15]
	v_fmac_f64_e32 v[50:51], v[0:1], v[54:55]
	v_cvt_f64_f32_e32 v[0:1], v2
	v_cvt_f64_f32_e32 v[2:3], v3
	v_fmac_f64_e32 v[12:13], v[0:1], v[54:55]
	v_fmac_f64_e32 v[46:47], v[2:3], v[54:55]
	;; [unrolled: 1-line block ×3, first 2 shown]
	v_fma_f64 v[58:59], -v[6:7], v[56:57], v[62:63]
	v_fmac_f64_e32 v[50:51], v[4:5], v[56:57]
	v_fma_f64 v[62:63], -v[2:3], v[56:57], v[12:13]
	v_fmac_f64_e32 v[46:47], v[0:1], v[56:57]
	global_load_dwordx4 v[0:3], v[44:45], off offset:1136
	global_load_dwordx4 v[4:7], v[44:45], off offset:1120
	;; [unrolled: 1-line block ×4, first 2 shown]
	s_waitcnt vmcnt(0)
	v_cvt_f64_f32_e32 v[54:55], v12
	v_cvt_f64_f32_e32 v[12:13], v13
	v_fmac_f64_e32 v[26:27], v[54:55], v[22:23]
	v_fma_f64 v[26:27], -v[12:13], v[24:25], v[26:27]
	v_fmac_f64_e32 v[48:49], v[12:13], v[22:23]
	v_cvt_f64_f32_e32 v[12:13], v14
	v_cvt_f64_f32_e32 v[14:15], v15
	v_fmac_f64_e32 v[52:53], v[14:15], v[22:23]
	v_fmac_f64_e32 v[58:59], v[12:13], v[22:23]
	;; [unrolled: 1-line block ×3, first 2 shown]
	v_cvt_f64_f32_e32 v[12:13], v8
	v_cvt_f64_f32_e32 v[8:9], v9
	v_fmac_f64_e32 v[60:61], v[12:13], v[22:23]
	v_fma_f64 v[56:57], -v[14:15], v[24:25], v[58:59]
	v_fma_f64 v[14:15], -v[8:9], v[24:25], v[60:61]
	v_fmac_f64_e32 v[50:51], v[8:9], v[22:23]
	v_cvt_f64_f32_e32 v[8:9], v10
	v_cvt_f64_f32_e32 v[10:11], v11
	v_fmac_f64_e32 v[46:47], v[10:11], v[22:23]
	v_fmac_f64_e32 v[62:63], v[8:9], v[22:23]
	;; [unrolled: 1-line block ×3, first 2 shown]
	v_cvt_f64_f32_e32 v[8:9], v4
	v_fmac_f64_e32 v[48:49], v[54:55], v[24:25]
	v_cvt_f64_f32_e32 v[4:5], v5
	v_fmac_f64_e32 v[26:27], v[8:9], v[16:17]
	v_fma_f64 v[54:55], -v[4:5], v[18:19], v[26:27]
	v_fmac_f64_e32 v[48:49], v[4:5], v[16:17]
	v_cvt_f64_f32_e32 v[4:5], v6
	v_cvt_f64_f32_e32 v[6:7], v7
	v_fmac_f64_e32 v[52:53], v[6:7], v[16:17]
	v_fmac_f64_e32 v[56:57], v[4:5], v[16:17]
	;; [unrolled: 1-line block ×3, first 2 shown]
	v_cvt_f64_f32_e32 v[4:5], v0
	v_fmac_f64_e32 v[50:51], v[12:13], v[24:25]
	v_cvt_f64_f32_e32 v[0:1], v1
	v_fmac_f64_e32 v[14:15], v[4:5], v[16:17]
	v_fma_f64 v[12:13], -v[10:11], v[24:25], v[62:63]
	v_fma_f64 v[24:25], -v[0:1], v[18:19], v[14:15]
	v_fmac_f64_e32 v[50:51], v[0:1], v[16:17]
	v_cvt_f64_f32_e32 v[0:1], v2
	v_cvt_f64_f32_e32 v[2:3], v3
	v_fmac_f64_e32 v[46:47], v[2:3], v[16:17]
	v_fmac_f64_e32 v[12:13], v[0:1], v[16:17]
	;; [unrolled: 1-line block ×3, first 2 shown]
	global_load_dword v0, v[20:21], off offset:16
	v_fma_f64 v[22:23], -v[2:3], v[18:19], v[12:13]
	v_fmac_f64_e32 v[48:49], v[8:9], v[18:19]
	v_fma_f64 v[26:27], -v[6:7], v[18:19], v[56:57]
	v_fmac_f64_e32 v[50:51], v[4:5], v[18:19]
	s_waitcnt vmcnt(0)
	v_subrev_u32_e32 v0, s20, v0
	v_lshlrev_b32_e32 v12, 2, v0
	v_ashrrev_i32_e32 v13, 31, v12
	v_lshlrev_b64 v[12:13], 4, v[12:13]
	v_add_co_u32_e32 v70, vcc, s4, v12
	global_load_dwordx4 v[0:3], v[44:45], off offset:1584
	global_load_dwordx4 v[4:7], v[44:45], off offset:1568
	;; [unrolled: 1-line block ×4, first 2 shown]
	v_addc_co_u32_e32 v71, vcc, v37, v13, vcc
	global_load_dwordx4 v[12:15], v[70:71], off offset:48
	global_load_dwordx4 v[16:19], v[70:71], off offset:32
	;; [unrolled: 1-line block ×3, first 2 shown]
	global_load_dwordx4 v[64:67], v[70:71], off
	s_waitcnt vmcnt(4)
	v_cvt_f64_f32_e32 v[68:69], v56
	v_cvt_f64_f32_e32 v[56:57], v57
	s_waitcnt vmcnt(0)
	v_fmac_f64_e32 v[54:55], v[68:69], v[64:65]
	v_fma_f64 v[54:55], -v[56:57], v[66:67], v[54:55]
	v_fmac_f64_e32 v[48:49], v[56:57], v[64:65]
	v_cvt_f64_f32_e32 v[56:57], v58
	v_cvt_f64_f32_e32 v[58:59], v59
	v_fmac_f64_e32 v[52:53], v[58:59], v[64:65]
	v_fmac_f64_e32 v[26:27], v[56:57], v[64:65]
	;; [unrolled: 1-line block ×3, first 2 shown]
	v_cvt_f64_f32_e32 v[56:57], v8
	v_cvt_f64_f32_e32 v[8:9], v9
	v_fmac_f64_e32 v[24:25], v[56:57], v[64:65]
	v_fma_f64 v[24:25], -v[8:9], v[66:67], v[24:25]
	v_fmac_f64_e32 v[50:51], v[8:9], v[64:65]
	v_cvt_f64_f32_e32 v[8:9], v10
	v_cvt_f64_f32_e32 v[10:11], v11
	v_fmac_f64_e32 v[46:47], v[10:11], v[64:65]
	v_fmac_f64_e32 v[22:23], v[8:9], v[64:65]
	;; [unrolled: 1-line block ×3, first 2 shown]
	v_cvt_f64_f32_e32 v[8:9], v4
	v_fmac_f64_e32 v[48:49], v[68:69], v[66:67]
	v_cvt_f64_f32_e32 v[4:5], v5
	v_fmac_f64_e32 v[54:55], v[8:9], v[60:61]
	v_fma_f64 v[54:55], -v[4:5], v[62:63], v[54:55]
	v_fmac_f64_e32 v[48:49], v[4:5], v[60:61]
	v_cvt_f64_f32_e32 v[4:5], v6
	v_cvt_f64_f32_e32 v[6:7], v7
	v_fma_f64 v[26:27], -v[58:59], v[66:67], v[26:27]
	v_fmac_f64_e32 v[52:53], v[6:7], v[60:61]
	v_fmac_f64_e32 v[26:27], v[4:5], v[60:61]
	;; [unrolled: 1-line block ×3, first 2 shown]
	v_cvt_f64_f32_e32 v[4:5], v0
	v_fmac_f64_e32 v[50:51], v[56:57], v[66:67]
	v_cvt_f64_f32_e32 v[0:1], v1
	v_fmac_f64_e32 v[24:25], v[4:5], v[60:61]
	v_fma_f64 v[22:23], -v[10:11], v[66:67], v[22:23]
	v_fma_f64 v[56:57], -v[0:1], v[62:63], v[24:25]
	v_fmac_f64_e32 v[50:51], v[0:1], v[60:61]
	v_cvt_f64_f32_e32 v[0:1], v2
	v_cvt_f64_f32_e32 v[2:3], v3
	v_fmac_f64_e32 v[22:23], v[0:1], v[60:61]
	v_fmac_f64_e32 v[46:47], v[2:3], v[60:61]
	v_fmac_f64_e32 v[48:49], v[8:9], v[62:63]
	v_fma_f64 v[26:27], -v[6:7], v[62:63], v[26:27]
	v_fmac_f64_e32 v[50:51], v[4:5], v[62:63]
	v_fma_f64 v[58:59], -v[2:3], v[62:63], v[22:23]
	v_fmac_f64_e32 v[46:47], v[0:1], v[62:63]
	global_load_dwordx4 v[0:3], v[44:45], off offset:1648
	global_load_dwordx4 v[4:7], v[44:45], off offset:1632
	;; [unrolled: 1-line block ×4, first 2 shown]
	v_add_co_u32_e32 v44, vcc, s5, v44
	v_addc_co_u32_e32 v45, vcc, 0, v45, vcc
	v_add_co_u32_e32 v40, vcc, 16, v40
	v_addc_co_u32_e32 v41, vcc, 0, v41, vcc
	;; [unrolled: 2-line block ×3, first 2 shown]
	v_cmp_ge_i64_e32 vcc, v[40:41], v[42:43]
	s_or_b64 s[8:9], vcc, s[8:9]
	s_waitcnt vmcnt(0)
	v_cvt_f64_f32_e32 v[60:61], v22
	v_cvt_f64_f32_e32 v[22:23], v23
	v_fmac_f64_e32 v[54:55], v[60:61], v[16:17]
	v_fma_f64 v[54:55], -v[22:23], v[18:19], v[54:55]
	v_fmac_f64_e32 v[48:49], v[22:23], v[16:17]
	v_cvt_f64_f32_e32 v[22:23], v24
	v_cvt_f64_f32_e32 v[24:25], v25
	v_fmac_f64_e32 v[52:53], v[24:25], v[16:17]
	v_fmac_f64_e32 v[26:27], v[22:23], v[16:17]
	;; [unrolled: 1-line block ×3, first 2 shown]
	v_cvt_f64_f32_e32 v[22:23], v8
	v_cvt_f64_f32_e32 v[8:9], v9
	v_fmac_f64_e32 v[56:57], v[22:23], v[16:17]
	v_fma_f64 v[26:27], -v[24:25], v[18:19], v[26:27]
	v_fma_f64 v[24:25], -v[8:9], v[18:19], v[56:57]
	v_fmac_f64_e32 v[50:51], v[8:9], v[16:17]
	v_cvt_f64_f32_e32 v[8:9], v10
	v_cvt_f64_f32_e32 v[10:11], v11
	v_fmac_f64_e32 v[46:47], v[10:11], v[16:17]
	v_fmac_f64_e32 v[58:59], v[8:9], v[16:17]
	;; [unrolled: 1-line block ×3, first 2 shown]
	v_cvt_f64_f32_e32 v[8:9], v4
	v_fmac_f64_e32 v[48:49], v[60:61], v[18:19]
	v_cvt_f64_f32_e32 v[4:5], v5
	v_fmac_f64_e32 v[54:55], v[8:9], v[12:13]
	v_fma_f64 v[62:63], -v[4:5], v[14:15], v[54:55]
	v_fmac_f64_e32 v[48:49], v[4:5], v[12:13]
	v_cvt_f64_f32_e32 v[4:5], v6
	v_cvt_f64_f32_e32 v[6:7], v7
	v_fmac_f64_e32 v[52:53], v[6:7], v[12:13]
	v_fmac_f64_e32 v[26:27], v[4:5], v[12:13]
	;; [unrolled: 1-line block ×3, first 2 shown]
	v_cvt_f64_f32_e32 v[4:5], v0
	v_fmac_f64_e32 v[50:51], v[22:23], v[18:19]
	v_cvt_f64_f32_e32 v[0:1], v1
	v_fmac_f64_e32 v[24:25], v[4:5], v[12:13]
	v_fma_f64 v[22:23], -v[10:11], v[18:19], v[58:59]
	v_fma_f64 v[64:65], -v[0:1], v[14:15], v[24:25]
	v_fmac_f64_e32 v[50:51], v[0:1], v[12:13]
	v_cvt_f64_f32_e32 v[0:1], v2
	v_cvt_f64_f32_e32 v[2:3], v3
	v_fmac_f64_e32 v[22:23], v[0:1], v[12:13]
	v_fmac_f64_e32 v[46:47], v[2:3], v[12:13]
	;; [unrolled: 1-line block ×3, first 2 shown]
	v_fma_f64 v[66:67], -v[6:7], v[14:15], v[26:27]
	v_fmac_f64_e32 v[50:51], v[4:5], v[14:15]
	v_fma_f64 v[16:17], -v[2:3], v[14:15], v[22:23]
	v_fmac_f64_e32 v[46:47], v[0:1], v[14:15]
	s_andn2_b64 exec, exec, s[8:9]
	s_cbranch_execnz .LBB170_35
; %bb.36:
	s_or_b64 exec, exec, s[8:9]
.LBB170_37:
	s_or_b64 exec, exec, s[0:1]
.LBB170_38:
	s_or_b64 exec, exec, s[2:3]
.LBB170_39:
	v_mov_b32_dpp v0, v62 row_shr:1 row_mask:0xf bank_mask:0xf
	v_mov_b32_dpp v1, v63 row_shr:1 row_mask:0xf bank_mask:0xf
	;; [unrolled: 1-line block ×16, first 2 shown]
	v_add_f64 v[0:1], v[62:63], v[0:1]
	v_add_f64 v[4:5], v[48:49], v[4:5]
	;; [unrolled: 1-line block ×8, first 2 shown]
	v_mov_b32_dpp v2, v0 row_shr:2 row_mask:0xf bank_mask:0xf
	v_mov_b32_dpp v3, v1 row_shr:2 row_mask:0xf bank_mask:0xf
	;; [unrolled: 1-line block ×16, first 2 shown]
	v_cmp_eq_u32_e32 vcc, 3, v38
	s_and_b64 exec, exec, vcc
	s_cbranch_execz .LBB170_12
; %bb.40:
	s_load_dwordx2 s[2:3], s[6:7], 0x60
	v_add_f64 v[38:39], v[0:1], v[2:3]
	v_add_f64 v[0:1], v[4:5], v[6:7]
	;; [unrolled: 1-line block ×8, first 2 shown]
	v_cmp_eq_f64_e32 vcc, 0, v[28:29]
	v_cmp_eq_f64_e64 s[0:1], 0, v[30:31]
	v_mul_f64 v[12:13], v[0:1], -v[34:35]
	v_mul_f64 v[14:15], v[32:33], v[0:1]
	v_mul_f64 v[8:9], v[2:3], -v[34:35]
	v_mul_f64 v[10:11], v[32:33], v[2:3]
	;; [unrolled: 2-line block ×4, first 2 shown]
	s_and_b64 s[0:1], vcc, s[0:1]
	v_fmac_f64_e32 v[12:13], v[32:33], v[38:39]
	v_fmac_f64_e32 v[14:15], v[34:35], v[38:39]
	v_lshlrev_b32_e32 v16, 2, v36
	v_fmac_f64_e32 v[8:9], v[32:33], v[44:45]
	v_fmac_f64_e32 v[10:11], v[34:35], v[44:45]
	;; [unrolled: 1-line block ×6, first 2 shown]
	s_and_saveexec_b64 s[4:5], s[0:1]
	s_xor_b64 s[0:1], exec, s[4:5]
	s_cbranch_execz .LBB170_42
; %bb.41:
	v_ashrrev_i32_e32 v17, 31, v16
	v_lshlrev_b64 v[16:17], 4, v[16:17]
	s_waitcnt lgkmcnt(0)
	v_mov_b32_e32 v18, s3
	v_add_co_u32_e32 v16, vcc, s2, v16
	v_addc_co_u32_e32 v17, vcc, v18, v17, vcc
	global_store_dwordx4 v[16:17], v[12:15], off
	global_store_dwordx4 v[16:17], v[8:11], off offset:16
	global_store_dwordx4 v[16:17], v[4:7], off offset:32
	;; [unrolled: 1-line block ×3, first 2 shown]
                                        ; implicit-def: $vgpr28_vgpr29
                                        ; implicit-def: $vgpr30_vgpr31
                                        ; implicit-def: $vgpr12_vgpr13
                                        ; implicit-def: $vgpr16
                                        ; implicit-def: $vgpr8_vgpr9
                                        ; implicit-def: $vgpr4_vgpr5
                                        ; implicit-def: $vgpr0_vgpr1
.LBB170_42:
	s_andn2_saveexec_b64 s[0:1], s[0:1]
	s_cbranch_execz .LBB170_12
; %bb.43:
	v_ashrrev_i32_e32 v17, 31, v16
	v_lshlrev_b64 v[16:17], 4, v[16:17]
	s_waitcnt lgkmcnt(0)
	v_mov_b32_e32 v18, s3
	v_add_co_u32_e32 v36, vcc, s2, v16
	v_addc_co_u32_e32 v37, vcc, v18, v17, vcc
	global_load_dwordx4 v[16:19], v[36:37], off
	global_load_dwordx4 v[20:23], v[36:37], off offset:16
	global_load_dwordx4 v[24:27], v[36:37], off offset:32
	;; [unrolled: 1-line block ×3, first 2 shown]
	s_waitcnt vmcnt(3)
	v_fmac_f64_e32 v[12:13], v[28:29], v[16:17]
	v_fmac_f64_e32 v[14:15], v[30:31], v[16:17]
	s_waitcnt vmcnt(2)
	v_fmac_f64_e32 v[8:9], v[28:29], v[20:21]
	v_fmac_f64_e32 v[10:11], v[30:31], v[20:21]
	;; [unrolled: 3-line block ×4, first 2 shown]
	v_fma_f64 v[12:13], -v[30:31], v[18:19], v[12:13]
	v_fmac_f64_e32 v[14:15], v[28:29], v[18:19]
	v_fma_f64 v[8:9], -v[30:31], v[22:23], v[8:9]
	v_fmac_f64_e32 v[10:11], v[28:29], v[22:23]
	;; [unrolled: 2-line block ×4, first 2 shown]
	global_store_dwordx4 v[36:37], v[12:15], off
	global_store_dwordx4 v[36:37], v[8:11], off offset:16
	global_store_dwordx4 v[36:37], v[4:7], off offset:32
	;; [unrolled: 1-line block ×3, first 2 shown]
	s_endpgm
	.section	.rodata,"a",@progbits
	.p2align	6, 0x0
	.amdhsa_kernel _ZN9rocsparseL18bsrxmvn_4x4_kernelILj128ELj4E21rocsparse_complex_numIdEliS1_IfES2_S2_EEvT3_20rocsparse_direction_NS_24const_host_device_scalarIT1_EES4_PKS4_PKT2_SD_SA_PKT4_PKT5_S8_PT6_21rocsparse_index_base_b
		.amdhsa_group_segment_fixed_size 2048
		.amdhsa_private_segment_fixed_size 0
		.amdhsa_kernarg_size 112
		.amdhsa_user_sgpr_count 8
		.amdhsa_user_sgpr_private_segment_buffer 1
		.amdhsa_user_sgpr_dispatch_ptr 1
		.amdhsa_user_sgpr_queue_ptr 0
		.amdhsa_user_sgpr_kernarg_segment_ptr 1
		.amdhsa_user_sgpr_dispatch_id 0
		.amdhsa_user_sgpr_flat_scratch_init 0
		.amdhsa_user_sgpr_kernarg_preload_length 0
		.amdhsa_user_sgpr_kernarg_preload_offset 0
		.amdhsa_user_sgpr_private_segment_size 0
		.amdhsa_uses_dynamic_stack 0
		.amdhsa_system_sgpr_private_segment_wavefront_offset 0
		.amdhsa_system_sgpr_workgroup_id_x 1
		.amdhsa_system_sgpr_workgroup_id_y 0
		.amdhsa_system_sgpr_workgroup_id_z 0
		.amdhsa_system_sgpr_workgroup_info 0
		.amdhsa_system_vgpr_workitem_id 2
		.amdhsa_next_free_vgpr 128
		.amdhsa_next_free_sgpr 22
		.amdhsa_accum_offset 128
		.amdhsa_reserve_vcc 1
		.amdhsa_reserve_flat_scratch 0
		.amdhsa_float_round_mode_32 0
		.amdhsa_float_round_mode_16_64 0
		.amdhsa_float_denorm_mode_32 3
		.amdhsa_float_denorm_mode_16_64 3
		.amdhsa_dx10_clamp 1
		.amdhsa_ieee_mode 1
		.amdhsa_fp16_overflow 0
		.amdhsa_tg_split 0
		.amdhsa_exception_fp_ieee_invalid_op 0
		.amdhsa_exception_fp_denorm_src 0
		.amdhsa_exception_fp_ieee_div_zero 0
		.amdhsa_exception_fp_ieee_overflow 0
		.amdhsa_exception_fp_ieee_underflow 0
		.amdhsa_exception_fp_ieee_inexact 0
		.amdhsa_exception_int_div_zero 0
	.end_amdhsa_kernel
	.section	.text._ZN9rocsparseL18bsrxmvn_4x4_kernelILj128ELj4E21rocsparse_complex_numIdEliS1_IfES2_S2_EEvT3_20rocsparse_direction_NS_24const_host_device_scalarIT1_EES4_PKS4_PKT2_SD_SA_PKT4_PKT5_S8_PT6_21rocsparse_index_base_b,"axG",@progbits,_ZN9rocsparseL18bsrxmvn_4x4_kernelILj128ELj4E21rocsparse_complex_numIdEliS1_IfES2_S2_EEvT3_20rocsparse_direction_NS_24const_host_device_scalarIT1_EES4_PKS4_PKT2_SD_SA_PKT4_PKT5_S8_PT6_21rocsparse_index_base_b,comdat
.Lfunc_end170:
	.size	_ZN9rocsparseL18bsrxmvn_4x4_kernelILj128ELj4E21rocsparse_complex_numIdEliS1_IfES2_S2_EEvT3_20rocsparse_direction_NS_24const_host_device_scalarIT1_EES4_PKS4_PKT2_SD_SA_PKT4_PKT5_S8_PT6_21rocsparse_index_base_b, .Lfunc_end170-_ZN9rocsparseL18bsrxmvn_4x4_kernelILj128ELj4E21rocsparse_complex_numIdEliS1_IfES2_S2_EEvT3_20rocsparse_direction_NS_24const_host_device_scalarIT1_EES4_PKS4_PKT2_SD_SA_PKT4_PKT5_S8_PT6_21rocsparse_index_base_b
                                        ; -- End function
	.section	.AMDGPU.csdata,"",@progbits
; Kernel info:
; codeLenInByte = 8556
; NumSgprs: 26
; NumVgprs: 128
; NumAgprs: 0
; TotalNumVgprs: 128
; ScratchSize: 0
; MemoryBound: 0
; FloatMode: 240
; IeeeMode: 1
; LDSByteSize: 2048 bytes/workgroup (compile time only)
; SGPRBlocks: 3
; VGPRBlocks: 15
; NumSGPRsForWavesPerEU: 26
; NumVGPRsForWavesPerEU: 128
; AccumOffset: 128
; Occupancy: 4
; WaveLimiterHint : 1
; COMPUTE_PGM_RSRC2:SCRATCH_EN: 0
; COMPUTE_PGM_RSRC2:USER_SGPR: 8
; COMPUTE_PGM_RSRC2:TRAP_HANDLER: 0
; COMPUTE_PGM_RSRC2:TGID_X_EN: 1
; COMPUTE_PGM_RSRC2:TGID_Y_EN: 0
; COMPUTE_PGM_RSRC2:TGID_Z_EN: 0
; COMPUTE_PGM_RSRC2:TIDIG_COMP_CNT: 2
; COMPUTE_PGM_RSRC3_GFX90A:ACCUM_OFFSET: 31
; COMPUTE_PGM_RSRC3_GFX90A:TG_SPLIT: 0
	.section	.text._ZN9rocsparseL18bsrxmvn_4x4_kernelILj128ELj8E21rocsparse_complex_numIdEliS1_IfES2_S2_EEvT3_20rocsparse_direction_NS_24const_host_device_scalarIT1_EES4_PKS4_PKT2_SD_SA_PKT4_PKT5_S8_PT6_21rocsparse_index_base_b,"axG",@progbits,_ZN9rocsparseL18bsrxmvn_4x4_kernelILj128ELj8E21rocsparse_complex_numIdEliS1_IfES2_S2_EEvT3_20rocsparse_direction_NS_24const_host_device_scalarIT1_EES4_PKS4_PKT2_SD_SA_PKT4_PKT5_S8_PT6_21rocsparse_index_base_b,comdat
	.globl	_ZN9rocsparseL18bsrxmvn_4x4_kernelILj128ELj8E21rocsparse_complex_numIdEliS1_IfES2_S2_EEvT3_20rocsparse_direction_NS_24const_host_device_scalarIT1_EES4_PKS4_PKT2_SD_SA_PKT4_PKT5_S8_PT6_21rocsparse_index_base_b ; -- Begin function _ZN9rocsparseL18bsrxmvn_4x4_kernelILj128ELj8E21rocsparse_complex_numIdEliS1_IfES2_S2_EEvT3_20rocsparse_direction_NS_24const_host_device_scalarIT1_EES4_PKS4_PKT2_SD_SA_PKT4_PKT5_S8_PT6_21rocsparse_index_base_b
	.p2align	8
	.type	_ZN9rocsparseL18bsrxmvn_4x4_kernelILj128ELj8E21rocsparse_complex_numIdEliS1_IfES2_S2_EEvT3_20rocsparse_direction_NS_24const_host_device_scalarIT1_EES4_PKS4_PKT2_SD_SA_PKT4_PKT5_S8_PT6_21rocsparse_index_base_b,@function
_ZN9rocsparseL18bsrxmvn_4x4_kernelILj128ELj8E21rocsparse_complex_numIdEliS1_IfES2_S2_EEvT3_20rocsparse_direction_NS_24const_host_device_scalarIT1_EES4_PKS4_PKT2_SD_SA_PKT4_PKT5_S8_PT6_21rocsparse_index_base_b: ; @_ZN9rocsparseL18bsrxmvn_4x4_kernelILj128ELj8E21rocsparse_complex_numIdEliS1_IfES2_S2_EEvT3_20rocsparse_direction_NS_24const_host_device_scalarIT1_EES4_PKS4_PKT2_SD_SA_PKT4_PKT5_S8_PT6_21rocsparse_index_base_b
; %bb.0:
	s_load_dwordx2 s[20:21], s[6:7], 0x68
	s_load_dwordx4 s[12:15], s[6:7], 0x8
	s_load_dwordx2 s[10:11], s[4:5], 0x4
	s_load_dwordx4 s[16:19], s[6:7], 0x50
	s_mov_b64 s[2:3], src_shared_base
	v_bfe_u32 v2, v0, 10, 10
	s_waitcnt lgkmcnt(0)
	s_bitcmp1_b32 s21, 0
	s_cselect_b64 s[0:1], -1, 0
	s_and_b64 vcc, s[0:1], exec
	s_cselect_b32 s2, s3, s13
	s_lshr_b32 s4, s10, 16
	v_and_b32_e32 v1, 0x3ff, v0
	s_mul_i32 s4, s4, s11
	v_mul_u32_u24_e32 v2, s11, v2
	v_mad_u32_u24 v2, s4, v1, v2
	v_bfe_u32 v0, v0, 20, 10
	v_add_lshl_u32 v0, v2, v0, 3
	v_mov_b32_e32 v6, s12
	v_add_u32_e32 v7, 0x400, v0
	v_pk_mov_b32 v[2:3], s[12:13], s[12:13] op_sel:[0,1]
	v_pk_mov_b32 v[4:5], s[16:17], s[16:17] op_sel:[0,1]
	ds_write2st64_b64 v0, v[4:5], v[2:3] offset1:2
	v_cndmask_b32_e64 v2, v6, v7, s[0:1]
	v_mov_b32_e32 v3, s2
	flat_load_dwordx2 v[32:33], v[2:3]
	s_xor_b64 s[4:5], s[0:1], -1
	v_pk_mov_b32 v[34:35], s[14:15], s[14:15] op_sel:[0,1]
	s_cbranch_vccnz .LBB171_2
; %bb.1:
	v_pk_mov_b32 v[2:3], s[12:13], s[12:13] op_sel:[0,1]
	flat_load_dwordx2 v[34:35], v[2:3] offset:8
.LBB171_2:
	s_and_b64 s[10:11], s[0:1], exec
	s_cselect_b32 s2, s3, s17
	v_mov_b32_e32 v2, s16
	v_cndmask_b32_e64 v2, v2, v0, s[0:1]
	v_mov_b32_e32 v3, s2
	flat_load_dwordx2 v[28:29], v[2:3]
	s_andn2_b64 vcc, exec, s[4:5]
	v_pk_mov_b32 v[30:31], s[18:19], s[18:19] op_sel:[0,1]
	s_cbranch_vccnz .LBB171_4
; %bb.3:
	v_pk_mov_b32 v[2:3], s[16:17], s[16:17] op_sel:[0,1]
	flat_load_dwordx2 v[30:31], v[2:3] offset:8
.LBB171_4:
	s_waitcnt vmcnt(0) lgkmcnt(0)
	v_cmp_eq_f64_e32 vcc, 0, v[32:33]
	v_cmp_eq_f64_e64 s[0:1], 0, v[34:35]
	s_and_b64 s[4:5], vcc, s[0:1]
	s_mov_b64 s[0:1], -1
	s_and_saveexec_b64 s[2:3], s[4:5]
; %bb.5:
	v_cmp_neq_f64_e32 vcc, 1.0, v[28:29]
	v_cmp_neq_f64_e64 s[0:1], 0, v[30:31]
	s_or_b64 s[0:1], vcc, s[0:1]
	s_orn2_b64 s[0:1], s[0:1], exec
; %bb.6:
	s_or_b64 exec, exec, s[2:3]
	s_and_saveexec_b64 s[2:3], s[0:1]
	s_cbranch_execz .LBB171_12
; %bb.7:
	s_load_dwordx2 s[4:5], s[6:7], 0x20
	s_load_dwordx2 s[0:1], s[6:7], 0x0
	v_lshrrev_b32_e32 v0, 3, v1
	v_lshl_or_b32 v36, s8, 4, v0
	s_mov_b64 s[2:3], 0
	s_waitcnt lgkmcnt(0)
	s_cmp_lg_u64 s[4:5], 0
	s_cbranch_scc0 .LBB171_13
; %bb.8:
	s_load_dword s8, s[6:7], 0x18
                                        ; implicit-def: $vgpr0
	s_waitcnt lgkmcnt(0)
	v_cmp_gt_i32_e32 vcc, s8, v36
	s_and_saveexec_b64 s[8:9], vcc
	s_xor_b64 s[8:9], exec, s[8:9]
	s_cbranch_execz .LBB171_10
; %bb.9:
	v_ashrrev_i32_e32 v37, 31, v36
	v_lshlrev_b64 v[2:3], 2, v[36:37]
	v_mov_b32_e32 v0, s5
	v_add_co_u32_e32 v2, vcc, s4, v2
	v_addc_co_u32_e32 v3, vcc, v0, v3, vcc
	global_load_dword v0, v[2:3], off
	s_mov_b64 s[2:3], exec
	s_waitcnt vmcnt(0)
	v_subrev_u32_e32 v0, s20, v0
.LBB171_10:
	s_or_b64 exec, exec, s[8:9]
	s_branch .LBB171_14
.LBB171_11:
	v_cmp_gt_i32_e32 vcc, s0, v36
	s_andn2_b64 s[2:3], s[2:3], exec
	s_and_b64 s[4:5], vcc, exec
	s_or_b64 s[2:3], s[2:3], s[4:5]
	s_and_b64 exec, exec, s[2:3]
	s_cbranch_execnz .LBB171_15
.LBB171_12:
	s_endpgm
.LBB171_13:
                                        ; implicit-def: $vgpr0
	s_cbranch_execnz .LBB171_11
.LBB171_14:
	v_mov_b32_e32 v36, v0
	s_and_b64 exec, exec, s[2:3]
	s_cbranch_execz .LBB171_12
.LBB171_15:
	s_load_dwordx8 s[8:15], s[6:7], 0x28
	v_ashrrev_i32_e32 v37, 31, v36
	v_lshlrev_b64 v[2:3], 3, v[36:37]
	v_and_b32_e32 v38, 7, v1
	s_load_dwordx2 s[4:5], s[6:7], 0x48
	s_waitcnt lgkmcnt(0)
	v_mov_b32_e32 v0, s9
	v_add_co_u32_e32 v4, vcc, s8, v2
	v_addc_co_u32_e32 v5, vcc, v0, v3, vcc
	v_add_co_u32_e32 v0, vcc, 8, v4
	global_load_dwordx2 v[54:55], v[4:5], off
	v_addc_co_u32_e32 v4, vcc, 0, v5, vcc
	v_mov_b32_e32 v5, s11
	v_add_co_u32_e32 v2, vcc, s10, v2
	s_cmp_eq_u64 s[10:11], 0
	v_addc_co_u32_e32 v3, vcc, v5, v3, vcc
	s_cselect_b64 vcc, -1, 0
	v_cndmask_b32_e32 v3, v3, v4, vcc
	v_cndmask_b32_e32 v2, v2, v0, vcc
	global_load_dwordx2 v[2:3], v[2:3], off
	v_mov_b32_e32 v4, s15
	s_mov_b32 s18, 0
	s_cmp_eq_u32 s1, 1
	s_waitcnt vmcnt(1)
	v_subrev_co_u32_e32 v0, vcc, s20, v54
	v_subbrev_co_u32_e32 v1, vcc, 0, v55, vcc
	v_add_co_u32_e32 v40, vcc, v0, v38
	v_addc_co_u32_e32 v41, vcc, 0, v1, vcc
	v_lshlrev_b64 v[0:1], 7, v[40:41]
	s_waitcnt vmcnt(0)
	v_subrev_co_u32_e32 v42, vcc, s20, v2
	v_subbrev_co_u32_e32 v43, vcc, 0, v3, vcc
	v_add_co_u32_e32 v44, vcc, s14, v0
	v_addc_co_u32_e32 v45, vcc, v4, v1, vcc
	v_cmp_lt_i64_e64 s[0:1], v[40:41], v[42:43]
	s_cbranch_scc1 .LBB171_27
; %bb.16:
	v_pk_mov_b32 v[50:51], 0, 0
	s_mov_b64 s[8:9], 0
	v_pk_mov_b32 v[64:65], v[50:51], v[50:51] op_sel:[0,1]
	v_pk_mov_b32 v[52:53], v[50:51], v[50:51] op_sel:[0,1]
	;; [unrolled: 1-line block ×7, first 2 shown]
	s_and_saveexec_b64 s[10:11], s[0:1]
	s_cbranch_execz .LBB171_26
; %bb.17:
	v_or_b32_e32 v0, 8, v38
	v_mov_b32_e32 v1, s18
	v_subrev_co_u32_e32 v0, vcc, s20, v0
	v_subb_co_u32_e32 v1, vcc, 0, v1, vcc
	v_add_co_u32_e32 v0, vcc, v0, v54
	v_addc_co_u32_e32 v1, vcc, v1, v55, vcc
	v_cmp_gt_i64_e32 vcc, v[0:1], v[42:43]
	v_cndmask_b32_e32 v1, v43, v1, vcc
	v_cndmask_b32_e32 v0, v42, v0, vcc
	v_mov_b32_e32 v4, s18
	v_sub_co_u32_e32 v5, vcc, s20, v38
	v_not_b32_e32 v3, v54
	v_subbrev_co_u32_e32 v4, vcc, 0, v4, vcc
	v_not_b32_e32 v2, v55
	v_add_co_u32_e32 v3, vcc, v5, v3
	v_addc_co_u32_e32 v2, vcc, v4, v2, vcc
	v_add_co_u32_e32 v8, vcc, v3, v0
	v_lshrrev_b32_e32 v0, 3, v8
	v_add_u32_e32 v0, 1, v0
	v_addc_co_u32_e32 v9, vcc, v2, v1, vcc
	v_and_b32_e32 v0, 3, v0
	v_pk_mov_b32 v[16:17], 0, 0
	v_cmp_ne_u32_e32 vcc, 0, v0
	s_mov_b64 s[16:17], 0
	v_pk_mov_b32 v[46:47], v[16:17], v[16:17] op_sel:[0,1]
	v_pk_mov_b32 v[62:63], v[16:17], v[16:17] op_sel:[0,1]
	;; [unrolled: 1-line block ×9, first 2 shown]
	s_and_saveexec_b64 s[14:15], vcc
	s_cbranch_execz .LBB171_21
; %bb.18:
	v_lshlrev_b64 v[2:3], 2, v[40:41]
	v_mov_b32_e32 v1, s13
	v_add_co_u32_e32 v12, vcc, s12, v2
	v_pk_mov_b32 v[50:51], 0, 0
	v_mov_b32_e32 v11, 0
	v_addc_co_u32_e32 v13, vcc, v1, v3, vcc
	v_lshlrev_b32_e32 v10, 2, v0
	s_movk_i32 s19, 0x400
	v_mov_b32_e32 v14, s5
	v_pk_mov_b32 v[58:59], v[40:41], v[40:41] op_sel:[0,1]
	v_pk_mov_b32 v[56:57], v[44:45], v[44:45] op_sel:[0,1]
	v_pk_mov_b32 v[64:65], v[50:51], v[50:51] op_sel:[0,1]
	v_pk_mov_b32 v[52:53], v[50:51], v[50:51] op_sel:[0,1]
	v_pk_mov_b32 v[66:67], v[50:51], v[50:51] op_sel:[0,1]
	v_pk_mov_b32 v[48:49], v[50:51], v[50:51] op_sel:[0,1]
	v_pk_mov_b32 v[62:63], v[50:51], v[50:51] op_sel:[0,1]
	v_pk_mov_b32 v[46:47], v[50:51], v[50:51] op_sel:[0,1]
	v_pk_mov_b32 v[16:17], v[50:51], v[50:51] op_sel:[0,1]
.LBB171_19:                             ; =>This Inner Loop Header: Depth=1
	global_load_dword v15, v[12:13], off
	global_load_dwordx4 v[4:7], v[56:57], off
	global_load_dwordx4 v[0:3], v[56:57], off offset:32
	global_load_dwordx4 v[18:21], v[56:57], off offset:64
	;; [unrolled: 1-line block ×7, first 2 shown]
	v_add_co_u32_e64 v58, s[2:3], 8, v58
	v_addc_co_u32_e64 v59, s[2:3], 0, v59, s[2:3]
	v_add_co_u32_e64 v12, s[2:3], 32, v12
	v_addc_co_u32_e64 v13, s[2:3], 0, v13, s[2:3]
	v_add_co_u32_e32 v56, vcc, s19, v56
	v_add_co_u32_e64 v10, s[2:3], -4, v10
	v_addc_co_u32_e64 v11, s[2:3], -1, v11, s[2:3]
	v_addc_co_u32_e32 v57, vcc, 0, v57, vcc
	v_cmp_eq_u64_e32 vcc, 0, v[10:11]
	s_or_b64 s[16:17], vcc, s[16:17]
	s_waitcnt vmcnt(8)
	v_subrev_u32_e32 v15, s20, v15
	s_waitcnt vmcnt(7)
	v_cvt_f64_f32_e32 v[26:27], v4
	v_lshlrev_b32_e32 v4, 2, v15
	v_cvt_f64_f32_e32 v[60:61], v5
	v_ashrrev_i32_e32 v5, 31, v4
	v_lshlrev_b64 v[4:5], 4, v[4:5]
	v_add_co_u32_e32 v112, vcc, s4, v4
	v_addc_co_u32_e32 v113, vcc, v14, v5, vcc
	v_cvt_f64_f32_e32 v[92:93], v6
	v_cvt_f64_f32_e32 v[94:95], v7
	s_waitcnt vmcnt(3)
	v_cvt_f64_f32_e32 v[102:103], v68
	v_cvt_f64_f32_e32 v[104:105], v69
	;; [unrolled: 1-line block ×4, first 2 shown]
	global_load_dwordx4 v[4:7], v[112:113], off
	global_load_dwordx4 v[68:71], v[112:113], off offset:16
	global_load_dwordx4 v[84:87], v[112:113], off offset:32
	;; [unrolled: 1-line block ×3, first 2 shown]
	v_cvt_f64_f32_e32 v[96:97], v0
	v_cvt_f64_f32_e32 v[0:1], v1
	;; [unrolled: 1-line block ×12, first 2 shown]
	s_waitcnt vmcnt(6)
	v_cvt_f64_f32_e32 v[112:113], v72
	v_cvt_f64_f32_e32 v[72:73], v73
	s_waitcnt vmcnt(5)
	v_cvt_f64_f32_e32 v[120:121], v76
	v_cvt_f64_f32_e32 v[76:77], v77
	;; [unrolled: 3-line block ×3, first 2 shown]
	v_cvt_f64_f32_e32 v[114:115], v74
	v_cvt_f64_f32_e32 v[74:75], v75
	;; [unrolled: 1-line block ×6, first 2 shown]
	s_waitcnt vmcnt(3)
	v_fmac_f64_e32 v[64:65], v[26:27], v[4:5]
	v_fmac_f64_e32 v[50:51], v[60:61], v[4:5]
	v_fmac_f64_e32 v[66:67], v[96:97], v[4:5]
	v_fmac_f64_e32 v[52:53], v[0:1], v[4:5]
	v_fmac_f64_e32 v[62:63], v[98:99], v[4:5]
	v_fmac_f64_e32 v[48:49], v[18:19], v[4:5]
	v_fmac_f64_e32 v[16:17], v[100:101], v[4:5]
	v_fmac_f64_e32 v[46:47], v[22:23], v[4:5]
	v_fma_f64 v[4:5], -v[60:61], v[6:7], v[64:65]
	v_fmac_f64_e32 v[50:51], v[26:27], v[6:7]
	v_fma_f64 v[0:1], -v[0:1], v[6:7], v[66:67]
	v_fmac_f64_e32 v[52:53], v[96:97], v[6:7]
	v_fma_f64 v[18:19], -v[18:19], v[6:7], v[62:63]
	v_fmac_f64_e32 v[48:49], v[98:99], v[6:7]
	v_fma_f64 v[16:17], -v[22:23], v[6:7], v[16:17]
	v_fmac_f64_e32 v[46:47], v[100:101], v[6:7]
	s_waitcnt vmcnt(2)
	v_fmac_f64_e32 v[4:5], v[92:93], v[68:69]
	v_fmac_f64_e32 v[50:51], v[94:95], v[68:69]
	v_fmac_f64_e32 v[0:1], v[110:111], v[68:69]
	v_fmac_f64_e32 v[52:53], v[2:3], v[68:69]
	v_fmac_f64_e32 v[18:19], v[116:117], v[68:69]
	v_fmac_f64_e32 v[48:49], v[20:21], v[68:69]
	v_fmac_f64_e32 v[16:17], v[118:119], v[68:69]
	v_fmac_f64_e32 v[46:47], v[24:25], v[68:69]
	v_fma_f64 v[4:5], -v[94:95], v[70:71], v[4:5]
	v_fmac_f64_e32 v[50:51], v[92:93], v[70:71]
	v_fma_f64 v[0:1], -v[2:3], v[70:71], v[0:1]
	v_fmac_f64_e32 v[52:53], v[110:111], v[70:71]
	v_fma_f64 v[2:3], -v[20:21], v[70:71], v[18:19]
	v_fmac_f64_e32 v[48:49], v[116:117], v[70:71]
	v_fma_f64 v[6:7], -v[24:25], v[70:71], v[16:17]
	v_fmac_f64_e32 v[46:47], v[118:119], v[70:71]
	;; [unrolled: 17-line block ×4, first 2 shown]
	s_andn2_b64 exec, exec, s[16:17]
	s_cbranch_execnz .LBB171_19
; %bb.20:
	s_or_b64 exec, exec, s[16:17]
.LBB171_21:
	s_or_b64 exec, exec, s[14:15]
	v_cmp_lt_u64_e32 vcc, 23, v[8:9]
	s_and_saveexec_b64 s[2:3], vcc
	s_cbranch_execz .LBB171_25
; %bb.22:
	v_lshlrev_b64 v[0:1], 2, v[58:59]
	v_mov_b32_e32 v2, s13
	v_add_co_u32_e32 v0, vcc, s12, v0
	v_addc_co_u32_e32 v1, vcc, v1, v2, vcc
	v_add_co_u32_e32 v60, vcc, 64, v0
	v_addc_co_u32_e32 v61, vcc, 0, v1, vcc
	s_mov_b64 s[14:15], 0
	v_mov_b32_e32 v37, s5
	s_movk_i32 s16, 0x1000
.LBB171_23:                             ; =>This Inner Loop Header: Depth=1
	global_load_dword v0, v[60:61], off offset:-64
	global_load_dwordx4 v[22:25], v[56:57], off offset:48
	global_load_dwordx4 v[68:71], v[56:57], off offset:32
	;; [unrolled: 1-line block ×3, first 2 shown]
	global_load_dwordx4 v[72:75], v[56:57], off
	s_waitcnt vmcnt(4)
	v_subrev_u32_e32 v0, s20, v0
	v_lshlrev_b32_e32 v0, 2, v0
	v_ashrrev_i32_e32 v1, 31, v0
	v_lshlrev_b64 v[0:1], 4, v[0:1]
	v_add_co_u32_e32 v76, vcc, s4, v0
	v_addc_co_u32_e32 v77, vcc, v37, v1, vcc
	global_load_dwordx4 v[0:3], v[76:77], off offset:48
	global_load_dwordx4 v[4:7], v[76:77], off offset:32
	;; [unrolled: 1-line block ×3, first 2 shown]
	global_load_dwordx4 v[12:15], v[76:77], off
	s_waitcnt vmcnt(4)
	v_cvt_f64_f32_e32 v[26:27], v72
	v_cvt_f64_f32_e32 v[72:73], v73
	s_waitcnt vmcnt(0)
	v_fmac_f64_e32 v[64:65], v[26:27], v[12:13]
	v_fmac_f64_e32 v[50:51], v[72:73], v[12:13]
	v_fma_f64 v[64:65], -v[72:73], v[14:15], v[64:65]
	v_fmac_f64_e32 v[50:51], v[26:27], v[14:15]
	v_cvt_f64_f32_e32 v[26:27], v74
	v_cvt_f64_f32_e32 v[72:73], v75
	v_fmac_f64_e32 v[64:65], v[26:27], v[8:9]
	v_fmac_f64_e32 v[50:51], v[72:73], v[8:9]
	v_fma_f64 v[64:65], -v[72:73], v[10:11], v[64:65]
	v_fmac_f64_e32 v[50:51], v[26:27], v[10:11]
	v_cvt_f64_f32_e32 v[26:27], v18
	v_cvt_f64_f32_e32 v[18:19], v19
	;; [unrolled: 6-line block ×6, first 2 shown]
	v_fmac_f64_e32 v[64:65], v[18:19], v[4:5]
	v_fma_f64 v[26:27], -v[22:23], v[6:7], v[64:65]
	v_fmac_f64_e32 v[52:53], v[22:23], v[4:5]
	v_cvt_f64_f32_e32 v[22:23], v24
	v_fmac_f64_e32 v[52:53], v[18:19], v[6:7]
	v_cvt_f64_f32_e32 v[24:25], v25
	v_fmac_f64_e32 v[26:27], v[22:23], v[0:1]
	v_fma_f64 v[18:19], -v[24:25], v[2:3], v[26:27]
	v_fmac_f64_e32 v[52:53], v[24:25], v[0:1]
	global_load_dwordx4 v[24:27], v[56:57], off offset:112
	global_load_dwordx4 v[64:67], v[56:57], off offset:96
	;; [unrolled: 1-line block ×4, first 2 shown]
	v_fmac_f64_e32 v[52:53], v[22:23], v[2:3]
	s_waitcnt vmcnt(0)
	v_cvt_f64_f32_e32 v[22:23], v72
	v_cvt_f64_f32_e32 v[72:73], v73
	v_fmac_f64_e32 v[62:63], v[22:23], v[12:13]
	v_fmac_f64_e32 v[48:49], v[72:73], v[12:13]
	v_fma_f64 v[62:63], -v[72:73], v[14:15], v[62:63]
	v_fmac_f64_e32 v[48:49], v[22:23], v[14:15]
	v_cvt_f64_f32_e32 v[22:23], v74
	v_cvt_f64_f32_e32 v[72:73], v75
	v_fmac_f64_e32 v[62:63], v[22:23], v[8:9]
	v_fmac_f64_e32 v[48:49], v[72:73], v[8:9]
	v_fma_f64 v[62:63], -v[72:73], v[10:11], v[62:63]
	v_fmac_f64_e32 v[48:49], v[22:23], v[10:11]
	v_cvt_f64_f32_e32 v[22:23], v68
	v_cvt_f64_f32_e32 v[68:69], v69
	v_fmac_f64_e32 v[62:63], v[22:23], v[4:5]
	v_fma_f64 v[62:63], -v[68:69], v[6:7], v[62:63]
	v_fmac_f64_e32 v[48:49], v[68:69], v[4:5]
	v_cvt_f64_f32_e32 v[68:69], v70
	v_cvt_f64_f32_e32 v[70:71], v71
	v_fmac_f64_e32 v[62:63], v[68:69], v[0:1]
	v_fmac_f64_e32 v[48:49], v[22:23], v[6:7]
	v_fma_f64 v[22:23], -v[70:71], v[2:3], v[62:63]
	v_cvt_f64_f32_e32 v[62:63], v64
	v_cvt_f64_f32_e32 v[64:65], v65
	v_fmac_f64_e32 v[16:17], v[62:63], v[12:13]
	v_fmac_f64_e32 v[46:47], v[64:65], v[12:13]
	v_fma_f64 v[16:17], -v[64:65], v[14:15], v[16:17]
	v_fmac_f64_e32 v[46:47], v[62:63], v[14:15]
	v_cvt_f64_f32_e32 v[12:13], v66
	v_cvt_f64_f32_e32 v[14:15], v67
	v_fmac_f64_e32 v[16:17], v[12:13], v[8:9]
	v_fmac_f64_e32 v[46:47], v[14:15], v[8:9]
	v_fma_f64 v[16:17], -v[14:15], v[10:11], v[16:17]
	v_fmac_f64_e32 v[46:47], v[12:13], v[10:11]
	;; [unrolled: 6-line block ×3, first 2 shown]
	v_cvt_f64_f32_e32 v[4:5], v26
	v_cvt_f64_f32_e32 v[6:7], v27
	v_fmac_f64_e32 v[48:49], v[70:71], v[0:1]
	v_fmac_f64_e32 v[12:13], v[4:5], v[0:1]
	;; [unrolled: 1-line block ×3, first 2 shown]
	global_load_dword v0, v[60:61], off offset:-32
	v_fmac_f64_e32 v[48:49], v[68:69], v[2:3]
	v_fma_f64 v[12:13], -v[6:7], v[2:3], v[12:13]
	v_fmac_f64_e32 v[46:47], v[4:5], v[2:3]
	s_waitcnt vmcnt(0)
	v_subrev_u32_e32 v0, s20, v0
	v_lshlrev_b32_e32 v24, 2, v0
	v_ashrrev_i32_e32 v25, 31, v24
	v_lshlrev_b64 v[24:25], 4, v[24:25]
	v_add_co_u32_e32 v76, vcc, s4, v24
	global_load_dwordx4 v[0:3], v[56:57], off offset:1072
	global_load_dwordx4 v[4:7], v[56:57], off offset:1056
	;; [unrolled: 1-line block ×4, first 2 shown]
	v_addc_co_u32_e32 v77, vcc, v37, v25, vcc
	global_load_dwordx4 v[24:27], v[76:77], off offset:48
	global_load_dwordx4 v[62:65], v[76:77], off offset:32
	;; [unrolled: 1-line block ×3, first 2 shown]
	global_load_dwordx4 v[70:73], v[76:77], off
	s_waitcnt vmcnt(4)
	v_cvt_f64_f32_e32 v[74:75], v14
	v_cvt_f64_f32_e32 v[14:15], v15
	s_waitcnt vmcnt(0)
	v_fmac_f64_e32 v[20:21], v[74:75], v[70:71]
	v_fmac_f64_e32 v[50:51], v[14:15], v[70:71]
	v_fma_f64 v[20:21], -v[14:15], v[72:73], v[20:21]
	v_fmac_f64_e32 v[50:51], v[74:75], v[72:73]
	v_cvt_f64_f32_e32 v[14:15], v16
	v_cvt_f64_f32_e32 v[16:17], v17
	v_fmac_f64_e32 v[20:21], v[14:15], v[66:67]
	v_fmac_f64_e32 v[50:51], v[16:17], v[66:67]
	v_fma_f64 v[20:21], -v[16:17], v[68:69], v[20:21]
	v_fmac_f64_e32 v[50:51], v[14:15], v[68:69]
	v_cvt_f64_f32_e32 v[14:15], v8
	v_cvt_f64_f32_e32 v[8:9], v9
	v_fmac_f64_e32 v[20:21], v[14:15], v[62:63]
	v_fmac_f64_e32 v[50:51], v[8:9], v[62:63]
	v_fma_f64 v[16:17], -v[8:9], v[64:65], v[20:21]
	v_fmac_f64_e32 v[50:51], v[14:15], v[64:65]
	v_cvt_f64_f32_e32 v[14:15], v10
	v_cvt_f64_f32_e32 v[10:11], v11
	v_fmac_f64_e32 v[16:17], v[14:15], v[24:25]
	v_fma_f64 v[8:9], -v[10:11], v[26:27], v[16:17]
	v_fmac_f64_e32 v[50:51], v[10:11], v[24:25]
	v_cvt_f64_f32_e32 v[10:11], v4
	v_cvt_f64_f32_e32 v[4:5], v5
	v_fmac_f64_e32 v[18:19], v[10:11], v[70:71]
	v_fmac_f64_e32 v[52:53], v[4:5], v[70:71]
	;; [unrolled: 1-line block ×3, first 2 shown]
	v_fma_f64 v[14:15], -v[4:5], v[72:73], v[18:19]
	v_fmac_f64_e32 v[52:53], v[10:11], v[72:73]
	v_cvt_f64_f32_e32 v[4:5], v6
	v_cvt_f64_f32_e32 v[6:7], v7
	v_fmac_f64_e32 v[14:15], v[4:5], v[66:67]
	v_fmac_f64_e32 v[52:53], v[6:7], v[66:67]
	v_fma_f64 v[10:11], -v[6:7], v[68:69], v[14:15]
	v_fmac_f64_e32 v[52:53], v[4:5], v[68:69]
	v_cvt_f64_f32_e32 v[4:5], v0
	v_cvt_f64_f32_e32 v[0:1], v1
	v_fmac_f64_e32 v[10:11], v[4:5], v[62:63]
	v_fmac_f64_e32 v[52:53], v[0:1], v[62:63]
	;; [unrolled: 6-line block ×3, first 2 shown]
	v_fma_f64 v[76:77], -v[2:3], v[26:27], v[6:7]
	v_fmac_f64_e32 v[52:53], v[0:1], v[26:27]
	global_load_dwordx4 v[0:3], v[56:57], off offset:1136
	global_load_dwordx4 v[4:7], v[56:57], off offset:1120
	;; [unrolled: 1-line block ×4, first 2 shown]
	s_waitcnt vmcnt(0)
	v_cvt_f64_f32_e32 v[10:11], v18
	v_cvt_f64_f32_e32 v[18:19], v19
	v_fmac_f64_e32 v[22:23], v[10:11], v[70:71]
	v_fmac_f64_e32 v[48:49], v[18:19], v[70:71]
	v_fma_f64 v[22:23], -v[18:19], v[72:73], v[22:23]
	v_fmac_f64_e32 v[48:49], v[10:11], v[72:73]
	v_cvt_f64_f32_e32 v[10:11], v20
	v_cvt_f64_f32_e32 v[18:19], v21
	v_fmac_f64_e32 v[22:23], v[10:11], v[66:67]
	v_fmac_f64_e32 v[48:49], v[18:19], v[66:67]
	v_fma_f64 v[20:21], -v[18:19], v[68:69], v[22:23]
	v_fmac_f64_e32 v[48:49], v[10:11], v[68:69]
	;; [unrolled: 6-line block ×3, first 2 shown]
	v_cvt_f64_f32_e32 v[14:15], v17
	v_cvt_f64_f32_e32 v[10:11], v16
	v_fmac_f64_e32 v[48:49], v[14:15], v[24:25]
	v_fmac_f64_e32 v[18:19], v[10:11], v[24:25]
	;; [unrolled: 1-line block ×3, first 2 shown]
	v_cvt_f64_f32_e32 v[10:11], v4
	v_cvt_f64_f32_e32 v[4:5], v5
	v_fmac_f64_e32 v[12:13], v[10:11], v[70:71]
	v_fmac_f64_e32 v[46:47], v[4:5], v[70:71]
	v_fma_f64 v[12:13], -v[4:5], v[72:73], v[12:13]
	v_fmac_f64_e32 v[46:47], v[10:11], v[72:73]
	v_cvt_f64_f32_e32 v[4:5], v6
	v_cvt_f64_f32_e32 v[6:7], v7
	v_fmac_f64_e32 v[12:13], v[4:5], v[66:67]
	v_fmac_f64_e32 v[46:47], v[6:7], v[66:67]
	v_fma_f64 v[10:11], -v[6:7], v[68:69], v[12:13]
	v_fmac_f64_e32 v[46:47], v[4:5], v[68:69]
	;; [unrolled: 6-line block ×3, first 2 shown]
	v_cvt_f64_f32_e32 v[0:1], v2
	v_cvt_f64_f32_e32 v[2:3], v3
	v_fmac_f64_e32 v[46:47], v[2:3], v[24:25]
	v_fmac_f64_e32 v[6:7], v[0:1], v[24:25]
	;; [unrolled: 1-line block ×3, first 2 shown]
	global_load_dword v0, v[60:61], off
	v_fma_f64 v[78:79], -v[14:15], v[26:27], v[18:19]
	v_fma_f64 v[80:81], -v[2:3], v[26:27], v[6:7]
	s_waitcnt vmcnt(0)
	v_subrev_u32_e32 v0, s20, v0
	v_lshlrev_b32_e32 v18, 2, v0
	v_ashrrev_i32_e32 v19, 31, v18
	v_lshlrev_b64 v[18:19], 4, v[18:19]
	v_add_co_u32_e32 v62, vcc, s4, v18
	global_load_dwordx4 v[0:3], v[56:57], off offset:2096
	global_load_dwordx4 v[4:7], v[56:57], off offset:2080
	;; [unrolled: 1-line block ×4, first 2 shown]
	v_addc_co_u32_e32 v63, vcc, v37, v19, vcc
	global_load_dwordx4 v[18:21], v[62:63], off offset:48
	global_load_dwordx4 v[22:25], v[62:63], off offset:32
	;; [unrolled: 1-line block ×3, first 2 shown]
	global_load_dwordx4 v[72:75], v[62:63], off
	s_waitcnt vmcnt(4)
	v_cvt_f64_f32_e32 v[26:27], v14
	v_cvt_f64_f32_e32 v[14:15], v15
	s_waitcnt vmcnt(0)
	v_fmac_f64_e32 v[8:9], v[26:27], v[72:73]
	v_fmac_f64_e32 v[50:51], v[14:15], v[72:73]
	v_fma_f64 v[8:9], -v[14:15], v[74:75], v[8:9]
	v_fmac_f64_e32 v[50:51], v[26:27], v[74:75]
	v_cvt_f64_f32_e32 v[14:15], v16
	v_cvt_f64_f32_e32 v[16:17], v17
	v_fmac_f64_e32 v[8:9], v[14:15], v[68:69]
	v_fmac_f64_e32 v[50:51], v[16:17], v[68:69]
	v_fma_f64 v[8:9], -v[16:17], v[70:71], v[8:9]
	v_fmac_f64_e32 v[50:51], v[14:15], v[70:71]
	v_cvt_f64_f32_e32 v[14:15], v10
	v_cvt_f64_f32_e32 v[10:11], v11
	v_fmac_f64_e32 v[8:9], v[14:15], v[22:23]
	v_fma_f64 v[8:9], -v[10:11], v[24:25], v[8:9]
	v_fmac_f64_e32 v[50:51], v[10:11], v[22:23]
	v_cvt_f64_f32_e32 v[10:11], v12
	v_cvt_f64_f32_e32 v[12:13], v13
	v_fmac_f64_e32 v[8:9], v[10:11], v[18:19]
	v_fmac_f64_e32 v[50:51], v[14:15], v[24:25]
	v_fma_f64 v[64:65], -v[12:13], v[20:21], v[8:9]
	v_cvt_f64_f32_e32 v[8:9], v4
	v_cvt_f64_f32_e32 v[4:5], v5
	v_fmac_f64_e32 v[50:51], v[12:13], v[18:19]
	v_fmac_f64_e32 v[76:77], v[8:9], v[72:73]
	;; [unrolled: 1-line block ×4, first 2 shown]
	v_fma_f64 v[10:11], -v[4:5], v[74:75], v[76:77]
	v_fmac_f64_e32 v[52:53], v[8:9], v[74:75]
	v_cvt_f64_f32_e32 v[4:5], v6
	v_cvt_f64_f32_e32 v[6:7], v7
	v_fmac_f64_e32 v[10:11], v[4:5], v[68:69]
	v_fmac_f64_e32 v[52:53], v[6:7], v[68:69]
	v_fma_f64 v[8:9], -v[6:7], v[70:71], v[10:11]
	v_fmac_f64_e32 v[52:53], v[4:5], v[70:71]
	v_cvt_f64_f32_e32 v[4:5], v0
	v_cvt_f64_f32_e32 v[0:1], v1
	v_fmac_f64_e32 v[8:9], v[4:5], v[22:23]
	v_fmac_f64_e32 v[52:53], v[0:1], v[22:23]
	;; [unrolled: 6-line block ×3, first 2 shown]
	v_fma_f64 v[66:67], -v[2:3], v[20:21], v[6:7]
	v_fmac_f64_e32 v[52:53], v[0:1], v[20:21]
	global_load_dwordx4 v[0:3], v[56:57], off offset:2160
	global_load_dwordx4 v[4:7], v[56:57], off offset:2144
	;; [unrolled: 1-line block ×4, first 2 shown]
	s_waitcnt vmcnt(0)
	v_cvt_f64_f32_e32 v[16:17], v12
	v_cvt_f64_f32_e32 v[12:13], v13
	v_fmac_f64_e32 v[78:79], v[16:17], v[72:73]
	v_fmac_f64_e32 v[48:49], v[12:13], v[72:73]
	v_fma_f64 v[26:27], -v[12:13], v[74:75], v[78:79]
	v_fmac_f64_e32 v[48:49], v[16:17], v[74:75]
	v_cvt_f64_f32_e32 v[12:13], v14
	v_cvt_f64_f32_e32 v[14:15], v15
	v_fmac_f64_e32 v[26:27], v[12:13], v[68:69]
	v_fmac_f64_e32 v[48:49], v[14:15], v[68:69]
	v_fma_f64 v[16:17], -v[14:15], v[70:71], v[26:27]
	v_fmac_f64_e32 v[48:49], v[12:13], v[70:71]
	;; [unrolled: 6-line block ×3, first 2 shown]
	v_cvt_f64_f32_e32 v[8:9], v10
	v_cvt_f64_f32_e32 v[10:11], v11
	v_fmac_f64_e32 v[48:49], v[10:11], v[18:19]
	v_fmac_f64_e32 v[14:15], v[8:9], v[18:19]
	;; [unrolled: 1-line block ×3, first 2 shown]
	v_cvt_f64_f32_e32 v[8:9], v4
	v_cvt_f64_f32_e32 v[4:5], v5
	v_fmac_f64_e32 v[80:81], v[8:9], v[72:73]
	v_fmac_f64_e32 v[46:47], v[4:5], v[72:73]
	v_fma_f64 v[62:63], -v[10:11], v[20:21], v[14:15]
	v_fma_f64 v[10:11], -v[4:5], v[74:75], v[80:81]
	v_fmac_f64_e32 v[46:47], v[8:9], v[74:75]
	v_cvt_f64_f32_e32 v[4:5], v6
	v_cvt_f64_f32_e32 v[6:7], v7
	v_fmac_f64_e32 v[10:11], v[4:5], v[68:69]
	v_fmac_f64_e32 v[46:47], v[6:7], v[68:69]
	v_fma_f64 v[8:9], -v[6:7], v[70:71], v[10:11]
	v_fmac_f64_e32 v[46:47], v[4:5], v[70:71]
	v_cvt_f64_f32_e32 v[4:5], v0
	v_cvt_f64_f32_e32 v[0:1], v1
	v_fmac_f64_e32 v[8:9], v[4:5], v[22:23]
	v_fmac_f64_e32 v[46:47], v[0:1], v[22:23]
	;; [unrolled: 6-line block ×3, first 2 shown]
	v_fmac_f64_e32 v[46:47], v[0:1], v[20:21]
	global_load_dword v0, v[60:61], off offset:32
	v_fma_f64 v[68:69], -v[2:3], v[20:21], v[6:7]
	s_waitcnt vmcnt(0)
	v_subrev_u32_e32 v0, s20, v0
	v_lshlrev_b32_e32 v12, 2, v0
	v_ashrrev_i32_e32 v13, 31, v12
	v_lshlrev_b64 v[12:13], 4, v[12:13]
	v_add_co_u32_e32 v76, vcc, s4, v12
	global_load_dwordx4 v[0:3], v[56:57], off offset:3120
	global_load_dwordx4 v[4:7], v[56:57], off offset:3104
	;; [unrolled: 1-line block ×4, first 2 shown]
	v_addc_co_u32_e32 v77, vcc, v37, v13, vcc
	global_load_dwordx4 v[12:15], v[76:77], off offset:48
	global_load_dwordx4 v[16:19], v[76:77], off offset:32
	;; [unrolled: 1-line block ×3, first 2 shown]
	global_load_dwordx4 v[24:27], v[76:77], off
	s_waitcnt vmcnt(4)
	v_cvt_f64_f32_e32 v[74:75], v70
	v_cvt_f64_f32_e32 v[70:71], v71
	s_waitcnt vmcnt(0)
	v_fmac_f64_e32 v[64:65], v[74:75], v[24:25]
	v_fmac_f64_e32 v[50:51], v[70:71], v[24:25]
	v_fma_f64 v[64:65], -v[70:71], v[26:27], v[64:65]
	v_fmac_f64_e32 v[50:51], v[74:75], v[26:27]
	v_cvt_f64_f32_e32 v[70:71], v72
	v_cvt_f64_f32_e32 v[72:73], v73
	v_fmac_f64_e32 v[64:65], v[70:71], v[20:21]
	v_fmac_f64_e32 v[50:51], v[72:73], v[20:21]
	v_fma_f64 v[64:65], -v[72:73], v[22:23], v[64:65]
	v_fmac_f64_e32 v[50:51], v[70:71], v[22:23]
	v_cvt_f64_f32_e32 v[70:71], v8
	v_cvt_f64_f32_e32 v[8:9], v9
	;; [unrolled: 6-line block ×3, first 2 shown]
	v_fmac_f64_e32 v[50:51], v[10:11], v[12:13]
	v_fmac_f64_e32 v[64:65], v[8:9], v[12:13]
	;; [unrolled: 1-line block ×3, first 2 shown]
	v_cvt_f64_f32_e32 v[8:9], v4
	v_cvt_f64_f32_e32 v[4:5], v5
	v_fmac_f64_e32 v[66:67], v[8:9], v[24:25]
	v_fmac_f64_e32 v[52:53], v[4:5], v[24:25]
	v_fma_f64 v[64:65], -v[10:11], v[14:15], v[64:65]
	v_fma_f64 v[10:11], -v[4:5], v[26:27], v[66:67]
	v_fmac_f64_e32 v[52:53], v[8:9], v[26:27]
	v_cvt_f64_f32_e32 v[4:5], v6
	v_cvt_f64_f32_e32 v[6:7], v7
	v_fmac_f64_e32 v[10:11], v[4:5], v[20:21]
	v_fmac_f64_e32 v[52:53], v[6:7], v[20:21]
	v_fma_f64 v[8:9], -v[6:7], v[22:23], v[10:11]
	v_fmac_f64_e32 v[52:53], v[4:5], v[22:23]
	v_cvt_f64_f32_e32 v[4:5], v0
	v_cvt_f64_f32_e32 v[0:1], v1
	v_fmac_f64_e32 v[8:9], v[4:5], v[16:17]
	v_fmac_f64_e32 v[52:53], v[0:1], v[16:17]
	v_fma_f64 v[6:7], -v[0:1], v[18:19], v[8:9]
	v_fmac_f64_e32 v[52:53], v[4:5], v[18:19]
	v_cvt_f64_f32_e32 v[0:1], v2
	v_cvt_f64_f32_e32 v[2:3], v3
	v_fmac_f64_e32 v[6:7], v[0:1], v[12:13]
	v_fmac_f64_e32 v[52:53], v[2:3], v[12:13]
	v_fma_f64 v[66:67], -v[2:3], v[14:15], v[6:7]
	v_fmac_f64_e32 v[52:53], v[0:1], v[14:15]
	global_load_dwordx4 v[0:3], v[56:57], off offset:3184
	global_load_dwordx4 v[4:7], v[56:57], off offset:3168
	global_load_dwordx4 v[8:11], v[56:57], off offset:3152
	global_load_dwordx4 v[70:73], v[56:57], off offset:3136
	v_add_co_u32_e32 v56, vcc, s16, v56
	v_addc_co_u32_e32 v57, vcc, 0, v57, vcc
	v_add_co_u32_e32 v58, vcc, 32, v58
	v_addc_co_u32_e32 v59, vcc, 0, v59, vcc
	;; [unrolled: 2-line block ×3, first 2 shown]
	v_cmp_ge_i64_e32 vcc, v[58:59], v[42:43]
	s_or_b64 s[14:15], vcc, s[14:15]
	s_waitcnt vmcnt(0)
	v_cvt_f64_f32_e32 v[74:75], v70
	v_cvt_f64_f32_e32 v[70:71], v71
	v_fmac_f64_e32 v[62:63], v[74:75], v[24:25]
	v_fmac_f64_e32 v[48:49], v[70:71], v[24:25]
	v_fma_f64 v[62:63], -v[70:71], v[26:27], v[62:63]
	v_fmac_f64_e32 v[48:49], v[74:75], v[26:27]
	v_cvt_f64_f32_e32 v[70:71], v72
	v_cvt_f64_f32_e32 v[72:73], v73
	v_fmac_f64_e32 v[62:63], v[70:71], v[20:21]
	v_fmac_f64_e32 v[48:49], v[72:73], v[20:21]
	v_fma_f64 v[62:63], -v[72:73], v[22:23], v[62:63]
	v_fmac_f64_e32 v[48:49], v[70:71], v[22:23]
	;; [unrolled: 6-line block ×3, first 2 shown]
	v_cvt_f64_f32_e32 v[8:9], v10
	v_cvt_f64_f32_e32 v[10:11], v11
	v_fmac_f64_e32 v[48:49], v[10:11], v[12:13]
	v_fmac_f64_e32 v[62:63], v[8:9], v[12:13]
	;; [unrolled: 1-line block ×3, first 2 shown]
	v_cvt_f64_f32_e32 v[8:9], v4
	v_cvt_f64_f32_e32 v[4:5], v5
	v_fmac_f64_e32 v[68:69], v[8:9], v[24:25]
	v_fmac_f64_e32 v[46:47], v[4:5], v[24:25]
	v_fma_f64 v[62:63], -v[10:11], v[14:15], v[62:63]
	v_fma_f64 v[10:11], -v[4:5], v[26:27], v[68:69]
	v_fmac_f64_e32 v[46:47], v[8:9], v[26:27]
	v_cvt_f64_f32_e32 v[4:5], v6
	v_cvt_f64_f32_e32 v[6:7], v7
	v_fmac_f64_e32 v[10:11], v[4:5], v[20:21]
	v_fmac_f64_e32 v[46:47], v[6:7], v[20:21]
	v_fma_f64 v[8:9], -v[6:7], v[22:23], v[10:11]
	v_fmac_f64_e32 v[46:47], v[4:5], v[22:23]
	v_cvt_f64_f32_e32 v[4:5], v0
	v_cvt_f64_f32_e32 v[0:1], v1
	v_fmac_f64_e32 v[8:9], v[4:5], v[16:17]
	v_fmac_f64_e32 v[46:47], v[0:1], v[16:17]
	;; [unrolled: 6-line block ×3, first 2 shown]
	v_fma_f64 v[16:17], -v[2:3], v[14:15], v[6:7]
	v_fmac_f64_e32 v[46:47], v[0:1], v[14:15]
	s_andn2_b64 exec, exec, s[14:15]
	s_cbranch_execnz .LBB171_23
; %bb.24:
	s_or_b64 exec, exec, s[14:15]
.LBB171_25:
	s_or_b64 exec, exec, s[2:3]
.LBB171_26:
	s_or_b64 exec, exec, s[10:11]
	s_andn2_b64 vcc, exec, s[8:9]
	s_cbranch_vccz .LBB171_28
	s_branch .LBB171_39
.LBB171_27:
                                        ; implicit-def: $vgpr50_vgpr51
                                        ; implicit-def: $vgpr64_vgpr65
                                        ; implicit-def: $vgpr52_vgpr53
                                        ; implicit-def: $vgpr66_vgpr67
                                        ; implicit-def: $vgpr48_vgpr49
                                        ; implicit-def: $vgpr62_vgpr63
                                        ; implicit-def: $vgpr46_vgpr47
                                        ; implicit-def: $vgpr16_vgpr17
.LBB171_28:
	v_pk_mov_b32 v[50:51], 0, 0
	v_pk_mov_b32 v[64:65], v[50:51], v[50:51] op_sel:[0,1]
	v_pk_mov_b32 v[52:53], v[50:51], v[50:51] op_sel:[0,1]
	;; [unrolled: 1-line block ×7, first 2 shown]
	s_and_saveexec_b64 s[2:3], s[0:1]
	s_cbranch_execz .LBB171_38
; %bb.29:
	v_or_b32_e32 v0, 8, v38
	v_mov_b32_e32 v1, s18
	v_subrev_co_u32_e32 v0, vcc, s20, v0
	v_subb_co_u32_e32 v1, vcc, 0, v1, vcc
	v_add_co_u32_e32 v0, vcc, v0, v54
	v_addc_co_u32_e32 v1, vcc, v1, v55, vcc
	v_cmp_gt_i64_e32 vcc, v[0:1], v[42:43]
	v_cndmask_b32_e32 v1, v43, v1, vcc
	v_cndmask_b32_e32 v0, v42, v0, vcc
	v_mov_b32_e32 v4, s18
	v_sub_co_u32_e32 v5, vcc, s20, v38
	v_not_b32_e32 v3, v54
	v_subbrev_co_u32_e32 v4, vcc, 0, v4, vcc
	v_not_b32_e32 v2, v55
	v_add_co_u32_e32 v3, vcc, v5, v3
	v_addc_co_u32_e32 v2, vcc, v4, v2, vcc
	v_add_co_u32_e32 v18, vcc, v3, v0
	v_lshrrev_b32_e32 v0, 3, v18
	v_add_u32_e32 v0, 1, v0
	v_addc_co_u32_e32 v19, vcc, v2, v1, vcc
	v_and_b32_e32 v0, 3, v0
	v_pk_mov_b32 v[16:17], 0, 0
	v_cmp_ne_u32_e32 vcc, 0, v0
	s_mov_b64 s[10:11], 0
	v_pk_mov_b32 v[46:47], v[16:17], v[16:17] op_sel:[0,1]
	v_pk_mov_b32 v[62:63], v[16:17], v[16:17] op_sel:[0,1]
	;; [unrolled: 1-line block ×7, first 2 shown]
	s_and_saveexec_b64 s[8:9], vcc
	s_cbranch_execz .LBB171_33
; %bb.30:
	v_lshlrev_b64 v[2:3], 2, v[40:41]
	v_mov_b32_e32 v1, s13
	v_add_co_u32_e32 v22, vcc, s12, v2
	v_pk_mov_b32 v[50:51], 0, 0
	v_mov_b32_e32 v21, 0
	v_addc_co_u32_e32 v23, vcc, v1, v3, vcc
	v_lshlrev_b32_e32 v20, 2, v0
	s_movk_i32 s14, 0x400
	v_mov_b32_e32 v24, s5
	v_pk_mov_b32 v[64:65], v[50:51], v[50:51] op_sel:[0,1]
	v_pk_mov_b32 v[52:53], v[50:51], v[50:51] op_sel:[0,1]
	;; [unrolled: 1-line block ×7, first 2 shown]
.LBB171_31:                             ; =>This Inner Loop Header: Depth=1
	global_load_dword v25, v[22:23], off
	global_load_dwordx4 v[12:15], v[44:45], off
	global_load_dwordx4 v[8:11], v[44:45], off offset:16
	global_load_dwordx4 v[4:7], v[44:45], off offset:32
	;; [unrolled: 1-line block ×7, first 2 shown]
	v_add_co_u32_e64 v40, s[0:1], 8, v40
	v_addc_co_u32_e64 v41, s[0:1], 0, v41, s[0:1]
	v_add_co_u32_e64 v22, s[0:1], 32, v22
	v_addc_co_u32_e64 v23, s[0:1], 0, v23, s[0:1]
	v_add_co_u32_e32 v44, vcc, s14, v44
	v_add_co_u32_e64 v20, s[0:1], -4, v20
	v_addc_co_u32_e64 v21, s[0:1], -1, v21, s[0:1]
	v_addc_co_u32_e32 v45, vcc, 0, v45, vcc
	v_cmp_eq_u64_e32 vcc, 0, v[20:21]
	s_or_b64 s[10:11], vcc, s[10:11]
	s_waitcnt vmcnt(8)
	v_subrev_u32_e32 v25, s20, v25
	s_waitcnt vmcnt(7)
	v_cvt_f64_f32_e32 v[26:27], v12
	v_cvt_f64_f32_e32 v[80:81], v13
	s_waitcnt vmcnt(5)
	v_cvt_f64_f32_e32 v[94:95], v4
	v_lshlrev_b32_e32 v4, 2, v25
	v_cvt_f64_f32_e32 v[96:97], v5
	v_ashrrev_i32_e32 v5, 31, v4
	v_lshlrev_b64 v[4:5], 4, v[4:5]
	v_add_co_u32_e32 v106, vcc, s4, v4
	v_addc_co_u32_e32 v107, vcc, v24, v5, vcc
	v_cvt_f64_f32_e32 v[82:83], v14
	v_cvt_f64_f32_e32 v[84:85], v15
	;; [unrolled: 1-line block ×8, first 2 shown]
	global_load_dwordx4 v[4:7], v[106:107], off
	global_load_dwordx4 v[8:11], v[106:107], off offset:16
	global_load_dwordx4 v[12:15], v[106:107], off offset:32
	;; [unrolled: 1-line block ×3, first 2 shown]
	s_waitcnt vmcnt(8)
	v_cvt_f64_f32_e32 v[102:103], v0
	v_cvt_f64_f32_e32 v[0:1], v1
	v_cvt_f64_f32_e32 v[104:105], v2
	v_cvt_f64_f32_e32 v[2:3], v3
	s_waitcnt vmcnt(7)
	v_cvt_f64_f32_e32 v[106:107], v54
	v_cvt_f64_f32_e32 v[54:55], v55
	v_cvt_f64_f32_e32 v[108:109], v56
	v_cvt_f64_f32_e32 v[56:57], v57
	s_waitcnt vmcnt(6)
	v_cvt_f64_f32_e32 v[110:111], v58
	v_cvt_f64_f32_e32 v[58:59], v59
	v_cvt_f64_f32_e32 v[112:113], v60
	v_cvt_f64_f32_e32 v[60:61], v61
	s_waitcnt vmcnt(5)
	v_cvt_f64_f32_e32 v[114:115], v68
	v_cvt_f64_f32_e32 v[68:69], v69
	v_cvt_f64_f32_e32 v[116:117], v70
	v_cvt_f64_f32_e32 v[70:71], v71
	s_waitcnt vmcnt(4)
	v_cvt_f64_f32_e32 v[118:119], v72
	v_cvt_f64_f32_e32 v[72:73], v73
	v_cvt_f64_f32_e32 v[120:121], v74
	v_cvt_f64_f32_e32 v[74:75], v75
	s_waitcnt vmcnt(3)
	v_fmac_f64_e32 v[64:65], v[26:27], v[4:5]
	v_fmac_f64_e32 v[50:51], v[80:81], v[4:5]
	v_fmac_f64_e32 v[66:67], v[82:83], v[4:5]
	v_fmac_f64_e32 v[52:53], v[84:85], v[4:5]
	v_fmac_f64_e32 v[62:63], v[86:87], v[4:5]
	v_fmac_f64_e32 v[48:49], v[88:89], v[4:5]
	v_fmac_f64_e32 v[16:17], v[90:91], v[4:5]
	v_fmac_f64_e32 v[46:47], v[92:93], v[4:5]
	v_fma_f64 v[4:5], -v[80:81], v[6:7], v[64:65]
	v_fmac_f64_e32 v[50:51], v[26:27], v[6:7]
	v_fma_f64 v[26:27], -v[84:85], v[6:7], v[66:67]
	v_fmac_f64_e32 v[52:53], v[82:83], v[6:7]
	v_fma_f64 v[62:63], -v[88:89], v[6:7], v[62:63]
	v_fmac_f64_e32 v[48:49], v[86:87], v[6:7]
	v_fma_f64 v[16:17], -v[92:93], v[6:7], v[16:17]
	v_fmac_f64_e32 v[46:47], v[90:91], v[6:7]
	s_waitcnt vmcnt(2)
	v_fmac_f64_e32 v[4:5], v[94:95], v[8:9]
	v_fmac_f64_e32 v[50:51], v[96:97], v[8:9]
	v_fmac_f64_e32 v[26:27], v[98:99], v[8:9]
	v_fmac_f64_e32 v[52:53], v[100:101], v[8:9]
	v_fmac_f64_e32 v[62:63], v[102:103], v[8:9]
	v_fmac_f64_e32 v[48:49], v[0:1], v[8:9]
	v_fmac_f64_e32 v[16:17], v[104:105], v[8:9]
	v_fmac_f64_e32 v[46:47], v[2:3], v[8:9]
	v_fma_f64 v[4:5], -v[96:97], v[10:11], v[4:5]
	v_fmac_f64_e32 v[50:51], v[94:95], v[10:11]
	v_fma_f64 v[6:7], -v[100:101], v[10:11], v[26:27]
	v_fmac_f64_e32 v[52:53], v[98:99], v[10:11]
	v_fma_f64 v[0:1], -v[0:1], v[10:11], v[62:63]
	v_fmac_f64_e32 v[48:49], v[102:103], v[10:11]
	v_fma_f64 v[2:3], -v[2:3], v[10:11], v[16:17]
	v_fmac_f64_e32 v[46:47], v[104:105], v[10:11]
	;; [unrolled: 17-line block ×4, first 2 shown]
	s_andn2_b64 exec, exec, s[10:11]
	s_cbranch_execnz .LBB171_31
; %bb.32:
	s_or_b64 exec, exec, s[10:11]
.LBB171_33:
	s_or_b64 exec, exec, s[8:9]
	v_cmp_lt_u64_e32 vcc, 23, v[18:19]
	s_and_saveexec_b64 s[0:1], vcc
	s_cbranch_execz .LBB171_37
; %bb.34:
	v_lshlrev_b64 v[0:1], 2, v[40:41]
	v_mov_b32_e32 v2, s13
	v_add_co_u32_e32 v0, vcc, s12, v0
	v_addc_co_u32_e32 v1, vcc, v1, v2, vcc
	v_add_co_u32_e32 v20, vcc, 64, v0
	v_addc_co_u32_e32 v21, vcc, 0, v1, vcc
	s_mov_b64 s[8:9], 0
	v_mov_b32_e32 v37, s5
	s_movk_i32 s5, 0x1000
.LBB171_35:                             ; =>This Inner Loop Header: Depth=1
	global_load_dword v0, v[20:21], off offset:-64
	global_load_dwordx4 v[8:11], v[44:45], off offset:48
	global_load_dwordx4 v[12:15], v[44:45], off offset:32
	;; [unrolled: 1-line block ×3, first 2 shown]
	global_load_dwordx4 v[54:57], v[44:45], off
	s_waitcnt vmcnt(4)
	v_subrev_u32_e32 v0, s20, v0
	v_lshlrev_b32_e32 v0, 2, v0
	v_ashrrev_i32_e32 v1, 31, v0
	v_lshlrev_b64 v[0:1], 4, v[0:1]
	s_waitcnt vmcnt(0)
	v_cvt_f64_f32_e32 v[18:19], v54
	v_add_co_u32_e32 v54, vcc, s4, v0
	v_cvt_f64_f32_e32 v[26:27], v55
	v_addc_co_u32_e32 v55, vcc, v37, v1, vcc
	global_load_dwordx4 v[0:3], v[54:55], off offset:48
	global_load_dwordx4 v[4:7], v[54:55], off offset:32
	;; [unrolled: 1-line block ×3, first 2 shown]
	global_load_dwordx4 v[68:71], v[54:55], off
	s_waitcnt vmcnt(0)
	v_fmac_f64_e32 v[64:65], v[18:19], v[68:69]
	v_fma_f64 v[54:55], -v[26:27], v[70:71], v[64:65]
	v_fmac_f64_e32 v[50:51], v[26:27], v[68:69]
	v_cvt_f64_f32_e32 v[26:27], v57
	v_fmac_f64_e32 v[50:51], v[18:19], v[70:71]
	v_cvt_f64_f32_e32 v[18:19], v56
	v_fmac_f64_e32 v[52:53], v[26:27], v[68:69]
	v_fmac_f64_e32 v[66:67], v[18:19], v[68:69]
	;; [unrolled: 1-line block ×3, first 2 shown]
	v_cvt_f64_f32_e32 v[18:19], v22
	v_cvt_f64_f32_e32 v[22:23], v23
	v_fmac_f64_e32 v[62:63], v[18:19], v[68:69]
	v_fma_f64 v[56:57], -v[26:27], v[70:71], v[66:67]
	v_fma_f64 v[26:27], -v[22:23], v[70:71], v[62:63]
	v_fmac_f64_e32 v[48:49], v[22:23], v[68:69]
	v_cvt_f64_f32_e32 v[22:23], v25
	v_fmac_f64_e32 v[48:49], v[18:19], v[70:71]
	v_cvt_f64_f32_e32 v[18:19], v24
	v_fmac_f64_e32 v[46:47], v[22:23], v[68:69]
	v_fmac_f64_e32 v[16:17], v[18:19], v[68:69]
	;; [unrolled: 1-line block ×3, first 2 shown]
	v_cvt_f64_f32_e32 v[18:19], v12
	v_cvt_f64_f32_e32 v[12:13], v13
	v_fmac_f64_e32 v[54:55], v[18:19], v[58:59]
	v_fma_f64 v[54:55], -v[12:13], v[60:61], v[54:55]
	v_fmac_f64_e32 v[50:51], v[12:13], v[58:59]
	v_cvt_f64_f32_e32 v[12:13], v14
	v_cvt_f64_f32_e32 v[14:15], v15
	v_fmac_f64_e32 v[52:53], v[14:15], v[58:59]
	v_fmac_f64_e32 v[56:57], v[12:13], v[58:59]
	;; [unrolled: 1-line block ×3, first 2 shown]
	v_cvt_f64_f32_e32 v[12:13], v8
	v_cvt_f64_f32_e32 v[8:9], v9
	v_fmac_f64_e32 v[26:27], v[12:13], v[58:59]
	v_fma_f64 v[16:17], -v[22:23], v[70:71], v[16:17]
	v_fma_f64 v[26:27], -v[8:9], v[60:61], v[26:27]
	v_fmac_f64_e32 v[48:49], v[8:9], v[58:59]
	v_cvt_f64_f32_e32 v[8:9], v10
	v_cvt_f64_f32_e32 v[10:11], v11
	v_fmac_f64_e32 v[16:17], v[8:9], v[58:59]
	v_fmac_f64_e32 v[46:47], v[10:11], v[58:59]
	;; [unrolled: 1-line block ×3, first 2 shown]
	v_fma_f64 v[56:57], -v[14:15], v[60:61], v[56:57]
	v_fmac_f64_e32 v[48:49], v[12:13], v[60:61]
	v_fma_f64 v[62:63], -v[10:11], v[60:61], v[16:17]
	v_fmac_f64_e32 v[46:47], v[8:9], v[60:61]
	global_load_dwordx4 v[8:11], v[44:45], off offset:112
	global_load_dwordx4 v[12:15], v[44:45], off offset:96
	;; [unrolled: 1-line block ×4, first 2 shown]
	s_waitcnt vmcnt(0)
	v_cvt_f64_f32_e32 v[58:59], v22
	v_cvt_f64_f32_e32 v[22:23], v23
	v_fmac_f64_e32 v[54:55], v[58:59], v[4:5]
	v_fma_f64 v[54:55], -v[22:23], v[6:7], v[54:55]
	v_fmac_f64_e32 v[50:51], v[22:23], v[4:5]
	v_cvt_f64_f32_e32 v[22:23], v24
	v_cvt_f64_f32_e32 v[24:25], v25
	v_fmac_f64_e32 v[52:53], v[24:25], v[4:5]
	v_fmac_f64_e32 v[56:57], v[22:23], v[4:5]
	;; [unrolled: 1-line block ×3, first 2 shown]
	v_cvt_f64_f32_e32 v[22:23], v16
	v_cvt_f64_f32_e32 v[16:17], v17
	v_fmac_f64_e32 v[26:27], v[22:23], v[4:5]
	v_fma_f64 v[56:57], -v[24:25], v[6:7], v[56:57]
	v_fma_f64 v[24:25], -v[16:17], v[6:7], v[26:27]
	v_fmac_f64_e32 v[48:49], v[16:17], v[4:5]
	v_cvt_f64_f32_e32 v[16:17], v18
	v_cvt_f64_f32_e32 v[18:19], v19
	v_fmac_f64_e32 v[62:63], v[16:17], v[4:5]
	v_fmac_f64_e32 v[46:47], v[18:19], v[4:5]
	;; [unrolled: 1-line block ×4, first 2 shown]
	v_fma_f64 v[22:23], -v[18:19], v[6:7], v[62:63]
	v_fmac_f64_e32 v[46:47], v[16:17], v[6:7]
	v_cvt_f64_f32_e32 v[4:5], v12
	v_cvt_f64_f32_e32 v[6:7], v13
	v_fmac_f64_e32 v[54:55], v[4:5], v[0:1]
	v_fmac_f64_e32 v[50:51], v[6:7], v[0:1]
	v_fma_f64 v[18:19], -v[6:7], v[2:3], v[54:55]
	v_fmac_f64_e32 v[50:51], v[4:5], v[2:3]
	v_cvt_f64_f32_e32 v[4:5], v14
	v_cvt_f64_f32_e32 v[6:7], v15
	v_fmac_f64_e32 v[56:57], v[4:5], v[0:1]
	v_fmac_f64_e32 v[52:53], v[6:7], v[0:1]
	;; [unrolled: 6-line block ×4, first 2 shown]
	global_load_dword v0, v[20:21], off offset:-32
	v_fma_f64 v[12:13], -v[6:7], v[2:3], v[22:23]
	v_fmac_f64_e32 v[46:47], v[4:5], v[2:3]
	s_waitcnt vmcnt(0)
	v_subrev_u32_e32 v0, s20, v0
	v_lshlrev_b32_e32 v26, 2, v0
	v_ashrrev_i32_e32 v27, 31, v26
	v_lshlrev_b64 v[26:27], 4, v[26:27]
	v_add_co_u32_e32 v26, vcc, s4, v26
	global_load_dwordx4 v[0:3], v[44:45], off offset:1072
	global_load_dwordx4 v[4:7], v[44:45], off offset:1056
	;; [unrolled: 1-line block ×4, first 2 shown]
	v_addc_co_u32_e32 v27, vcc, v37, v27, vcc
	global_load_dwordx4 v[54:57], v[26:27], off offset:48
	global_load_dwordx4 v[58:61], v[26:27], off offset:32
	;; [unrolled: 1-line block ×3, first 2 shown]
	global_load_dwordx4 v[66:69], v[26:27], off
	s_waitcnt vmcnt(4)
	v_cvt_f64_f32_e32 v[70:71], v22
	v_cvt_f64_f32_e32 v[22:23], v23
	s_waitcnt vmcnt(0)
	v_fmac_f64_e32 v[18:19], v[70:71], v[66:67]
	v_fma_f64 v[18:19], -v[22:23], v[68:69], v[18:19]
	v_fmac_f64_e32 v[50:51], v[22:23], v[66:67]
	v_cvt_f64_f32_e32 v[22:23], v24
	v_cvt_f64_f32_e32 v[24:25], v25
	v_fmac_f64_e32 v[52:53], v[24:25], v[66:67]
	v_fmac_f64_e32 v[16:17], v[22:23], v[66:67]
	;; [unrolled: 1-line block ×3, first 2 shown]
	v_cvt_f64_f32_e32 v[22:23], v8
	v_cvt_f64_f32_e32 v[8:9], v9
	v_fmac_f64_e32 v[14:15], v[22:23], v[66:67]
	v_fma_f64 v[14:15], -v[8:9], v[68:69], v[14:15]
	v_fmac_f64_e32 v[48:49], v[8:9], v[66:67]
	v_cvt_f64_f32_e32 v[8:9], v10
	v_cvt_f64_f32_e32 v[10:11], v11
	v_fmac_f64_e32 v[46:47], v[10:11], v[66:67]
	v_fmac_f64_e32 v[12:13], v[8:9], v[66:67]
	;; [unrolled: 1-line block ×3, first 2 shown]
	v_cvt_f64_f32_e32 v[8:9], v4
	v_fmac_f64_e32 v[50:51], v[70:71], v[68:69]
	v_cvt_f64_f32_e32 v[4:5], v5
	v_fmac_f64_e32 v[18:19], v[8:9], v[62:63]
	v_fma_f64 v[18:19], -v[4:5], v[64:65], v[18:19]
	v_fmac_f64_e32 v[50:51], v[4:5], v[62:63]
	v_cvt_f64_f32_e32 v[4:5], v6
	v_cvt_f64_f32_e32 v[6:7], v7
	v_fma_f64 v[16:17], -v[24:25], v[68:69], v[16:17]
	v_fmac_f64_e32 v[52:53], v[6:7], v[62:63]
	v_fmac_f64_e32 v[16:17], v[4:5], v[62:63]
	;; [unrolled: 1-line block ×3, first 2 shown]
	v_cvt_f64_f32_e32 v[4:5], v0
	v_fmac_f64_e32 v[48:49], v[22:23], v[68:69]
	v_cvt_f64_f32_e32 v[0:1], v1
	v_fmac_f64_e32 v[14:15], v[4:5], v[62:63]
	v_fma_f64 v[12:13], -v[10:11], v[68:69], v[12:13]
	v_fma_f64 v[22:23], -v[0:1], v[64:65], v[14:15]
	v_fmac_f64_e32 v[48:49], v[0:1], v[62:63]
	v_cvt_f64_f32_e32 v[0:1], v2
	v_cvt_f64_f32_e32 v[2:3], v3
	v_fmac_f64_e32 v[12:13], v[0:1], v[62:63]
	v_fmac_f64_e32 v[46:47], v[2:3], v[62:63]
	;; [unrolled: 1-line block ×3, first 2 shown]
	v_fma_f64 v[16:17], -v[6:7], v[64:65], v[16:17]
	v_fmac_f64_e32 v[48:49], v[4:5], v[64:65]
	v_fma_f64 v[24:25], -v[2:3], v[64:65], v[12:13]
	v_fmac_f64_e32 v[46:47], v[0:1], v[64:65]
	global_load_dwordx4 v[0:3], v[44:45], off offset:1136
	global_load_dwordx4 v[4:7], v[44:45], off offset:1120
	global_load_dwordx4 v[8:11], v[44:45], off offset:1104
	global_load_dwordx4 v[12:15], v[44:45], off offset:1088
	s_waitcnt vmcnt(0)
	v_cvt_f64_f32_e32 v[26:27], v12
	v_cvt_f64_f32_e32 v[12:13], v13
	v_fmac_f64_e32 v[18:19], v[26:27], v[58:59]
	v_fma_f64 v[18:19], -v[12:13], v[60:61], v[18:19]
	v_fmac_f64_e32 v[50:51], v[12:13], v[58:59]
	v_cvt_f64_f32_e32 v[12:13], v14
	v_cvt_f64_f32_e32 v[14:15], v15
	v_fmac_f64_e32 v[52:53], v[14:15], v[58:59]
	v_fmac_f64_e32 v[16:17], v[12:13], v[58:59]
	v_fmac_f64_e32 v[52:53], v[12:13], v[60:61]
	v_cvt_f64_f32_e32 v[12:13], v8
	v_cvt_f64_f32_e32 v[8:9], v9
	v_fmac_f64_e32 v[22:23], v[12:13], v[58:59]
	v_fma_f64 v[16:17], -v[14:15], v[60:61], v[16:17]
	v_fma_f64 v[14:15], -v[8:9], v[60:61], v[22:23]
	v_fmac_f64_e32 v[48:49], v[8:9], v[58:59]
	v_cvt_f64_f32_e32 v[8:9], v10
	v_cvt_f64_f32_e32 v[10:11], v11
	v_fmac_f64_e32 v[46:47], v[10:11], v[58:59]
	v_fmac_f64_e32 v[24:25], v[8:9], v[58:59]
	;; [unrolled: 1-line block ×3, first 2 shown]
	v_cvt_f64_f32_e32 v[8:9], v4
	v_fmac_f64_e32 v[50:51], v[26:27], v[60:61]
	v_cvt_f64_f32_e32 v[4:5], v5
	v_fmac_f64_e32 v[18:19], v[8:9], v[54:55]
	v_fma_f64 v[26:27], -v[4:5], v[56:57], v[18:19]
	v_fmac_f64_e32 v[50:51], v[4:5], v[54:55]
	v_cvt_f64_f32_e32 v[4:5], v6
	v_cvt_f64_f32_e32 v[6:7], v7
	v_fmac_f64_e32 v[52:53], v[6:7], v[54:55]
	v_fmac_f64_e32 v[16:17], v[4:5], v[54:55]
	;; [unrolled: 1-line block ×3, first 2 shown]
	v_cvt_f64_f32_e32 v[4:5], v0
	v_fmac_f64_e32 v[48:49], v[12:13], v[60:61]
	v_cvt_f64_f32_e32 v[0:1], v1
	v_fmac_f64_e32 v[14:15], v[4:5], v[54:55]
	v_fma_f64 v[64:65], -v[0:1], v[56:57], v[14:15]
	v_fmac_f64_e32 v[48:49], v[0:1], v[54:55]
	v_cvt_f64_f32_e32 v[0:1], v2
	v_cvt_f64_f32_e32 v[2:3], v3
	v_fma_f64 v[12:13], -v[10:11], v[60:61], v[24:25]
	v_fmac_f64_e32 v[46:47], v[2:3], v[54:55]
	v_fmac_f64_e32 v[12:13], v[0:1], v[54:55]
	v_fmac_f64_e32 v[46:47], v[0:1], v[56:57]
	global_load_dword v0, v[20:21], off
	v_fma_f64 v[62:63], -v[6:7], v[56:57], v[16:17]
	v_fmac_f64_e32 v[50:51], v[8:9], v[56:57]
	v_fmac_f64_e32 v[48:49], v[4:5], v[56:57]
	v_fma_f64 v[66:67], -v[2:3], v[56:57], v[12:13]
	s_waitcnt vmcnt(0)
	v_subrev_u32_e32 v0, s20, v0
	v_lshlrev_b32_e32 v16, 2, v0
	v_ashrrev_i32_e32 v17, 31, v16
	v_lshlrev_b64 v[16:17], 4, v[16:17]
	v_add_co_u32_e32 v70, vcc, s4, v16
	global_load_dwordx4 v[0:3], v[44:45], off offset:2096
	global_load_dwordx4 v[4:7], v[44:45], off offset:2080
	;; [unrolled: 1-line block ×4, first 2 shown]
	v_addc_co_u32_e32 v71, vcc, v37, v17, vcc
	global_load_dwordx4 v[16:19], v[70:71], off offset:48
	global_load_dwordx4 v[22:25], v[70:71], off offset:32
	;; [unrolled: 1-line block ×3, first 2 shown]
	global_load_dwordx4 v[58:61], v[70:71], off
	s_waitcnt vmcnt(4)
	v_cvt_f64_f32_e32 v[68:69], v12
	v_cvt_f64_f32_e32 v[12:13], v13
	s_waitcnt vmcnt(0)
	v_fmac_f64_e32 v[26:27], v[68:69], v[58:59]
	v_fma_f64 v[26:27], -v[12:13], v[60:61], v[26:27]
	v_fmac_f64_e32 v[50:51], v[12:13], v[58:59]
	v_cvt_f64_f32_e32 v[12:13], v14
	v_cvt_f64_f32_e32 v[14:15], v15
	v_fmac_f64_e32 v[52:53], v[14:15], v[58:59]
	v_fmac_f64_e32 v[62:63], v[12:13], v[58:59]
	;; [unrolled: 1-line block ×3, first 2 shown]
	v_cvt_f64_f32_e32 v[12:13], v8
	v_cvt_f64_f32_e32 v[8:9], v9
	v_fmac_f64_e32 v[64:65], v[12:13], v[58:59]
	v_fma_f64 v[62:63], -v[14:15], v[60:61], v[62:63]
	v_fma_f64 v[14:15], -v[8:9], v[60:61], v[64:65]
	v_fmac_f64_e32 v[48:49], v[8:9], v[58:59]
	v_cvt_f64_f32_e32 v[8:9], v10
	v_cvt_f64_f32_e32 v[10:11], v11
	v_fmac_f64_e32 v[46:47], v[10:11], v[58:59]
	v_fmac_f64_e32 v[66:67], v[8:9], v[58:59]
	v_fmac_f64_e32 v[46:47], v[8:9], v[60:61]
	v_cvt_f64_f32_e32 v[8:9], v4
	v_fmac_f64_e32 v[50:51], v[68:69], v[60:61]
	v_cvt_f64_f32_e32 v[4:5], v5
	v_fmac_f64_e32 v[26:27], v[8:9], v[54:55]
	v_fma_f64 v[26:27], -v[4:5], v[56:57], v[26:27]
	v_fmac_f64_e32 v[50:51], v[4:5], v[54:55]
	v_cvt_f64_f32_e32 v[4:5], v6
	v_cvt_f64_f32_e32 v[6:7], v7
	v_fmac_f64_e32 v[52:53], v[6:7], v[54:55]
	v_fmac_f64_e32 v[62:63], v[4:5], v[54:55]
	;; [unrolled: 1-line block ×3, first 2 shown]
	v_cvt_f64_f32_e32 v[4:5], v0
	v_fmac_f64_e32 v[48:49], v[12:13], v[60:61]
	v_cvt_f64_f32_e32 v[0:1], v1
	v_fmac_f64_e32 v[14:15], v[4:5], v[54:55]
	v_fma_f64 v[12:13], -v[10:11], v[60:61], v[66:67]
	v_fma_f64 v[60:61], -v[0:1], v[56:57], v[14:15]
	v_fmac_f64_e32 v[48:49], v[0:1], v[54:55]
	v_cvt_f64_f32_e32 v[0:1], v2
	v_cvt_f64_f32_e32 v[2:3], v3
	v_fmac_f64_e32 v[12:13], v[0:1], v[54:55]
	v_fmac_f64_e32 v[46:47], v[2:3], v[54:55]
	;; [unrolled: 1-line block ×3, first 2 shown]
	v_fma_f64 v[58:59], -v[6:7], v[56:57], v[62:63]
	v_fmac_f64_e32 v[48:49], v[4:5], v[56:57]
	v_fma_f64 v[62:63], -v[2:3], v[56:57], v[12:13]
	v_fmac_f64_e32 v[46:47], v[0:1], v[56:57]
	global_load_dwordx4 v[0:3], v[44:45], off offset:2160
	global_load_dwordx4 v[4:7], v[44:45], off offset:2144
	;; [unrolled: 1-line block ×4, first 2 shown]
	s_waitcnt vmcnt(0)
	v_cvt_f64_f32_e32 v[54:55], v12
	v_cvt_f64_f32_e32 v[12:13], v13
	v_fmac_f64_e32 v[26:27], v[54:55], v[22:23]
	v_fma_f64 v[26:27], -v[12:13], v[24:25], v[26:27]
	v_fmac_f64_e32 v[50:51], v[12:13], v[22:23]
	v_cvt_f64_f32_e32 v[12:13], v14
	v_cvt_f64_f32_e32 v[14:15], v15
	v_fmac_f64_e32 v[52:53], v[14:15], v[22:23]
	v_fmac_f64_e32 v[58:59], v[12:13], v[22:23]
	;; [unrolled: 1-line block ×3, first 2 shown]
	v_cvt_f64_f32_e32 v[12:13], v8
	v_cvt_f64_f32_e32 v[8:9], v9
	v_fmac_f64_e32 v[60:61], v[12:13], v[22:23]
	v_fma_f64 v[56:57], -v[14:15], v[24:25], v[58:59]
	v_fma_f64 v[14:15], -v[8:9], v[24:25], v[60:61]
	v_fmac_f64_e32 v[48:49], v[8:9], v[22:23]
	v_cvt_f64_f32_e32 v[8:9], v10
	v_cvt_f64_f32_e32 v[10:11], v11
	v_fmac_f64_e32 v[46:47], v[10:11], v[22:23]
	v_fmac_f64_e32 v[62:63], v[8:9], v[22:23]
	;; [unrolled: 1-line block ×3, first 2 shown]
	v_cvt_f64_f32_e32 v[8:9], v4
	v_fmac_f64_e32 v[50:51], v[54:55], v[24:25]
	v_cvt_f64_f32_e32 v[4:5], v5
	v_fmac_f64_e32 v[26:27], v[8:9], v[16:17]
	v_fma_f64 v[54:55], -v[4:5], v[18:19], v[26:27]
	v_fmac_f64_e32 v[50:51], v[4:5], v[16:17]
	v_cvt_f64_f32_e32 v[4:5], v6
	v_cvt_f64_f32_e32 v[6:7], v7
	v_fmac_f64_e32 v[52:53], v[6:7], v[16:17]
	v_fmac_f64_e32 v[56:57], v[4:5], v[16:17]
	;; [unrolled: 1-line block ×3, first 2 shown]
	v_cvt_f64_f32_e32 v[4:5], v0
	v_fmac_f64_e32 v[48:49], v[12:13], v[24:25]
	v_cvt_f64_f32_e32 v[0:1], v1
	v_fmac_f64_e32 v[14:15], v[4:5], v[16:17]
	v_fma_f64 v[12:13], -v[10:11], v[24:25], v[62:63]
	v_fma_f64 v[24:25], -v[0:1], v[18:19], v[14:15]
	v_fmac_f64_e32 v[48:49], v[0:1], v[16:17]
	v_cvt_f64_f32_e32 v[0:1], v2
	v_cvt_f64_f32_e32 v[2:3], v3
	v_fmac_f64_e32 v[46:47], v[2:3], v[16:17]
	v_fmac_f64_e32 v[12:13], v[0:1], v[16:17]
	;; [unrolled: 1-line block ×3, first 2 shown]
	global_load_dword v0, v[20:21], off offset:32
	v_fma_f64 v[22:23], -v[2:3], v[18:19], v[12:13]
	v_fmac_f64_e32 v[50:51], v[8:9], v[18:19]
	v_fma_f64 v[26:27], -v[6:7], v[18:19], v[56:57]
	v_fmac_f64_e32 v[48:49], v[4:5], v[18:19]
	s_waitcnt vmcnt(0)
	v_subrev_u32_e32 v0, s20, v0
	v_lshlrev_b32_e32 v12, 2, v0
	v_ashrrev_i32_e32 v13, 31, v12
	v_lshlrev_b64 v[12:13], 4, v[12:13]
	v_add_co_u32_e32 v70, vcc, s4, v12
	global_load_dwordx4 v[0:3], v[44:45], off offset:3120
	global_load_dwordx4 v[4:7], v[44:45], off offset:3104
	;; [unrolled: 1-line block ×4, first 2 shown]
	v_addc_co_u32_e32 v71, vcc, v37, v13, vcc
	global_load_dwordx4 v[12:15], v[70:71], off offset:48
	global_load_dwordx4 v[16:19], v[70:71], off offset:32
	;; [unrolled: 1-line block ×3, first 2 shown]
	global_load_dwordx4 v[64:67], v[70:71], off
	s_waitcnt vmcnt(4)
	v_cvt_f64_f32_e32 v[68:69], v56
	v_cvt_f64_f32_e32 v[56:57], v57
	s_waitcnt vmcnt(0)
	v_fmac_f64_e32 v[54:55], v[68:69], v[64:65]
	v_fma_f64 v[54:55], -v[56:57], v[66:67], v[54:55]
	v_fmac_f64_e32 v[50:51], v[56:57], v[64:65]
	v_cvt_f64_f32_e32 v[56:57], v58
	v_cvt_f64_f32_e32 v[58:59], v59
	v_fmac_f64_e32 v[52:53], v[58:59], v[64:65]
	v_fmac_f64_e32 v[26:27], v[56:57], v[64:65]
	;; [unrolled: 1-line block ×3, first 2 shown]
	v_cvt_f64_f32_e32 v[56:57], v8
	v_cvt_f64_f32_e32 v[8:9], v9
	v_fmac_f64_e32 v[24:25], v[56:57], v[64:65]
	v_fma_f64 v[24:25], -v[8:9], v[66:67], v[24:25]
	v_fmac_f64_e32 v[48:49], v[8:9], v[64:65]
	v_cvt_f64_f32_e32 v[8:9], v10
	v_cvt_f64_f32_e32 v[10:11], v11
	v_fmac_f64_e32 v[46:47], v[10:11], v[64:65]
	v_fmac_f64_e32 v[22:23], v[8:9], v[64:65]
	;; [unrolled: 1-line block ×3, first 2 shown]
	v_cvt_f64_f32_e32 v[8:9], v4
	v_fmac_f64_e32 v[50:51], v[68:69], v[66:67]
	v_cvt_f64_f32_e32 v[4:5], v5
	v_fmac_f64_e32 v[54:55], v[8:9], v[60:61]
	v_fma_f64 v[54:55], -v[4:5], v[62:63], v[54:55]
	v_fmac_f64_e32 v[50:51], v[4:5], v[60:61]
	v_cvt_f64_f32_e32 v[4:5], v6
	v_cvt_f64_f32_e32 v[6:7], v7
	v_fma_f64 v[26:27], -v[58:59], v[66:67], v[26:27]
	v_fmac_f64_e32 v[52:53], v[6:7], v[60:61]
	v_fmac_f64_e32 v[26:27], v[4:5], v[60:61]
	;; [unrolled: 1-line block ×3, first 2 shown]
	v_cvt_f64_f32_e32 v[4:5], v0
	v_fmac_f64_e32 v[48:49], v[56:57], v[66:67]
	v_cvt_f64_f32_e32 v[0:1], v1
	v_fmac_f64_e32 v[24:25], v[4:5], v[60:61]
	v_fma_f64 v[22:23], -v[10:11], v[66:67], v[22:23]
	v_fma_f64 v[56:57], -v[0:1], v[62:63], v[24:25]
	v_fmac_f64_e32 v[48:49], v[0:1], v[60:61]
	v_cvt_f64_f32_e32 v[0:1], v2
	v_cvt_f64_f32_e32 v[2:3], v3
	v_fmac_f64_e32 v[22:23], v[0:1], v[60:61]
	v_fmac_f64_e32 v[46:47], v[2:3], v[60:61]
	;; [unrolled: 1-line block ×3, first 2 shown]
	v_fma_f64 v[26:27], -v[6:7], v[62:63], v[26:27]
	v_fmac_f64_e32 v[48:49], v[4:5], v[62:63]
	v_fma_f64 v[58:59], -v[2:3], v[62:63], v[22:23]
	v_fmac_f64_e32 v[46:47], v[0:1], v[62:63]
	global_load_dwordx4 v[0:3], v[44:45], off offset:3184
	global_load_dwordx4 v[4:7], v[44:45], off offset:3168
	;; [unrolled: 1-line block ×4, first 2 shown]
	v_add_co_u32_e32 v44, vcc, s5, v44
	v_addc_co_u32_e32 v45, vcc, 0, v45, vcc
	v_add_co_u32_e32 v40, vcc, 32, v40
	v_addc_co_u32_e32 v41, vcc, 0, v41, vcc
	v_add_co_u32_e32 v20, vcc, 0x80, v20
	v_addc_co_u32_e32 v21, vcc, 0, v21, vcc
	v_cmp_ge_i64_e32 vcc, v[40:41], v[42:43]
	s_or_b64 s[8:9], vcc, s[8:9]
	s_waitcnt vmcnt(0)
	v_cvt_f64_f32_e32 v[60:61], v22
	v_cvt_f64_f32_e32 v[22:23], v23
	v_fmac_f64_e32 v[54:55], v[60:61], v[16:17]
	v_fma_f64 v[54:55], -v[22:23], v[18:19], v[54:55]
	v_fmac_f64_e32 v[50:51], v[22:23], v[16:17]
	v_cvt_f64_f32_e32 v[22:23], v24
	v_cvt_f64_f32_e32 v[24:25], v25
	v_fmac_f64_e32 v[52:53], v[24:25], v[16:17]
	v_fmac_f64_e32 v[26:27], v[22:23], v[16:17]
	;; [unrolled: 1-line block ×3, first 2 shown]
	v_cvt_f64_f32_e32 v[22:23], v8
	v_cvt_f64_f32_e32 v[8:9], v9
	v_fmac_f64_e32 v[56:57], v[22:23], v[16:17]
	v_fma_f64 v[26:27], -v[24:25], v[18:19], v[26:27]
	v_fma_f64 v[24:25], -v[8:9], v[18:19], v[56:57]
	v_fmac_f64_e32 v[48:49], v[8:9], v[16:17]
	v_cvt_f64_f32_e32 v[8:9], v10
	v_cvt_f64_f32_e32 v[10:11], v11
	v_fmac_f64_e32 v[46:47], v[10:11], v[16:17]
	v_fmac_f64_e32 v[58:59], v[8:9], v[16:17]
	;; [unrolled: 1-line block ×3, first 2 shown]
	v_cvt_f64_f32_e32 v[8:9], v4
	v_fmac_f64_e32 v[50:51], v[60:61], v[18:19]
	v_cvt_f64_f32_e32 v[4:5], v5
	v_fmac_f64_e32 v[54:55], v[8:9], v[12:13]
	v_fma_f64 v[64:65], -v[4:5], v[14:15], v[54:55]
	v_fmac_f64_e32 v[50:51], v[4:5], v[12:13]
	v_cvt_f64_f32_e32 v[4:5], v6
	v_cvt_f64_f32_e32 v[6:7], v7
	v_fmac_f64_e32 v[52:53], v[6:7], v[12:13]
	v_fmac_f64_e32 v[26:27], v[4:5], v[12:13]
	v_fmac_f64_e32 v[52:53], v[4:5], v[14:15]
	v_cvt_f64_f32_e32 v[4:5], v0
	v_fmac_f64_e32 v[48:49], v[22:23], v[18:19]
	v_cvt_f64_f32_e32 v[0:1], v1
	v_fmac_f64_e32 v[24:25], v[4:5], v[12:13]
	v_fma_f64 v[22:23], -v[10:11], v[18:19], v[58:59]
	v_fma_f64 v[62:63], -v[0:1], v[14:15], v[24:25]
	v_fmac_f64_e32 v[48:49], v[0:1], v[12:13]
	v_cvt_f64_f32_e32 v[0:1], v2
	v_cvt_f64_f32_e32 v[2:3], v3
	v_fmac_f64_e32 v[22:23], v[0:1], v[12:13]
	v_fmac_f64_e32 v[46:47], v[2:3], v[12:13]
	;; [unrolled: 1-line block ×3, first 2 shown]
	v_fma_f64 v[66:67], -v[6:7], v[14:15], v[26:27]
	v_fmac_f64_e32 v[48:49], v[4:5], v[14:15]
	v_fma_f64 v[16:17], -v[2:3], v[14:15], v[22:23]
	v_fmac_f64_e32 v[46:47], v[0:1], v[14:15]
	s_andn2_b64 exec, exec, s[8:9]
	s_cbranch_execnz .LBB171_35
; %bb.36:
	s_or_b64 exec, exec, s[8:9]
.LBB171_37:
	s_or_b64 exec, exec, s[0:1]
.LBB171_38:
	s_or_b64 exec, exec, s[2:3]
.LBB171_39:
	v_mov_b32_dpp v0, v64 row_shr:1 row_mask:0xf bank_mask:0xf
	v_mov_b32_dpp v1, v65 row_shr:1 row_mask:0xf bank_mask:0xf
	;; [unrolled: 1-line block ×16, first 2 shown]
	v_add_f64 v[0:1], v[64:65], v[0:1]
	v_add_f64 v[4:5], v[50:51], v[4:5]
	;; [unrolled: 1-line block ×8, first 2 shown]
	v_mov_b32_dpp v2, v0 row_shr:2 row_mask:0xf bank_mask:0xf
	v_mov_b32_dpp v3, v1 row_shr:2 row_mask:0xf bank_mask:0xf
	;; [unrolled: 1-line block ×16, first 2 shown]
	v_add_f64 v[0:1], v[0:1], v[2:3]
	v_add_f64 v[4:5], v[4:5], v[6:7]
	;; [unrolled: 1-line block ×8, first 2 shown]
	v_mov_b32_dpp v2, v0 row_shr:4 row_mask:0xf bank_mask:0xe
	v_mov_b32_dpp v3, v1 row_shr:4 row_mask:0xf bank_mask:0xe
	;; [unrolled: 1-line block ×16, first 2 shown]
	v_cmp_eq_u32_e32 vcc, 7, v38
	s_and_b64 exec, exec, vcc
	s_cbranch_execz .LBB171_12
; %bb.40:
	s_load_dwordx2 s[2:3], s[6:7], 0x60
	v_add_f64 v[38:39], v[0:1], v[2:3]
	v_add_f64 v[0:1], v[4:5], v[6:7]
	;; [unrolled: 1-line block ×8, first 2 shown]
	v_cmp_eq_f64_e32 vcc, 0, v[28:29]
	v_cmp_eq_f64_e64 s[0:1], 0, v[30:31]
	v_mul_f64 v[12:13], v[0:1], -v[34:35]
	v_mul_f64 v[14:15], v[32:33], v[0:1]
	v_mul_f64 v[8:9], v[2:3], -v[34:35]
	v_mul_f64 v[10:11], v[32:33], v[2:3]
	;; [unrolled: 2-line block ×4, first 2 shown]
	s_and_b64 s[0:1], vcc, s[0:1]
	v_fmac_f64_e32 v[12:13], v[32:33], v[38:39]
	v_fmac_f64_e32 v[14:15], v[34:35], v[38:39]
	v_lshlrev_b32_e32 v16, 2, v36
	v_fmac_f64_e32 v[8:9], v[32:33], v[44:45]
	v_fmac_f64_e32 v[10:11], v[34:35], v[44:45]
	;; [unrolled: 1-line block ×6, first 2 shown]
	s_and_saveexec_b64 s[4:5], s[0:1]
	s_xor_b64 s[0:1], exec, s[4:5]
	s_cbranch_execz .LBB171_42
; %bb.41:
	v_ashrrev_i32_e32 v17, 31, v16
	v_lshlrev_b64 v[16:17], 4, v[16:17]
	s_waitcnt lgkmcnt(0)
	v_mov_b32_e32 v18, s3
	v_add_co_u32_e32 v16, vcc, s2, v16
	v_addc_co_u32_e32 v17, vcc, v18, v17, vcc
	global_store_dwordx4 v[16:17], v[12:15], off
	global_store_dwordx4 v[16:17], v[8:11], off offset:16
	global_store_dwordx4 v[16:17], v[4:7], off offset:32
	;; [unrolled: 1-line block ×3, first 2 shown]
                                        ; implicit-def: $vgpr28_vgpr29
                                        ; implicit-def: $vgpr30_vgpr31
                                        ; implicit-def: $vgpr12_vgpr13
                                        ; implicit-def: $vgpr16
                                        ; implicit-def: $vgpr8_vgpr9
                                        ; implicit-def: $vgpr4_vgpr5
                                        ; implicit-def: $vgpr0_vgpr1
.LBB171_42:
	s_andn2_saveexec_b64 s[0:1], s[0:1]
	s_cbranch_execz .LBB171_12
; %bb.43:
	v_ashrrev_i32_e32 v17, 31, v16
	v_lshlrev_b64 v[16:17], 4, v[16:17]
	s_waitcnt lgkmcnt(0)
	v_mov_b32_e32 v18, s3
	v_add_co_u32_e32 v36, vcc, s2, v16
	v_addc_co_u32_e32 v37, vcc, v18, v17, vcc
	global_load_dwordx4 v[16:19], v[36:37], off
	global_load_dwordx4 v[20:23], v[36:37], off offset:16
	global_load_dwordx4 v[24:27], v[36:37], off offset:32
	;; [unrolled: 1-line block ×3, first 2 shown]
	s_waitcnt vmcnt(3)
	v_fmac_f64_e32 v[12:13], v[28:29], v[16:17]
	v_fmac_f64_e32 v[14:15], v[30:31], v[16:17]
	s_waitcnt vmcnt(2)
	v_fmac_f64_e32 v[8:9], v[28:29], v[20:21]
	v_fmac_f64_e32 v[10:11], v[30:31], v[20:21]
	;; [unrolled: 3-line block ×4, first 2 shown]
	v_fma_f64 v[12:13], -v[30:31], v[18:19], v[12:13]
	v_fmac_f64_e32 v[14:15], v[28:29], v[18:19]
	v_fma_f64 v[8:9], -v[30:31], v[22:23], v[8:9]
	v_fmac_f64_e32 v[10:11], v[28:29], v[22:23]
	;; [unrolled: 2-line block ×4, first 2 shown]
	global_store_dwordx4 v[36:37], v[12:15], off
	global_store_dwordx4 v[36:37], v[8:11], off offset:16
	global_store_dwordx4 v[36:37], v[4:7], off offset:32
	global_store_dwordx4 v[36:37], v[0:3], off offset:48
	s_endpgm
	.section	.rodata,"a",@progbits
	.p2align	6, 0x0
	.amdhsa_kernel _ZN9rocsparseL18bsrxmvn_4x4_kernelILj128ELj8E21rocsparse_complex_numIdEliS1_IfES2_S2_EEvT3_20rocsparse_direction_NS_24const_host_device_scalarIT1_EES4_PKS4_PKT2_SD_SA_PKT4_PKT5_S8_PT6_21rocsparse_index_base_b
		.amdhsa_group_segment_fixed_size 2048
		.amdhsa_private_segment_fixed_size 0
		.amdhsa_kernarg_size 112
		.amdhsa_user_sgpr_count 8
		.amdhsa_user_sgpr_private_segment_buffer 1
		.amdhsa_user_sgpr_dispatch_ptr 1
		.amdhsa_user_sgpr_queue_ptr 0
		.amdhsa_user_sgpr_kernarg_segment_ptr 1
		.amdhsa_user_sgpr_dispatch_id 0
		.amdhsa_user_sgpr_flat_scratch_init 0
		.amdhsa_user_sgpr_kernarg_preload_length 0
		.amdhsa_user_sgpr_kernarg_preload_offset 0
		.amdhsa_user_sgpr_private_segment_size 0
		.amdhsa_uses_dynamic_stack 0
		.amdhsa_system_sgpr_private_segment_wavefront_offset 0
		.amdhsa_system_sgpr_workgroup_id_x 1
		.amdhsa_system_sgpr_workgroup_id_y 0
		.amdhsa_system_sgpr_workgroup_id_z 0
		.amdhsa_system_sgpr_workgroup_info 0
		.amdhsa_system_vgpr_workitem_id 2
		.amdhsa_next_free_vgpr 128
		.amdhsa_next_free_sgpr 22
		.amdhsa_accum_offset 128
		.amdhsa_reserve_vcc 1
		.amdhsa_reserve_flat_scratch 0
		.amdhsa_float_round_mode_32 0
		.amdhsa_float_round_mode_16_64 0
		.amdhsa_float_denorm_mode_32 3
		.amdhsa_float_denorm_mode_16_64 3
		.amdhsa_dx10_clamp 1
		.amdhsa_ieee_mode 1
		.amdhsa_fp16_overflow 0
		.amdhsa_tg_split 0
		.amdhsa_exception_fp_ieee_invalid_op 0
		.amdhsa_exception_fp_denorm_src 0
		.amdhsa_exception_fp_ieee_div_zero 0
		.amdhsa_exception_fp_ieee_overflow 0
		.amdhsa_exception_fp_ieee_underflow 0
		.amdhsa_exception_fp_ieee_inexact 0
		.amdhsa_exception_int_div_zero 0
	.end_amdhsa_kernel
	.section	.text._ZN9rocsparseL18bsrxmvn_4x4_kernelILj128ELj8E21rocsparse_complex_numIdEliS1_IfES2_S2_EEvT3_20rocsparse_direction_NS_24const_host_device_scalarIT1_EES4_PKS4_PKT2_SD_SA_PKT4_PKT5_S8_PT6_21rocsparse_index_base_b,"axG",@progbits,_ZN9rocsparseL18bsrxmvn_4x4_kernelILj128ELj8E21rocsparse_complex_numIdEliS1_IfES2_S2_EEvT3_20rocsparse_direction_NS_24const_host_device_scalarIT1_EES4_PKS4_PKT2_SD_SA_PKT4_PKT5_S8_PT6_21rocsparse_index_base_b,comdat
.Lfunc_end171:
	.size	_ZN9rocsparseL18bsrxmvn_4x4_kernelILj128ELj8E21rocsparse_complex_numIdEliS1_IfES2_S2_EEvT3_20rocsparse_direction_NS_24const_host_device_scalarIT1_EES4_PKS4_PKT2_SD_SA_PKT4_PKT5_S8_PT6_21rocsparse_index_base_b, .Lfunc_end171-_ZN9rocsparseL18bsrxmvn_4x4_kernelILj128ELj8E21rocsparse_complex_numIdEliS1_IfES2_S2_EEvT3_20rocsparse_direction_NS_24const_host_device_scalarIT1_EES4_PKS4_PKT2_SD_SA_PKT4_PKT5_S8_PT6_21rocsparse_index_base_b
                                        ; -- End function
	.section	.AMDGPU.csdata,"",@progbits
; Kernel info:
; codeLenInByte = 8756
; NumSgprs: 26
; NumVgprs: 128
; NumAgprs: 0
; TotalNumVgprs: 128
; ScratchSize: 0
; MemoryBound: 0
; FloatMode: 240
; IeeeMode: 1
; LDSByteSize: 2048 bytes/workgroup (compile time only)
; SGPRBlocks: 3
; VGPRBlocks: 15
; NumSGPRsForWavesPerEU: 26
; NumVGPRsForWavesPerEU: 128
; AccumOffset: 128
; Occupancy: 4
; WaveLimiterHint : 1
; COMPUTE_PGM_RSRC2:SCRATCH_EN: 0
; COMPUTE_PGM_RSRC2:USER_SGPR: 8
; COMPUTE_PGM_RSRC2:TRAP_HANDLER: 0
; COMPUTE_PGM_RSRC2:TGID_X_EN: 1
; COMPUTE_PGM_RSRC2:TGID_Y_EN: 0
; COMPUTE_PGM_RSRC2:TGID_Z_EN: 0
; COMPUTE_PGM_RSRC2:TIDIG_COMP_CNT: 2
; COMPUTE_PGM_RSRC3_GFX90A:ACCUM_OFFSET: 31
; COMPUTE_PGM_RSRC3_GFX90A:TG_SPLIT: 0
	.section	.text._ZN9rocsparseL18bsrxmvn_4x4_kernelILj128ELj16E21rocsparse_complex_numIdEliS1_IfES2_S2_EEvT3_20rocsparse_direction_NS_24const_host_device_scalarIT1_EES4_PKS4_PKT2_SD_SA_PKT4_PKT5_S8_PT6_21rocsparse_index_base_b,"axG",@progbits,_ZN9rocsparseL18bsrxmvn_4x4_kernelILj128ELj16E21rocsparse_complex_numIdEliS1_IfES2_S2_EEvT3_20rocsparse_direction_NS_24const_host_device_scalarIT1_EES4_PKS4_PKT2_SD_SA_PKT4_PKT5_S8_PT6_21rocsparse_index_base_b,comdat
	.globl	_ZN9rocsparseL18bsrxmvn_4x4_kernelILj128ELj16E21rocsparse_complex_numIdEliS1_IfES2_S2_EEvT3_20rocsparse_direction_NS_24const_host_device_scalarIT1_EES4_PKS4_PKT2_SD_SA_PKT4_PKT5_S8_PT6_21rocsparse_index_base_b ; -- Begin function _ZN9rocsparseL18bsrxmvn_4x4_kernelILj128ELj16E21rocsparse_complex_numIdEliS1_IfES2_S2_EEvT3_20rocsparse_direction_NS_24const_host_device_scalarIT1_EES4_PKS4_PKT2_SD_SA_PKT4_PKT5_S8_PT6_21rocsparse_index_base_b
	.p2align	8
	.type	_ZN9rocsparseL18bsrxmvn_4x4_kernelILj128ELj16E21rocsparse_complex_numIdEliS1_IfES2_S2_EEvT3_20rocsparse_direction_NS_24const_host_device_scalarIT1_EES4_PKS4_PKT2_SD_SA_PKT4_PKT5_S8_PT6_21rocsparse_index_base_b,@function
_ZN9rocsparseL18bsrxmvn_4x4_kernelILj128ELj16E21rocsparse_complex_numIdEliS1_IfES2_S2_EEvT3_20rocsparse_direction_NS_24const_host_device_scalarIT1_EES4_PKS4_PKT2_SD_SA_PKT4_PKT5_S8_PT6_21rocsparse_index_base_b: ; @_ZN9rocsparseL18bsrxmvn_4x4_kernelILj128ELj16E21rocsparse_complex_numIdEliS1_IfES2_S2_EEvT3_20rocsparse_direction_NS_24const_host_device_scalarIT1_EES4_PKS4_PKT2_SD_SA_PKT4_PKT5_S8_PT6_21rocsparse_index_base_b
; %bb.0:
	s_load_dwordx2 s[20:21], s[6:7], 0x68
	s_load_dwordx4 s[12:15], s[6:7], 0x8
	s_load_dwordx2 s[10:11], s[4:5], 0x4
	s_load_dwordx4 s[16:19], s[6:7], 0x50
	s_mov_b64 s[2:3], src_shared_base
	v_bfe_u32 v2, v0, 10, 10
	s_waitcnt lgkmcnt(0)
	s_bitcmp1_b32 s21, 0
	s_cselect_b64 s[0:1], -1, 0
	s_and_b64 vcc, s[0:1], exec
	s_cselect_b32 s2, s3, s13
	s_lshr_b32 s4, s10, 16
	v_and_b32_e32 v1, 0x3ff, v0
	s_mul_i32 s4, s4, s11
	v_mul_u32_u24_e32 v2, s11, v2
	v_mad_u32_u24 v2, s4, v1, v2
	v_bfe_u32 v0, v0, 20, 10
	v_add_lshl_u32 v0, v2, v0, 3
	v_mov_b32_e32 v6, s12
	v_add_u32_e32 v7, 0x400, v0
	v_pk_mov_b32 v[2:3], s[12:13], s[12:13] op_sel:[0,1]
	v_pk_mov_b32 v[4:5], s[16:17], s[16:17] op_sel:[0,1]
	ds_write2st64_b64 v0, v[4:5], v[2:3] offset1:2
	v_cndmask_b32_e64 v2, v6, v7, s[0:1]
	v_mov_b32_e32 v3, s2
	flat_load_dwordx2 v[32:33], v[2:3]
	s_xor_b64 s[4:5], s[0:1], -1
	v_pk_mov_b32 v[34:35], s[14:15], s[14:15] op_sel:[0,1]
	s_cbranch_vccnz .LBB172_2
; %bb.1:
	v_pk_mov_b32 v[2:3], s[12:13], s[12:13] op_sel:[0,1]
	flat_load_dwordx2 v[34:35], v[2:3] offset:8
.LBB172_2:
	s_and_b64 s[10:11], s[0:1], exec
	s_cselect_b32 s2, s3, s17
	v_mov_b32_e32 v2, s16
	v_cndmask_b32_e64 v2, v2, v0, s[0:1]
	v_mov_b32_e32 v3, s2
	flat_load_dwordx2 v[28:29], v[2:3]
	s_andn2_b64 vcc, exec, s[4:5]
	v_pk_mov_b32 v[30:31], s[18:19], s[18:19] op_sel:[0,1]
	s_cbranch_vccnz .LBB172_4
; %bb.3:
	v_pk_mov_b32 v[2:3], s[16:17], s[16:17] op_sel:[0,1]
	flat_load_dwordx2 v[30:31], v[2:3] offset:8
.LBB172_4:
	s_waitcnt vmcnt(0) lgkmcnt(0)
	v_cmp_eq_f64_e32 vcc, 0, v[32:33]
	v_cmp_eq_f64_e64 s[0:1], 0, v[34:35]
	s_and_b64 s[4:5], vcc, s[0:1]
	s_mov_b64 s[0:1], -1
	s_and_saveexec_b64 s[2:3], s[4:5]
; %bb.5:
	v_cmp_neq_f64_e32 vcc, 1.0, v[28:29]
	v_cmp_neq_f64_e64 s[0:1], 0, v[30:31]
	s_or_b64 s[0:1], vcc, s[0:1]
	s_orn2_b64 s[0:1], s[0:1], exec
; %bb.6:
	s_or_b64 exec, exec, s[2:3]
	s_and_saveexec_b64 s[2:3], s[0:1]
	s_cbranch_execz .LBB172_12
; %bb.7:
	s_load_dwordx2 s[4:5], s[6:7], 0x20
	s_load_dwordx2 s[0:1], s[6:7], 0x0
	v_lshrrev_b32_e32 v0, 4, v1
	v_lshl_or_b32 v36, s8, 3, v0
	s_mov_b64 s[2:3], 0
	s_waitcnt lgkmcnt(0)
	s_cmp_lg_u64 s[4:5], 0
	s_cbranch_scc0 .LBB172_13
; %bb.8:
	s_load_dword s8, s[6:7], 0x18
                                        ; implicit-def: $vgpr0
	s_waitcnt lgkmcnt(0)
	v_cmp_gt_i32_e32 vcc, s8, v36
	s_and_saveexec_b64 s[8:9], vcc
	s_xor_b64 s[8:9], exec, s[8:9]
	s_cbranch_execz .LBB172_10
; %bb.9:
	v_ashrrev_i32_e32 v37, 31, v36
	v_lshlrev_b64 v[2:3], 2, v[36:37]
	v_mov_b32_e32 v0, s5
	v_add_co_u32_e32 v2, vcc, s4, v2
	v_addc_co_u32_e32 v3, vcc, v0, v3, vcc
	global_load_dword v0, v[2:3], off
	s_mov_b64 s[2:3], exec
	s_waitcnt vmcnt(0)
	v_subrev_u32_e32 v0, s20, v0
.LBB172_10:
	s_or_b64 exec, exec, s[8:9]
	s_branch .LBB172_14
.LBB172_11:
	v_cmp_gt_i32_e32 vcc, s0, v36
	s_andn2_b64 s[2:3], s[2:3], exec
	s_and_b64 s[4:5], vcc, exec
	s_or_b64 s[2:3], s[2:3], s[4:5]
	s_and_b64 exec, exec, s[2:3]
	s_cbranch_execnz .LBB172_15
.LBB172_12:
	s_endpgm
.LBB172_13:
                                        ; implicit-def: $vgpr0
	s_cbranch_execnz .LBB172_11
.LBB172_14:
	v_mov_b32_e32 v36, v0
	s_and_b64 exec, exec, s[2:3]
	s_cbranch_execz .LBB172_12
.LBB172_15:
	s_load_dwordx8 s[8:15], s[6:7], 0x28
	v_ashrrev_i32_e32 v37, 31, v36
	v_lshlrev_b64 v[2:3], 3, v[36:37]
	v_and_b32_e32 v38, 15, v1
	s_load_dwordx2 s[4:5], s[6:7], 0x48
	s_waitcnt lgkmcnt(0)
	v_mov_b32_e32 v0, s9
	v_add_co_u32_e32 v4, vcc, s8, v2
	v_addc_co_u32_e32 v5, vcc, v0, v3, vcc
	v_add_co_u32_e32 v0, vcc, 8, v4
	global_load_dwordx2 v[54:55], v[4:5], off
	v_addc_co_u32_e32 v4, vcc, 0, v5, vcc
	v_mov_b32_e32 v5, s11
	v_add_co_u32_e32 v2, vcc, s10, v2
	s_cmp_eq_u64 s[10:11], 0
	v_addc_co_u32_e32 v3, vcc, v5, v3, vcc
	s_cselect_b64 vcc, -1, 0
	v_cndmask_b32_e32 v3, v3, v4, vcc
	v_cndmask_b32_e32 v2, v2, v0, vcc
	global_load_dwordx2 v[2:3], v[2:3], off
	v_mov_b32_e32 v4, s15
	s_mov_b32 s18, 0
	s_cmp_eq_u32 s1, 1
	s_waitcnt vmcnt(1)
	v_subrev_co_u32_e32 v0, vcc, s20, v54
	v_subbrev_co_u32_e32 v1, vcc, 0, v55, vcc
	v_add_co_u32_e32 v42, vcc, v0, v38
	v_addc_co_u32_e32 v43, vcc, 0, v1, vcc
	v_lshlrev_b64 v[0:1], 7, v[42:43]
	s_waitcnt vmcnt(0)
	v_subrev_co_u32_e32 v44, vcc, s20, v2
	v_subbrev_co_u32_e32 v45, vcc, 0, v3, vcc
	v_add_co_u32_e32 v46, vcc, s14, v0
	v_addc_co_u32_e32 v47, vcc, v4, v1, vcc
	v_cmp_lt_i64_e64 s[0:1], v[42:43], v[44:45]
	s_cbranch_scc1 .LBB172_27
; %bb.16:
	v_pk_mov_b32 v[52:53], 0, 0
	s_mov_b64 s[8:9], 0
	v_pk_mov_b32 v[64:65], v[52:53], v[52:53] op_sel:[0,1]
	v_pk_mov_b32 v[50:51], v[52:53], v[52:53] op_sel:[0,1]
	;; [unrolled: 1-line block ×7, first 2 shown]
	s_and_saveexec_b64 s[10:11], s[0:1]
	s_cbranch_execz .LBB172_26
; %bb.17:
	v_or_b32_e32 v0, 16, v38
	v_mov_b32_e32 v1, s18
	v_subrev_co_u32_e32 v0, vcc, s20, v0
	v_subb_co_u32_e32 v1, vcc, 0, v1, vcc
	v_add_co_u32_e32 v0, vcc, v0, v54
	v_addc_co_u32_e32 v1, vcc, v1, v55, vcc
	v_cmp_gt_i64_e32 vcc, v[0:1], v[44:45]
	v_cndmask_b32_e32 v1, v45, v1, vcc
	v_cndmask_b32_e32 v0, v44, v0, vcc
	v_mov_b32_e32 v4, s18
	v_sub_co_u32_e32 v5, vcc, s20, v38
	v_not_b32_e32 v3, v54
	v_subbrev_co_u32_e32 v4, vcc, 0, v4, vcc
	v_not_b32_e32 v2, v55
	v_add_co_u32_e32 v3, vcc, v5, v3
	v_addc_co_u32_e32 v2, vcc, v4, v2, vcc
	v_add_co_u32_e32 v8, vcc, v3, v0
	v_lshrrev_b32_e32 v0, 4, v8
	v_add_u32_e32 v0, 1, v0
	v_addc_co_u32_e32 v9, vcc, v2, v1, vcc
	v_and_b32_e32 v0, 3, v0
	v_pk_mov_b32 v[16:17], 0, 0
	v_cmp_ne_u32_e32 vcc, 0, v0
	s_mov_b64 s[16:17], 0
	v_pk_mov_b32 v[40:41], v[16:17], v[16:17] op_sel:[0,1]
	v_pk_mov_b32 v[62:63], v[16:17], v[16:17] op_sel:[0,1]
	;; [unrolled: 1-line block ×9, first 2 shown]
	s_and_saveexec_b64 s[14:15], vcc
	s_cbranch_execz .LBB172_21
; %bb.18:
	v_lshlrev_b64 v[2:3], 2, v[42:43]
	v_mov_b32_e32 v1, s13
	v_add_co_u32_e32 v12, vcc, s12, v2
	v_pk_mov_b32 v[52:53], 0, 0
	v_mov_b32_e32 v11, 0
	v_addc_co_u32_e32 v13, vcc, v1, v3, vcc
	v_lshlrev_b32_e32 v10, 2, v0
	s_movk_i32 s19, 0x800
	v_mov_b32_e32 v14, s5
	v_pk_mov_b32 v[58:59], v[42:43], v[42:43] op_sel:[0,1]
	v_pk_mov_b32 v[56:57], v[46:47], v[46:47] op_sel:[0,1]
	;; [unrolled: 1-line block ×9, first 2 shown]
.LBB172_19:                             ; =>This Inner Loop Header: Depth=1
	global_load_dword v15, v[12:13], off
	global_load_dwordx4 v[4:7], v[56:57], off
	global_load_dwordx4 v[0:3], v[56:57], off offset:32
	global_load_dwordx4 v[18:21], v[56:57], off offset:64
	;; [unrolled: 1-line block ×7, first 2 shown]
	v_add_co_u32_e64 v58, s[2:3], 16, v58
	v_addc_co_u32_e64 v59, s[2:3], 0, v59, s[2:3]
	v_add_co_u32_e64 v12, s[2:3], 64, v12
	v_addc_co_u32_e64 v13, s[2:3], 0, v13, s[2:3]
	v_add_co_u32_e32 v56, vcc, s19, v56
	v_add_co_u32_e64 v10, s[2:3], -4, v10
	v_addc_co_u32_e64 v11, s[2:3], -1, v11, s[2:3]
	v_addc_co_u32_e32 v57, vcc, 0, v57, vcc
	v_cmp_eq_u64_e32 vcc, 0, v[10:11]
	s_or_b64 s[16:17], vcc, s[16:17]
	s_waitcnt vmcnt(8)
	v_subrev_u32_e32 v15, s20, v15
	s_waitcnt vmcnt(7)
	v_cvt_f64_f32_e32 v[26:27], v4
	v_lshlrev_b32_e32 v4, 2, v15
	v_cvt_f64_f32_e32 v[60:61], v5
	v_ashrrev_i32_e32 v5, 31, v4
	v_lshlrev_b64 v[4:5], 4, v[4:5]
	v_add_co_u32_e32 v112, vcc, s4, v4
	v_addc_co_u32_e32 v113, vcc, v14, v5, vcc
	v_cvt_f64_f32_e32 v[92:93], v6
	v_cvt_f64_f32_e32 v[94:95], v7
	s_waitcnt vmcnt(3)
	v_cvt_f64_f32_e32 v[102:103], v68
	v_cvt_f64_f32_e32 v[104:105], v69
	;; [unrolled: 1-line block ×4, first 2 shown]
	global_load_dwordx4 v[4:7], v[112:113], off
	global_load_dwordx4 v[68:71], v[112:113], off offset:16
	global_load_dwordx4 v[84:87], v[112:113], off offset:32
	;; [unrolled: 1-line block ×3, first 2 shown]
	v_cvt_f64_f32_e32 v[96:97], v0
	v_cvt_f64_f32_e32 v[0:1], v1
	;; [unrolled: 1-line block ×12, first 2 shown]
	s_waitcnt vmcnt(6)
	v_cvt_f64_f32_e32 v[112:113], v72
	v_cvt_f64_f32_e32 v[72:73], v73
	s_waitcnt vmcnt(5)
	v_cvt_f64_f32_e32 v[120:121], v76
	v_cvt_f64_f32_e32 v[76:77], v77
	;; [unrolled: 3-line block ×3, first 2 shown]
	v_cvt_f64_f32_e32 v[114:115], v74
	v_cvt_f64_f32_e32 v[74:75], v75
	v_cvt_f64_f32_e32 v[122:123], v78
	v_cvt_f64_f32_e32 v[78:79], v79
	v_cvt_f64_f32_e32 v[126:127], v82
	v_cvt_f64_f32_e32 v[82:83], v83
	s_waitcnt vmcnt(3)
	v_fmac_f64_e32 v[64:65], v[26:27], v[4:5]
	v_fmac_f64_e32 v[52:53], v[60:61], v[4:5]
	v_fmac_f64_e32 v[66:67], v[96:97], v[4:5]
	v_fmac_f64_e32 v[50:51], v[0:1], v[4:5]
	v_fmac_f64_e32 v[62:63], v[98:99], v[4:5]
	v_fmac_f64_e32 v[48:49], v[18:19], v[4:5]
	v_fmac_f64_e32 v[16:17], v[100:101], v[4:5]
	v_fmac_f64_e32 v[40:41], v[22:23], v[4:5]
	v_fma_f64 v[4:5], -v[60:61], v[6:7], v[64:65]
	v_fmac_f64_e32 v[52:53], v[26:27], v[6:7]
	v_fma_f64 v[0:1], -v[0:1], v[6:7], v[66:67]
	v_fmac_f64_e32 v[50:51], v[96:97], v[6:7]
	v_fma_f64 v[18:19], -v[18:19], v[6:7], v[62:63]
	v_fmac_f64_e32 v[48:49], v[98:99], v[6:7]
	v_fma_f64 v[16:17], -v[22:23], v[6:7], v[16:17]
	v_fmac_f64_e32 v[40:41], v[100:101], v[6:7]
	s_waitcnt vmcnt(2)
	v_fmac_f64_e32 v[4:5], v[92:93], v[68:69]
	v_fmac_f64_e32 v[52:53], v[94:95], v[68:69]
	v_fmac_f64_e32 v[0:1], v[110:111], v[68:69]
	v_fmac_f64_e32 v[50:51], v[2:3], v[68:69]
	v_fmac_f64_e32 v[18:19], v[116:117], v[68:69]
	v_fmac_f64_e32 v[48:49], v[20:21], v[68:69]
	v_fmac_f64_e32 v[16:17], v[118:119], v[68:69]
	v_fmac_f64_e32 v[40:41], v[24:25], v[68:69]
	v_fma_f64 v[4:5], -v[94:95], v[70:71], v[4:5]
	v_fmac_f64_e32 v[52:53], v[92:93], v[70:71]
	v_fma_f64 v[0:1], -v[2:3], v[70:71], v[0:1]
	v_fmac_f64_e32 v[50:51], v[110:111], v[70:71]
	v_fma_f64 v[2:3], -v[20:21], v[70:71], v[18:19]
	v_fmac_f64_e32 v[48:49], v[116:117], v[70:71]
	v_fma_f64 v[6:7], -v[24:25], v[70:71], v[16:17]
	v_fmac_f64_e32 v[40:41], v[118:119], v[70:71]
	;; [unrolled: 17-line block ×4, first 2 shown]
	s_andn2_b64 exec, exec, s[16:17]
	s_cbranch_execnz .LBB172_19
; %bb.20:
	s_or_b64 exec, exec, s[16:17]
.LBB172_21:
	s_or_b64 exec, exec, s[14:15]
	v_cmp_lt_u64_e32 vcc, 47, v[8:9]
	s_and_saveexec_b64 s[14:15], vcc
	s_cbranch_execz .LBB172_25
; %bb.22:
	v_lshlrev_b64 v[0:1], 2, v[58:59]
	v_mov_b32_e32 v2, s13
	v_add_co_u32_e32 v0, vcc, s12, v0
	v_addc_co_u32_e32 v1, vcc, v1, v2, vcc
	v_add_co_u32_e32 v60, vcc, 0x80, v0
	v_addc_co_u32_e32 v61, vcc, 0, v1, vcc
	s_mov_b64 s[16:17], 0
	v_mov_b32_e32 v37, s5
	s_movk_i32 s19, 0x1000
.LBB172_23:                             ; =>This Inner Loop Header: Depth=1
	global_load_dword v0, v[60:61], off offset:-128
	global_load_dwordx4 v[22:25], v[56:57], off offset:48
	global_load_dwordx4 v[68:71], v[56:57], off offset:32
	;; [unrolled: 1-line block ×3, first 2 shown]
	global_load_dwordx4 v[72:75], v[56:57], off
	s_waitcnt vmcnt(4)
	v_subrev_u32_e32 v0, s20, v0
	v_lshlrev_b32_e32 v0, 2, v0
	v_ashrrev_i32_e32 v1, 31, v0
	v_lshlrev_b64 v[0:1], 4, v[0:1]
	v_add_co_u32_e32 v76, vcc, s4, v0
	v_addc_co_u32_e32 v77, vcc, v37, v1, vcc
	global_load_dwordx4 v[0:3], v[76:77], off offset:48
	global_load_dwordx4 v[4:7], v[76:77], off offset:32
	;; [unrolled: 1-line block ×3, first 2 shown]
	global_load_dwordx4 v[12:15], v[76:77], off
	s_waitcnt vmcnt(4)
	v_cvt_f64_f32_e32 v[26:27], v72
	v_cvt_f64_f32_e32 v[72:73], v73
	s_waitcnt vmcnt(0)
	v_fmac_f64_e32 v[64:65], v[26:27], v[12:13]
	v_fmac_f64_e32 v[52:53], v[72:73], v[12:13]
	v_fma_f64 v[64:65], -v[72:73], v[14:15], v[64:65]
	v_fmac_f64_e32 v[52:53], v[26:27], v[14:15]
	v_cvt_f64_f32_e32 v[26:27], v74
	v_cvt_f64_f32_e32 v[72:73], v75
	v_fmac_f64_e32 v[64:65], v[26:27], v[8:9]
	v_fmac_f64_e32 v[52:53], v[72:73], v[8:9]
	v_fma_f64 v[64:65], -v[72:73], v[10:11], v[64:65]
	v_fmac_f64_e32 v[52:53], v[26:27], v[10:11]
	v_cvt_f64_f32_e32 v[26:27], v18
	v_cvt_f64_f32_e32 v[18:19], v19
	;; [unrolled: 6-line block ×6, first 2 shown]
	v_fmac_f64_e32 v[64:65], v[18:19], v[4:5]
	v_fma_f64 v[26:27], -v[22:23], v[6:7], v[64:65]
	v_fmac_f64_e32 v[50:51], v[22:23], v[4:5]
	v_cvt_f64_f32_e32 v[22:23], v24
	v_fmac_f64_e32 v[50:51], v[18:19], v[6:7]
	v_cvt_f64_f32_e32 v[24:25], v25
	v_fmac_f64_e32 v[26:27], v[22:23], v[0:1]
	v_fma_f64 v[18:19], -v[24:25], v[2:3], v[26:27]
	v_fmac_f64_e32 v[50:51], v[24:25], v[0:1]
	global_load_dwordx4 v[24:27], v[56:57], off offset:112
	global_load_dwordx4 v[64:67], v[56:57], off offset:96
	global_load_dwordx4 v[68:71], v[56:57], off offset:80
	global_load_dwordx4 v[72:75], v[56:57], off offset:64
	v_fmac_f64_e32 v[50:51], v[22:23], v[2:3]
	s_waitcnt vmcnt(0)
	v_cvt_f64_f32_e32 v[22:23], v72
	v_cvt_f64_f32_e32 v[72:73], v73
	v_fmac_f64_e32 v[62:63], v[22:23], v[12:13]
	v_fmac_f64_e32 v[48:49], v[72:73], v[12:13]
	v_fma_f64 v[62:63], -v[72:73], v[14:15], v[62:63]
	v_fmac_f64_e32 v[48:49], v[22:23], v[14:15]
	v_cvt_f64_f32_e32 v[22:23], v74
	v_cvt_f64_f32_e32 v[72:73], v75
	v_fmac_f64_e32 v[62:63], v[22:23], v[8:9]
	v_fmac_f64_e32 v[48:49], v[72:73], v[8:9]
	v_fma_f64 v[62:63], -v[72:73], v[10:11], v[62:63]
	v_fmac_f64_e32 v[48:49], v[22:23], v[10:11]
	v_cvt_f64_f32_e32 v[22:23], v68
	v_cvt_f64_f32_e32 v[68:69], v69
	v_fmac_f64_e32 v[62:63], v[22:23], v[4:5]
	v_fma_f64 v[62:63], -v[68:69], v[6:7], v[62:63]
	v_fmac_f64_e32 v[48:49], v[68:69], v[4:5]
	v_cvt_f64_f32_e32 v[68:69], v70
	v_cvt_f64_f32_e32 v[70:71], v71
	v_fmac_f64_e32 v[62:63], v[68:69], v[0:1]
	v_fmac_f64_e32 v[48:49], v[22:23], v[6:7]
	v_fma_f64 v[22:23], -v[70:71], v[2:3], v[62:63]
	v_cvt_f64_f32_e32 v[62:63], v64
	v_cvt_f64_f32_e32 v[64:65], v65
	v_fmac_f64_e32 v[16:17], v[62:63], v[12:13]
	v_fmac_f64_e32 v[40:41], v[64:65], v[12:13]
	v_fma_f64 v[16:17], -v[64:65], v[14:15], v[16:17]
	v_fmac_f64_e32 v[40:41], v[62:63], v[14:15]
	v_cvt_f64_f32_e32 v[12:13], v66
	v_cvt_f64_f32_e32 v[14:15], v67
	v_fmac_f64_e32 v[16:17], v[12:13], v[8:9]
	v_fmac_f64_e32 v[40:41], v[14:15], v[8:9]
	v_fma_f64 v[16:17], -v[14:15], v[10:11], v[16:17]
	v_fmac_f64_e32 v[40:41], v[12:13], v[10:11]
	;; [unrolled: 6-line block ×3, first 2 shown]
	v_cvt_f64_f32_e32 v[4:5], v26
	v_cvt_f64_f32_e32 v[6:7], v27
	v_fmac_f64_e32 v[48:49], v[70:71], v[0:1]
	v_fmac_f64_e32 v[12:13], v[4:5], v[0:1]
	;; [unrolled: 1-line block ×3, first 2 shown]
	global_load_dword v0, v[60:61], off offset:-64
	v_fmac_f64_e32 v[48:49], v[68:69], v[2:3]
	v_fma_f64 v[12:13], -v[6:7], v[2:3], v[12:13]
	v_fmac_f64_e32 v[40:41], v[4:5], v[2:3]
	s_waitcnt vmcnt(0)
	v_subrev_u32_e32 v0, s20, v0
	v_lshlrev_b32_e32 v24, 2, v0
	v_ashrrev_i32_e32 v25, 31, v24
	v_lshlrev_b64 v[24:25], 4, v[24:25]
	v_add_co_u32_e32 v76, vcc, s4, v24
	global_load_dwordx4 v[0:3], v[56:57], off offset:2096
	global_load_dwordx4 v[4:7], v[56:57], off offset:2080
	;; [unrolled: 1-line block ×4, first 2 shown]
	v_addc_co_u32_e32 v77, vcc, v37, v25, vcc
	global_load_dwordx4 v[24:27], v[76:77], off offset:48
	global_load_dwordx4 v[62:65], v[76:77], off offset:32
	;; [unrolled: 1-line block ×3, first 2 shown]
	global_load_dwordx4 v[70:73], v[76:77], off
	s_waitcnt vmcnt(4)
	v_cvt_f64_f32_e32 v[74:75], v14
	v_cvt_f64_f32_e32 v[14:15], v15
	s_waitcnt vmcnt(0)
	v_fmac_f64_e32 v[20:21], v[74:75], v[70:71]
	v_fmac_f64_e32 v[52:53], v[14:15], v[70:71]
	v_fma_f64 v[20:21], -v[14:15], v[72:73], v[20:21]
	v_fmac_f64_e32 v[52:53], v[74:75], v[72:73]
	v_cvt_f64_f32_e32 v[14:15], v16
	v_cvt_f64_f32_e32 v[16:17], v17
	v_fmac_f64_e32 v[20:21], v[14:15], v[66:67]
	v_fmac_f64_e32 v[52:53], v[16:17], v[66:67]
	v_fma_f64 v[20:21], -v[16:17], v[68:69], v[20:21]
	v_fmac_f64_e32 v[52:53], v[14:15], v[68:69]
	v_cvt_f64_f32_e32 v[14:15], v8
	v_cvt_f64_f32_e32 v[8:9], v9
	v_fmac_f64_e32 v[20:21], v[14:15], v[62:63]
	v_fmac_f64_e32 v[52:53], v[8:9], v[62:63]
	v_fma_f64 v[16:17], -v[8:9], v[64:65], v[20:21]
	v_fmac_f64_e32 v[52:53], v[14:15], v[64:65]
	v_cvt_f64_f32_e32 v[14:15], v10
	v_cvt_f64_f32_e32 v[10:11], v11
	v_fmac_f64_e32 v[16:17], v[14:15], v[24:25]
	v_fma_f64 v[8:9], -v[10:11], v[26:27], v[16:17]
	v_fmac_f64_e32 v[52:53], v[10:11], v[24:25]
	v_cvt_f64_f32_e32 v[10:11], v4
	v_cvt_f64_f32_e32 v[4:5], v5
	v_fmac_f64_e32 v[18:19], v[10:11], v[70:71]
	v_fmac_f64_e32 v[50:51], v[4:5], v[70:71]
	;; [unrolled: 1-line block ×3, first 2 shown]
	v_fma_f64 v[14:15], -v[4:5], v[72:73], v[18:19]
	v_fmac_f64_e32 v[50:51], v[10:11], v[72:73]
	v_cvt_f64_f32_e32 v[4:5], v6
	v_cvt_f64_f32_e32 v[6:7], v7
	v_fmac_f64_e32 v[14:15], v[4:5], v[66:67]
	v_fmac_f64_e32 v[50:51], v[6:7], v[66:67]
	v_fma_f64 v[10:11], -v[6:7], v[68:69], v[14:15]
	v_fmac_f64_e32 v[50:51], v[4:5], v[68:69]
	v_cvt_f64_f32_e32 v[4:5], v0
	v_cvt_f64_f32_e32 v[0:1], v1
	v_fmac_f64_e32 v[10:11], v[4:5], v[62:63]
	v_fmac_f64_e32 v[50:51], v[0:1], v[62:63]
	;; [unrolled: 6-line block ×3, first 2 shown]
	v_fma_f64 v[80:81], -v[2:3], v[26:27], v[6:7]
	v_fmac_f64_e32 v[50:51], v[0:1], v[26:27]
	global_load_dwordx4 v[0:3], v[56:57], off offset:2160
	global_load_dwordx4 v[4:7], v[56:57], off offset:2144
	;; [unrolled: 1-line block ×4, first 2 shown]
	s_waitcnt vmcnt(0)
	v_cvt_f64_f32_e32 v[10:11], v18
	v_cvt_f64_f32_e32 v[18:19], v19
	v_fmac_f64_e32 v[22:23], v[10:11], v[70:71]
	v_fmac_f64_e32 v[48:49], v[18:19], v[70:71]
	v_fma_f64 v[22:23], -v[18:19], v[72:73], v[22:23]
	v_fmac_f64_e32 v[48:49], v[10:11], v[72:73]
	v_cvt_f64_f32_e32 v[10:11], v20
	v_cvt_f64_f32_e32 v[18:19], v21
	v_fmac_f64_e32 v[22:23], v[10:11], v[66:67]
	v_fmac_f64_e32 v[48:49], v[18:19], v[66:67]
	v_fma_f64 v[20:21], -v[18:19], v[68:69], v[22:23]
	v_fmac_f64_e32 v[48:49], v[10:11], v[68:69]
	;; [unrolled: 6-line block ×3, first 2 shown]
	v_cvt_f64_f32_e32 v[14:15], v17
	v_cvt_f64_f32_e32 v[10:11], v16
	v_fmac_f64_e32 v[48:49], v[14:15], v[24:25]
	v_fmac_f64_e32 v[18:19], v[10:11], v[24:25]
	;; [unrolled: 1-line block ×3, first 2 shown]
	v_cvt_f64_f32_e32 v[10:11], v4
	v_cvt_f64_f32_e32 v[4:5], v5
	v_fmac_f64_e32 v[12:13], v[10:11], v[70:71]
	v_fmac_f64_e32 v[40:41], v[4:5], v[70:71]
	v_fma_f64 v[12:13], -v[4:5], v[72:73], v[12:13]
	v_fmac_f64_e32 v[40:41], v[10:11], v[72:73]
	v_cvt_f64_f32_e32 v[4:5], v6
	v_cvt_f64_f32_e32 v[6:7], v7
	v_fmac_f64_e32 v[12:13], v[4:5], v[66:67]
	v_fmac_f64_e32 v[40:41], v[6:7], v[66:67]
	v_fma_f64 v[10:11], -v[6:7], v[68:69], v[12:13]
	v_fmac_f64_e32 v[40:41], v[4:5], v[68:69]
	;; [unrolled: 6-line block ×3, first 2 shown]
	v_cvt_f64_f32_e32 v[0:1], v2
	v_cvt_f64_f32_e32 v[2:3], v3
	v_fmac_f64_e32 v[40:41], v[2:3], v[24:25]
	v_fmac_f64_e32 v[6:7], v[0:1], v[24:25]
	;; [unrolled: 1-line block ×3, first 2 shown]
	global_load_dword v0, v[60:61], off
	v_fma_f64 v[82:83], -v[14:15], v[26:27], v[18:19]
	v_add_co_u32_e32 v62, vcc, s19, v56
	v_addc_co_u32_e32 v63, vcc, 0, v57, vcc
	v_fma_f64 v[68:69], -v[2:3], v[26:27], v[6:7]
	s_waitcnt vmcnt(0)
	v_subrev_u32_e32 v0, s20, v0
	v_lshlrev_b32_e32 v18, 2, v0
	v_ashrrev_i32_e32 v19, 31, v18
	v_lshlrev_b64 v[18:19], 4, v[18:19]
	v_add_co_u32_e32 v64, vcc, s4, v18
	v_addc_co_u32_e32 v65, vcc, v37, v19, vcc
	global_load_dwordx4 v[0:3], v[62:63], off
	global_load_dwordx4 v[4:7], v[62:63], off offset:48
	global_load_dwordx4 v[10:13], v[62:63], off offset:32
	;; [unrolled: 1-line block ×6, first 2 shown]
	global_load_dwordx4 v[76:79], v[64:65], off
	s_waitcnt vmcnt(7)
	v_cvt_f64_f32_e32 v[26:27], v0
	v_cvt_f64_f32_e32 v[0:1], v1
	s_waitcnt vmcnt(0)
	v_fmac_f64_e32 v[8:9], v[26:27], v[76:77]
	v_fmac_f64_e32 v[52:53], v[0:1], v[76:77]
	v_fma_f64 v[8:9], -v[0:1], v[78:79], v[8:9]
	v_fmac_f64_e32 v[52:53], v[26:27], v[78:79]
	v_cvt_f64_f32_e32 v[0:1], v2
	v_cvt_f64_f32_e32 v[2:3], v3
	v_fmac_f64_e32 v[8:9], v[0:1], v[72:73]
	v_fmac_f64_e32 v[52:53], v[2:3], v[72:73]
	v_fma_f64 v[8:9], -v[2:3], v[74:75], v[8:9]
	v_fmac_f64_e32 v[52:53], v[0:1], v[74:75]
	v_cvt_f64_f32_e32 v[0:1], v14
	v_cvt_f64_f32_e32 v[2:3], v15
	;; [unrolled: 6-line block ×7, first 2 shown]
	v_fmac_f64_e32 v[4:5], v[0:1], v[18:19]
	v_fmac_f64_e32 v[50:51], v[2:3], v[18:19]
	v_fma_f64 v[66:67], -v[2:3], v[20:21], v[4:5]
	v_fmac_f64_e32 v[50:51], v[0:1], v[20:21]
	global_load_dwordx4 v[0:3], v[62:63], off offset:112
	global_load_dwordx4 v[4:7], v[62:63], off offset:96
	;; [unrolled: 1-line block ×4, first 2 shown]
	s_waitcnt vmcnt(0)
	v_cvt_f64_f32_e32 v[16:17], v12
	v_cvt_f64_f32_e32 v[12:13], v13
	v_fmac_f64_e32 v[82:83], v[16:17], v[76:77]
	v_fmac_f64_e32 v[48:49], v[12:13], v[76:77]
	v_fma_f64 v[26:27], -v[12:13], v[78:79], v[82:83]
	v_fmac_f64_e32 v[48:49], v[16:17], v[78:79]
	v_cvt_f64_f32_e32 v[12:13], v14
	v_cvt_f64_f32_e32 v[14:15], v15
	v_fmac_f64_e32 v[26:27], v[12:13], v[72:73]
	v_fmac_f64_e32 v[48:49], v[14:15], v[72:73]
	v_fma_f64 v[16:17], -v[14:15], v[74:75], v[26:27]
	v_fmac_f64_e32 v[48:49], v[12:13], v[74:75]
	;; [unrolled: 6-line block ×3, first 2 shown]
	v_cvt_f64_f32_e32 v[8:9], v10
	v_cvt_f64_f32_e32 v[10:11], v11
	v_fmac_f64_e32 v[48:49], v[10:11], v[18:19]
	v_fmac_f64_e32 v[14:15], v[8:9], v[18:19]
	;; [unrolled: 1-line block ×3, first 2 shown]
	v_cvt_f64_f32_e32 v[8:9], v4
	v_cvt_f64_f32_e32 v[4:5], v5
	v_fmac_f64_e32 v[68:69], v[8:9], v[76:77]
	v_fmac_f64_e32 v[40:41], v[4:5], v[76:77]
	v_fma_f64 v[70:71], -v[10:11], v[20:21], v[14:15]
	v_fma_f64 v[10:11], -v[4:5], v[78:79], v[68:69]
	v_fmac_f64_e32 v[40:41], v[8:9], v[78:79]
	v_cvt_f64_f32_e32 v[4:5], v6
	v_cvt_f64_f32_e32 v[6:7], v7
	v_fmac_f64_e32 v[10:11], v[4:5], v[72:73]
	v_fmac_f64_e32 v[40:41], v[6:7], v[72:73]
	v_fma_f64 v[8:9], -v[6:7], v[74:75], v[10:11]
	v_fmac_f64_e32 v[40:41], v[4:5], v[74:75]
	v_cvt_f64_f32_e32 v[4:5], v0
	v_cvt_f64_f32_e32 v[0:1], v1
	v_fmac_f64_e32 v[8:9], v[4:5], v[22:23]
	v_fmac_f64_e32 v[40:41], v[0:1], v[22:23]
	;; [unrolled: 6-line block ×3, first 2 shown]
	v_fmac_f64_e32 v[40:41], v[0:1], v[20:21]
	global_load_dword v0, v[60:61], off offset:64
	v_fma_f64 v[68:69], -v[2:3], v[20:21], v[6:7]
	s_waitcnt vmcnt(0)
	v_subrev_u32_e32 v0, s20, v0
	v_lshlrev_b32_e32 v12, 2, v0
	v_ashrrev_i32_e32 v13, 31, v12
	v_lshlrev_b64 v[12:13], 4, v[12:13]
	v_add_co_u32_e32 v78, vcc, s4, v12
	global_load_dwordx4 v[0:3], v[62:63], off offset:2096
	global_load_dwordx4 v[4:7], v[62:63], off offset:2080
	;; [unrolled: 1-line block ×4, first 2 shown]
	v_addc_co_u32_e32 v79, vcc, v37, v13, vcc
	global_load_dwordx4 v[12:15], v[78:79], off offset:48
	global_load_dwordx4 v[16:19], v[78:79], off offset:32
	;; [unrolled: 1-line block ×3, first 2 shown]
	global_load_dwordx4 v[24:27], v[78:79], off
	v_add_co_u32_e32 v58, vcc, 64, v58
	v_addc_co_u32_e32 v59, vcc, 0, v59, vcc
	v_add_co_u32_e32 v60, vcc, 0x100, v60
	v_addc_co_u32_e32 v61, vcc, 0, v61, vcc
	v_cmp_ge_i64_e64 s[2:3], v[58:59], v[44:45]
	v_add_co_u32_e32 v56, vcc, 0x2000, v56
	v_addc_co_u32_e32 v57, vcc, 0, v57, vcc
	s_or_b64 s[16:17], s[2:3], s[16:17]
	s_waitcnt vmcnt(4)
	v_cvt_f64_f32_e32 v[76:77], v72
	v_cvt_f64_f32_e32 v[72:73], v73
	s_waitcnt vmcnt(0)
	v_fmac_f64_e32 v[64:65], v[76:77], v[24:25]
	v_fmac_f64_e32 v[52:53], v[72:73], v[24:25]
	v_fma_f64 v[64:65], -v[72:73], v[26:27], v[64:65]
	v_fmac_f64_e32 v[52:53], v[76:77], v[26:27]
	v_cvt_f64_f32_e32 v[72:73], v74
	v_cvt_f64_f32_e32 v[74:75], v75
	v_fmac_f64_e32 v[64:65], v[72:73], v[20:21]
	v_fmac_f64_e32 v[52:53], v[74:75], v[20:21]
	v_fma_f64 v[64:65], -v[74:75], v[22:23], v[64:65]
	v_fmac_f64_e32 v[52:53], v[72:73], v[22:23]
	v_cvt_f64_f32_e32 v[72:73], v8
	v_cvt_f64_f32_e32 v[8:9], v9
	;; [unrolled: 6-line block ×3, first 2 shown]
	v_fmac_f64_e32 v[52:53], v[10:11], v[12:13]
	v_fmac_f64_e32 v[64:65], v[8:9], v[12:13]
	;; [unrolled: 1-line block ×3, first 2 shown]
	v_cvt_f64_f32_e32 v[8:9], v4
	v_cvt_f64_f32_e32 v[4:5], v5
	v_fmac_f64_e32 v[66:67], v[8:9], v[24:25]
	v_fmac_f64_e32 v[50:51], v[4:5], v[24:25]
	v_fma_f64 v[64:65], -v[10:11], v[14:15], v[64:65]
	v_fma_f64 v[10:11], -v[4:5], v[26:27], v[66:67]
	v_fmac_f64_e32 v[50:51], v[8:9], v[26:27]
	v_cvt_f64_f32_e32 v[4:5], v6
	v_cvt_f64_f32_e32 v[6:7], v7
	v_fmac_f64_e32 v[10:11], v[4:5], v[20:21]
	v_fmac_f64_e32 v[50:51], v[6:7], v[20:21]
	v_fma_f64 v[8:9], -v[6:7], v[22:23], v[10:11]
	v_fmac_f64_e32 v[50:51], v[4:5], v[22:23]
	v_cvt_f64_f32_e32 v[4:5], v0
	v_cvt_f64_f32_e32 v[0:1], v1
	v_fmac_f64_e32 v[8:9], v[4:5], v[16:17]
	v_fmac_f64_e32 v[50:51], v[0:1], v[16:17]
	;; [unrolled: 6-line block ×3, first 2 shown]
	v_fma_f64 v[66:67], -v[2:3], v[14:15], v[6:7]
	v_fmac_f64_e32 v[50:51], v[0:1], v[14:15]
	global_load_dwordx4 v[0:3], v[62:63], off offset:2160
	global_load_dwordx4 v[4:7], v[62:63], off offset:2144
	;; [unrolled: 1-line block ×4, first 2 shown]
	s_waitcnt vmcnt(0)
	v_cvt_f64_f32_e32 v[62:63], v72
	v_cvt_f64_f32_e32 v[72:73], v73
	v_fmac_f64_e32 v[70:71], v[62:63], v[24:25]
	v_fmac_f64_e32 v[48:49], v[72:73], v[24:25]
	v_fma_f64 v[70:71], -v[72:73], v[26:27], v[70:71]
	v_fmac_f64_e32 v[48:49], v[62:63], v[26:27]
	v_cvt_f64_f32_e32 v[62:63], v74
	v_cvt_f64_f32_e32 v[72:73], v75
	v_fmac_f64_e32 v[70:71], v[62:63], v[20:21]
	v_fmac_f64_e32 v[48:49], v[72:73], v[20:21]
	v_fma_f64 v[70:71], -v[72:73], v[22:23], v[70:71]
	v_fmac_f64_e32 v[48:49], v[62:63], v[22:23]
	;; [unrolled: 6-line block ×3, first 2 shown]
	v_cvt_f64_f32_e32 v[8:9], v10
	v_cvt_f64_f32_e32 v[10:11], v11
	v_fmac_f64_e32 v[48:49], v[10:11], v[12:13]
	v_fmac_f64_e32 v[70:71], v[8:9], v[12:13]
	;; [unrolled: 1-line block ×3, first 2 shown]
	v_cvt_f64_f32_e32 v[8:9], v4
	v_cvt_f64_f32_e32 v[4:5], v5
	v_fmac_f64_e32 v[68:69], v[8:9], v[24:25]
	v_fmac_f64_e32 v[40:41], v[4:5], v[24:25]
	v_fma_f64 v[62:63], -v[10:11], v[14:15], v[70:71]
	v_fma_f64 v[10:11], -v[4:5], v[26:27], v[68:69]
	v_fmac_f64_e32 v[40:41], v[8:9], v[26:27]
	v_cvt_f64_f32_e32 v[4:5], v6
	v_cvt_f64_f32_e32 v[6:7], v7
	v_fmac_f64_e32 v[10:11], v[4:5], v[20:21]
	v_fmac_f64_e32 v[40:41], v[6:7], v[20:21]
	v_fma_f64 v[8:9], -v[6:7], v[22:23], v[10:11]
	v_fmac_f64_e32 v[40:41], v[4:5], v[22:23]
	v_cvt_f64_f32_e32 v[4:5], v0
	v_cvt_f64_f32_e32 v[0:1], v1
	v_fmac_f64_e32 v[8:9], v[4:5], v[16:17]
	v_fmac_f64_e32 v[40:41], v[0:1], v[16:17]
	;; [unrolled: 6-line block ×3, first 2 shown]
	v_fma_f64 v[16:17], -v[2:3], v[14:15], v[6:7]
	v_fmac_f64_e32 v[40:41], v[0:1], v[14:15]
	s_andn2_b64 exec, exec, s[16:17]
	s_cbranch_execnz .LBB172_23
; %bb.24:
	s_or_b64 exec, exec, s[16:17]
.LBB172_25:
	s_or_b64 exec, exec, s[14:15]
.LBB172_26:
	s_or_b64 exec, exec, s[10:11]
	s_andn2_b64 vcc, exec, s[8:9]
	s_cbranch_vccz .LBB172_28
	s_branch .LBB172_39
.LBB172_27:
                                        ; implicit-def: $vgpr52_vgpr53
                                        ; implicit-def: $vgpr64_vgpr65
                                        ; implicit-def: $vgpr50_vgpr51
                                        ; implicit-def: $vgpr66_vgpr67
                                        ; implicit-def: $vgpr48_vgpr49
                                        ; implicit-def: $vgpr62_vgpr63
                                        ; implicit-def: $vgpr40_vgpr41
                                        ; implicit-def: $vgpr16_vgpr17
.LBB172_28:
	v_pk_mov_b32 v[52:53], 0, 0
	v_pk_mov_b32 v[64:65], v[52:53], v[52:53] op_sel:[0,1]
	v_pk_mov_b32 v[50:51], v[52:53], v[52:53] op_sel:[0,1]
	;; [unrolled: 1-line block ×7, first 2 shown]
	s_and_saveexec_b64 s[2:3], s[0:1]
	s_cbranch_execz .LBB172_38
; %bb.29:
	v_or_b32_e32 v0, 16, v38
	v_mov_b32_e32 v1, s18
	v_subrev_co_u32_e32 v0, vcc, s20, v0
	v_subb_co_u32_e32 v1, vcc, 0, v1, vcc
	v_add_co_u32_e32 v0, vcc, v0, v54
	v_addc_co_u32_e32 v1, vcc, v1, v55, vcc
	v_cmp_gt_i64_e32 vcc, v[0:1], v[44:45]
	v_cndmask_b32_e32 v1, v45, v1, vcc
	v_cndmask_b32_e32 v0, v44, v0, vcc
	v_mov_b32_e32 v4, s18
	v_sub_co_u32_e32 v5, vcc, s20, v38
	v_not_b32_e32 v3, v54
	v_subbrev_co_u32_e32 v4, vcc, 0, v4, vcc
	v_not_b32_e32 v2, v55
	v_add_co_u32_e32 v3, vcc, v5, v3
	v_addc_co_u32_e32 v2, vcc, v4, v2, vcc
	v_add_co_u32_e32 v18, vcc, v3, v0
	v_lshrrev_b32_e32 v0, 4, v18
	v_add_u32_e32 v0, 1, v0
	v_addc_co_u32_e32 v19, vcc, v2, v1, vcc
	v_and_b32_e32 v0, 3, v0
	v_pk_mov_b32 v[16:17], 0, 0
	v_cmp_ne_u32_e32 vcc, 0, v0
	s_mov_b64 s[10:11], 0
	v_pk_mov_b32 v[40:41], v[16:17], v[16:17] op_sel:[0,1]
	v_pk_mov_b32 v[62:63], v[16:17], v[16:17] op_sel:[0,1]
	;; [unrolled: 1-line block ×7, first 2 shown]
	s_and_saveexec_b64 s[8:9], vcc
	s_cbranch_execz .LBB172_33
; %bb.30:
	v_lshlrev_b64 v[2:3], 2, v[42:43]
	v_mov_b32_e32 v1, s13
	v_add_co_u32_e32 v22, vcc, s12, v2
	v_pk_mov_b32 v[52:53], 0, 0
	v_mov_b32_e32 v21, 0
	v_addc_co_u32_e32 v23, vcc, v1, v3, vcc
	v_lshlrev_b32_e32 v20, 2, v0
	s_movk_i32 s14, 0x800
	v_mov_b32_e32 v24, s5
	v_pk_mov_b32 v[64:65], v[52:53], v[52:53] op_sel:[0,1]
	v_pk_mov_b32 v[50:51], v[52:53], v[52:53] op_sel:[0,1]
	;; [unrolled: 1-line block ×7, first 2 shown]
.LBB172_31:                             ; =>This Inner Loop Header: Depth=1
	global_load_dword v25, v[22:23], off
	global_load_dwordx4 v[12:15], v[46:47], off
	global_load_dwordx4 v[8:11], v[46:47], off offset:16
	global_load_dwordx4 v[4:7], v[46:47], off offset:32
	global_load_dwordx4 v[0:3], v[46:47], off offset:48
	global_load_dwordx4 v[54:57], v[46:47], off offset:64
	global_load_dwordx4 v[58:61], v[46:47], off offset:80
	global_load_dwordx4 v[68:71], v[46:47], off offset:96
	global_load_dwordx4 v[72:75], v[46:47], off offset:112
	v_add_co_u32_e64 v42, s[0:1], 16, v42
	v_addc_co_u32_e64 v43, s[0:1], 0, v43, s[0:1]
	v_add_co_u32_e64 v22, s[0:1], 64, v22
	v_addc_co_u32_e64 v23, s[0:1], 0, v23, s[0:1]
	v_add_co_u32_e32 v46, vcc, s14, v46
	v_add_co_u32_e64 v20, s[0:1], -4, v20
	v_addc_co_u32_e64 v21, s[0:1], -1, v21, s[0:1]
	v_addc_co_u32_e32 v47, vcc, 0, v47, vcc
	v_cmp_eq_u64_e32 vcc, 0, v[20:21]
	s_or_b64 s[10:11], vcc, s[10:11]
	s_waitcnt vmcnt(8)
	v_subrev_u32_e32 v25, s20, v25
	s_waitcnt vmcnt(7)
	v_cvt_f64_f32_e32 v[26:27], v12
	v_cvt_f64_f32_e32 v[80:81], v13
	s_waitcnt vmcnt(5)
	v_cvt_f64_f32_e32 v[94:95], v4
	v_lshlrev_b32_e32 v4, 2, v25
	v_cvt_f64_f32_e32 v[96:97], v5
	v_ashrrev_i32_e32 v5, 31, v4
	v_lshlrev_b64 v[4:5], 4, v[4:5]
	v_add_co_u32_e32 v106, vcc, s4, v4
	v_addc_co_u32_e32 v107, vcc, v24, v5, vcc
	v_cvt_f64_f32_e32 v[82:83], v14
	v_cvt_f64_f32_e32 v[84:85], v15
	;; [unrolled: 1-line block ×8, first 2 shown]
	global_load_dwordx4 v[4:7], v[106:107], off
	global_load_dwordx4 v[8:11], v[106:107], off offset:16
	global_load_dwordx4 v[12:15], v[106:107], off offset:32
	;; [unrolled: 1-line block ×3, first 2 shown]
	s_waitcnt vmcnt(8)
	v_cvt_f64_f32_e32 v[102:103], v0
	v_cvt_f64_f32_e32 v[0:1], v1
	v_cvt_f64_f32_e32 v[104:105], v2
	v_cvt_f64_f32_e32 v[2:3], v3
	s_waitcnt vmcnt(7)
	v_cvt_f64_f32_e32 v[106:107], v54
	v_cvt_f64_f32_e32 v[54:55], v55
	v_cvt_f64_f32_e32 v[108:109], v56
	v_cvt_f64_f32_e32 v[56:57], v57
	;; [unrolled: 5-line block ×5, first 2 shown]
	s_waitcnt vmcnt(3)
	v_fmac_f64_e32 v[64:65], v[26:27], v[4:5]
	v_fmac_f64_e32 v[52:53], v[80:81], v[4:5]
	v_fmac_f64_e32 v[66:67], v[82:83], v[4:5]
	v_fmac_f64_e32 v[50:51], v[84:85], v[4:5]
	v_fmac_f64_e32 v[62:63], v[86:87], v[4:5]
	v_fmac_f64_e32 v[48:49], v[88:89], v[4:5]
	v_fmac_f64_e32 v[16:17], v[90:91], v[4:5]
	v_fmac_f64_e32 v[40:41], v[92:93], v[4:5]
	v_fma_f64 v[4:5], -v[80:81], v[6:7], v[64:65]
	v_fmac_f64_e32 v[52:53], v[26:27], v[6:7]
	v_fma_f64 v[26:27], -v[84:85], v[6:7], v[66:67]
	v_fmac_f64_e32 v[50:51], v[82:83], v[6:7]
	v_fma_f64 v[62:63], -v[88:89], v[6:7], v[62:63]
	v_fmac_f64_e32 v[48:49], v[86:87], v[6:7]
	v_fma_f64 v[16:17], -v[92:93], v[6:7], v[16:17]
	v_fmac_f64_e32 v[40:41], v[90:91], v[6:7]
	s_waitcnt vmcnt(2)
	v_fmac_f64_e32 v[4:5], v[94:95], v[8:9]
	v_fmac_f64_e32 v[52:53], v[96:97], v[8:9]
	v_fmac_f64_e32 v[26:27], v[98:99], v[8:9]
	v_fmac_f64_e32 v[50:51], v[100:101], v[8:9]
	v_fmac_f64_e32 v[62:63], v[102:103], v[8:9]
	v_fmac_f64_e32 v[48:49], v[0:1], v[8:9]
	v_fmac_f64_e32 v[16:17], v[104:105], v[8:9]
	v_fmac_f64_e32 v[40:41], v[2:3], v[8:9]
	v_fma_f64 v[4:5], -v[96:97], v[10:11], v[4:5]
	v_fmac_f64_e32 v[52:53], v[94:95], v[10:11]
	v_fma_f64 v[6:7], -v[100:101], v[10:11], v[26:27]
	v_fmac_f64_e32 v[50:51], v[98:99], v[10:11]
	v_fma_f64 v[0:1], -v[0:1], v[10:11], v[62:63]
	v_fmac_f64_e32 v[48:49], v[102:103], v[10:11]
	v_fma_f64 v[2:3], -v[2:3], v[10:11], v[16:17]
	v_fmac_f64_e32 v[40:41], v[104:105], v[10:11]
	;; [unrolled: 17-line block ×4, first 2 shown]
	s_andn2_b64 exec, exec, s[10:11]
	s_cbranch_execnz .LBB172_31
; %bb.32:
	s_or_b64 exec, exec, s[10:11]
.LBB172_33:
	s_or_b64 exec, exec, s[8:9]
	v_cmp_lt_u64_e32 vcc, 47, v[18:19]
	s_and_saveexec_b64 s[8:9], vcc
	s_cbranch_execz .LBB172_37
; %bb.34:
	v_lshlrev_b64 v[0:1], 2, v[42:43]
	v_mov_b32_e32 v2, s13
	v_add_co_u32_e32 v0, vcc, s12, v0
	v_addc_co_u32_e32 v1, vcc, v1, v2, vcc
	v_add_co_u32_e32 v20, vcc, 0x80, v0
	v_addc_co_u32_e32 v21, vcc, 0, v1, vcc
	s_mov_b64 s[10:11], 0
	v_mov_b32_e32 v37, s5
	s_movk_i32 s5, 0x1000
.LBB172_35:                             ; =>This Inner Loop Header: Depth=1
	global_load_dword v0, v[20:21], off offset:-128
	global_load_dwordx4 v[8:11], v[46:47], off offset:48
	global_load_dwordx4 v[12:15], v[46:47], off offset:32
	;; [unrolled: 1-line block ×3, first 2 shown]
	global_load_dwordx4 v[54:57], v[46:47], off
	s_waitcnt vmcnt(4)
	v_subrev_u32_e32 v0, s20, v0
	v_lshlrev_b32_e32 v0, 2, v0
	v_ashrrev_i32_e32 v1, 31, v0
	v_lshlrev_b64 v[0:1], 4, v[0:1]
	s_waitcnt vmcnt(0)
	v_cvt_f64_f32_e32 v[18:19], v54
	v_add_co_u32_e32 v54, vcc, s4, v0
	v_cvt_f64_f32_e32 v[26:27], v55
	v_addc_co_u32_e32 v55, vcc, v37, v1, vcc
	global_load_dwordx4 v[0:3], v[54:55], off offset:48
	global_load_dwordx4 v[4:7], v[54:55], off offset:32
	;; [unrolled: 1-line block ×3, first 2 shown]
	global_load_dwordx4 v[68:71], v[54:55], off
	s_waitcnt vmcnt(0)
	v_fmac_f64_e32 v[64:65], v[18:19], v[68:69]
	v_fma_f64 v[54:55], -v[26:27], v[70:71], v[64:65]
	v_fmac_f64_e32 v[52:53], v[26:27], v[68:69]
	v_cvt_f64_f32_e32 v[26:27], v57
	v_fmac_f64_e32 v[52:53], v[18:19], v[70:71]
	v_cvt_f64_f32_e32 v[18:19], v56
	v_fmac_f64_e32 v[50:51], v[26:27], v[68:69]
	v_fmac_f64_e32 v[66:67], v[18:19], v[68:69]
	;; [unrolled: 1-line block ×3, first 2 shown]
	v_cvt_f64_f32_e32 v[18:19], v22
	v_cvt_f64_f32_e32 v[22:23], v23
	v_fmac_f64_e32 v[62:63], v[18:19], v[68:69]
	v_fma_f64 v[56:57], -v[26:27], v[70:71], v[66:67]
	v_fma_f64 v[26:27], -v[22:23], v[70:71], v[62:63]
	v_fmac_f64_e32 v[48:49], v[22:23], v[68:69]
	v_cvt_f64_f32_e32 v[22:23], v25
	v_fmac_f64_e32 v[48:49], v[18:19], v[70:71]
	v_cvt_f64_f32_e32 v[18:19], v24
	v_fmac_f64_e32 v[40:41], v[22:23], v[68:69]
	v_fmac_f64_e32 v[16:17], v[18:19], v[68:69]
	;; [unrolled: 1-line block ×3, first 2 shown]
	v_cvt_f64_f32_e32 v[18:19], v12
	v_cvt_f64_f32_e32 v[12:13], v13
	v_fmac_f64_e32 v[54:55], v[18:19], v[58:59]
	v_fma_f64 v[54:55], -v[12:13], v[60:61], v[54:55]
	v_fmac_f64_e32 v[52:53], v[12:13], v[58:59]
	v_cvt_f64_f32_e32 v[12:13], v14
	v_cvt_f64_f32_e32 v[14:15], v15
	v_fmac_f64_e32 v[50:51], v[14:15], v[58:59]
	v_fmac_f64_e32 v[56:57], v[12:13], v[58:59]
	;; [unrolled: 1-line block ×3, first 2 shown]
	v_cvt_f64_f32_e32 v[12:13], v8
	v_cvt_f64_f32_e32 v[8:9], v9
	v_fmac_f64_e32 v[26:27], v[12:13], v[58:59]
	v_fma_f64 v[16:17], -v[22:23], v[70:71], v[16:17]
	v_fma_f64 v[26:27], -v[8:9], v[60:61], v[26:27]
	v_fmac_f64_e32 v[48:49], v[8:9], v[58:59]
	v_cvt_f64_f32_e32 v[8:9], v10
	v_cvt_f64_f32_e32 v[10:11], v11
	v_fmac_f64_e32 v[16:17], v[8:9], v[58:59]
	v_fmac_f64_e32 v[40:41], v[10:11], v[58:59]
	;; [unrolled: 1-line block ×3, first 2 shown]
	v_fma_f64 v[56:57], -v[14:15], v[60:61], v[56:57]
	v_fmac_f64_e32 v[48:49], v[12:13], v[60:61]
	v_fma_f64 v[62:63], -v[10:11], v[60:61], v[16:17]
	v_fmac_f64_e32 v[40:41], v[8:9], v[60:61]
	global_load_dwordx4 v[8:11], v[46:47], off offset:112
	global_load_dwordx4 v[12:15], v[46:47], off offset:96
	;; [unrolled: 1-line block ×4, first 2 shown]
	s_waitcnt vmcnt(0)
	v_cvt_f64_f32_e32 v[58:59], v22
	v_cvt_f64_f32_e32 v[22:23], v23
	v_fmac_f64_e32 v[54:55], v[58:59], v[4:5]
	v_fma_f64 v[54:55], -v[22:23], v[6:7], v[54:55]
	v_fmac_f64_e32 v[52:53], v[22:23], v[4:5]
	v_cvt_f64_f32_e32 v[22:23], v24
	v_cvt_f64_f32_e32 v[24:25], v25
	v_fmac_f64_e32 v[50:51], v[24:25], v[4:5]
	v_fmac_f64_e32 v[56:57], v[22:23], v[4:5]
	;; [unrolled: 1-line block ×3, first 2 shown]
	v_cvt_f64_f32_e32 v[22:23], v16
	v_cvt_f64_f32_e32 v[16:17], v17
	v_fmac_f64_e32 v[26:27], v[22:23], v[4:5]
	v_fma_f64 v[56:57], -v[24:25], v[6:7], v[56:57]
	v_fma_f64 v[24:25], -v[16:17], v[6:7], v[26:27]
	v_fmac_f64_e32 v[48:49], v[16:17], v[4:5]
	v_cvt_f64_f32_e32 v[16:17], v18
	v_cvt_f64_f32_e32 v[18:19], v19
	v_fmac_f64_e32 v[62:63], v[16:17], v[4:5]
	v_fmac_f64_e32 v[40:41], v[18:19], v[4:5]
	v_fmac_f64_e32 v[52:53], v[58:59], v[6:7]
	v_fmac_f64_e32 v[48:49], v[22:23], v[6:7]
	v_fma_f64 v[22:23], -v[18:19], v[6:7], v[62:63]
	v_fmac_f64_e32 v[40:41], v[16:17], v[6:7]
	v_cvt_f64_f32_e32 v[4:5], v12
	v_cvt_f64_f32_e32 v[6:7], v13
	v_fmac_f64_e32 v[54:55], v[4:5], v[0:1]
	v_fmac_f64_e32 v[52:53], v[6:7], v[0:1]
	v_fma_f64 v[18:19], -v[6:7], v[2:3], v[54:55]
	v_fmac_f64_e32 v[52:53], v[4:5], v[2:3]
	v_cvt_f64_f32_e32 v[4:5], v14
	v_cvt_f64_f32_e32 v[6:7], v15
	v_fmac_f64_e32 v[56:57], v[4:5], v[0:1]
	v_fmac_f64_e32 v[50:51], v[6:7], v[0:1]
	;; [unrolled: 6-line block ×4, first 2 shown]
	global_load_dword v0, v[20:21], off offset:-64
	v_fma_f64 v[12:13], -v[6:7], v[2:3], v[22:23]
	v_fmac_f64_e32 v[40:41], v[4:5], v[2:3]
	s_waitcnt vmcnt(0)
	v_subrev_u32_e32 v0, s20, v0
	v_lshlrev_b32_e32 v26, 2, v0
	v_ashrrev_i32_e32 v27, 31, v26
	v_lshlrev_b64 v[26:27], 4, v[26:27]
	v_add_co_u32_e32 v26, vcc, s4, v26
	global_load_dwordx4 v[0:3], v[46:47], off offset:2096
	global_load_dwordx4 v[4:7], v[46:47], off offset:2080
	;; [unrolled: 1-line block ×4, first 2 shown]
	v_addc_co_u32_e32 v27, vcc, v37, v27, vcc
	global_load_dwordx4 v[54:57], v[26:27], off offset:48
	global_load_dwordx4 v[58:61], v[26:27], off offset:32
	;; [unrolled: 1-line block ×3, first 2 shown]
	global_load_dwordx4 v[66:69], v[26:27], off
	s_waitcnt vmcnt(4)
	v_cvt_f64_f32_e32 v[70:71], v22
	v_cvt_f64_f32_e32 v[22:23], v23
	s_waitcnt vmcnt(0)
	v_fmac_f64_e32 v[18:19], v[70:71], v[66:67]
	v_fma_f64 v[18:19], -v[22:23], v[68:69], v[18:19]
	v_fmac_f64_e32 v[52:53], v[22:23], v[66:67]
	v_cvt_f64_f32_e32 v[22:23], v24
	v_cvt_f64_f32_e32 v[24:25], v25
	v_fmac_f64_e32 v[50:51], v[24:25], v[66:67]
	v_fmac_f64_e32 v[16:17], v[22:23], v[66:67]
	;; [unrolled: 1-line block ×3, first 2 shown]
	v_cvt_f64_f32_e32 v[22:23], v8
	v_cvt_f64_f32_e32 v[8:9], v9
	v_fmac_f64_e32 v[14:15], v[22:23], v[66:67]
	v_fma_f64 v[14:15], -v[8:9], v[68:69], v[14:15]
	v_fmac_f64_e32 v[48:49], v[8:9], v[66:67]
	v_cvt_f64_f32_e32 v[8:9], v10
	v_cvt_f64_f32_e32 v[10:11], v11
	v_fmac_f64_e32 v[40:41], v[10:11], v[66:67]
	v_fmac_f64_e32 v[12:13], v[8:9], v[66:67]
	;; [unrolled: 1-line block ×3, first 2 shown]
	v_cvt_f64_f32_e32 v[8:9], v4
	v_fmac_f64_e32 v[52:53], v[70:71], v[68:69]
	v_cvt_f64_f32_e32 v[4:5], v5
	v_fmac_f64_e32 v[18:19], v[8:9], v[62:63]
	v_fma_f64 v[18:19], -v[4:5], v[64:65], v[18:19]
	v_fmac_f64_e32 v[52:53], v[4:5], v[62:63]
	v_cvt_f64_f32_e32 v[4:5], v6
	v_cvt_f64_f32_e32 v[6:7], v7
	v_fma_f64 v[16:17], -v[24:25], v[68:69], v[16:17]
	v_fmac_f64_e32 v[50:51], v[6:7], v[62:63]
	v_fmac_f64_e32 v[16:17], v[4:5], v[62:63]
	;; [unrolled: 1-line block ×3, first 2 shown]
	v_cvt_f64_f32_e32 v[4:5], v0
	v_fmac_f64_e32 v[48:49], v[22:23], v[68:69]
	v_cvt_f64_f32_e32 v[0:1], v1
	v_fmac_f64_e32 v[14:15], v[4:5], v[62:63]
	v_fma_f64 v[12:13], -v[10:11], v[68:69], v[12:13]
	v_fma_f64 v[22:23], -v[0:1], v[64:65], v[14:15]
	v_fmac_f64_e32 v[48:49], v[0:1], v[62:63]
	v_cvt_f64_f32_e32 v[0:1], v2
	v_cvt_f64_f32_e32 v[2:3], v3
	v_fmac_f64_e32 v[12:13], v[0:1], v[62:63]
	v_fmac_f64_e32 v[40:41], v[2:3], v[62:63]
	;; [unrolled: 1-line block ×3, first 2 shown]
	v_fma_f64 v[16:17], -v[6:7], v[64:65], v[16:17]
	v_fmac_f64_e32 v[48:49], v[4:5], v[64:65]
	v_fma_f64 v[24:25], -v[2:3], v[64:65], v[12:13]
	v_fmac_f64_e32 v[40:41], v[0:1], v[64:65]
	global_load_dwordx4 v[0:3], v[46:47], off offset:2160
	global_load_dwordx4 v[4:7], v[46:47], off offset:2144
	;; [unrolled: 1-line block ×4, first 2 shown]
	s_waitcnt vmcnt(0)
	v_cvt_f64_f32_e32 v[26:27], v12
	v_cvt_f64_f32_e32 v[12:13], v13
	v_fmac_f64_e32 v[18:19], v[26:27], v[58:59]
	v_fma_f64 v[18:19], -v[12:13], v[60:61], v[18:19]
	v_fmac_f64_e32 v[52:53], v[12:13], v[58:59]
	v_cvt_f64_f32_e32 v[12:13], v14
	v_cvt_f64_f32_e32 v[14:15], v15
	v_fmac_f64_e32 v[50:51], v[14:15], v[58:59]
	v_fmac_f64_e32 v[16:17], v[12:13], v[58:59]
	;; [unrolled: 1-line block ×3, first 2 shown]
	v_cvt_f64_f32_e32 v[12:13], v8
	v_cvt_f64_f32_e32 v[8:9], v9
	v_fmac_f64_e32 v[22:23], v[12:13], v[58:59]
	v_fma_f64 v[16:17], -v[14:15], v[60:61], v[16:17]
	v_fma_f64 v[14:15], -v[8:9], v[60:61], v[22:23]
	v_fmac_f64_e32 v[48:49], v[8:9], v[58:59]
	v_cvt_f64_f32_e32 v[8:9], v10
	v_cvt_f64_f32_e32 v[10:11], v11
	v_fmac_f64_e32 v[40:41], v[10:11], v[58:59]
	v_fmac_f64_e32 v[24:25], v[8:9], v[58:59]
	;; [unrolled: 1-line block ×3, first 2 shown]
	v_cvt_f64_f32_e32 v[8:9], v4
	v_fmac_f64_e32 v[52:53], v[26:27], v[60:61]
	v_cvt_f64_f32_e32 v[4:5], v5
	v_fmac_f64_e32 v[18:19], v[8:9], v[54:55]
	v_fma_f64 v[62:63], -v[4:5], v[56:57], v[18:19]
	v_fmac_f64_e32 v[52:53], v[4:5], v[54:55]
	v_cvt_f64_f32_e32 v[4:5], v6
	v_cvt_f64_f32_e32 v[6:7], v7
	v_fmac_f64_e32 v[50:51], v[6:7], v[54:55]
	v_fmac_f64_e32 v[16:17], v[4:5], v[54:55]
	;; [unrolled: 1-line block ×3, first 2 shown]
	v_cvt_f64_f32_e32 v[4:5], v0
	v_fmac_f64_e32 v[48:49], v[12:13], v[60:61]
	v_cvt_f64_f32_e32 v[0:1], v1
	v_fmac_f64_e32 v[14:15], v[4:5], v[54:55]
	v_fma_f64 v[66:67], -v[0:1], v[56:57], v[14:15]
	v_fmac_f64_e32 v[48:49], v[0:1], v[54:55]
	v_cvt_f64_f32_e32 v[0:1], v2
	v_cvt_f64_f32_e32 v[2:3], v3
	v_fma_f64 v[12:13], -v[10:11], v[60:61], v[24:25]
	v_fmac_f64_e32 v[40:41], v[2:3], v[54:55]
	v_fmac_f64_e32 v[12:13], v[0:1], v[54:55]
	;; [unrolled: 1-line block ×3, first 2 shown]
	global_load_dword v0, v[20:21], off
	v_fma_f64 v[64:65], -v[6:7], v[56:57], v[16:17]
	v_add_co_u32_e32 v22, vcc, s5, v46
	v_addc_co_u32_e32 v23, vcc, 0, v47, vcc
	v_fmac_f64_e32 v[52:53], v[8:9], v[56:57]
	v_fmac_f64_e32 v[48:49], v[4:5], v[56:57]
	v_fma_f64 v[68:69], -v[2:3], v[56:57], v[12:13]
	s_waitcnt vmcnt(0)
	v_subrev_u32_e32 v0, s20, v0
	v_lshlrev_b32_e32 v16, 2, v0
	v_ashrrev_i32_e32 v17, 31, v16
	v_lshlrev_b64 v[16:17], 4, v[16:17]
	v_add_co_u32_e32 v72, vcc, s4, v16
	v_addc_co_u32_e32 v73, vcc, v37, v17, vcc
	global_load_dwordx4 v[0:3], v[22:23], off
	global_load_dwordx4 v[4:7], v[22:23], off offset:48
	global_load_dwordx4 v[8:11], v[22:23], off offset:32
	;; [unrolled: 1-line block ×6, first 2 shown]
	global_load_dwordx4 v[58:61], v[72:73], off
	s_waitcnt vmcnt(7)
	v_cvt_f64_f32_e32 v[70:71], v0
	v_cvt_f64_f32_e32 v[0:1], v1
	s_waitcnt vmcnt(0)
	v_fmac_f64_e32 v[62:63], v[70:71], v[58:59]
	v_fma_f64 v[62:63], -v[0:1], v[60:61], v[62:63]
	v_fmac_f64_e32 v[52:53], v[0:1], v[58:59]
	v_cvt_f64_f32_e32 v[0:1], v2
	v_cvt_f64_f32_e32 v[2:3], v3
	v_fmac_f64_e32 v[64:65], v[0:1], v[58:59]
	v_fmac_f64_e32 v[50:51], v[2:3], v[58:59]
	v_fma_f64 v[64:65], -v[2:3], v[60:61], v[64:65]
	v_fmac_f64_e32 v[50:51], v[0:1], v[60:61]
	v_cvt_f64_f32_e32 v[0:1], v12
	v_cvt_f64_f32_e32 v[2:3], v13
	v_fmac_f64_e32 v[66:67], v[0:1], v[58:59]
	;; [unrolled: 6-line block ×3, first 2 shown]
	v_fmac_f64_e32 v[40:41], v[2:3], v[58:59]
	v_fmac_f64_e32 v[52:53], v[70:71], v[60:61]
	v_fma_f64 v[14:15], -v[2:3], v[60:61], v[68:69]
	v_fmac_f64_e32 v[40:41], v[0:1], v[60:61]
	v_cvt_f64_f32_e32 v[0:1], v8
	v_cvt_f64_f32_e32 v[2:3], v9
	v_fmac_f64_e32 v[62:63], v[0:1], v[54:55]
	v_fmac_f64_e32 v[52:53], v[2:3], v[54:55]
	v_fma_f64 v[58:59], -v[2:3], v[56:57], v[62:63]
	v_fmac_f64_e32 v[52:53], v[0:1], v[56:57]
	v_cvt_f64_f32_e32 v[0:1], v10
	v_cvt_f64_f32_e32 v[2:3], v11
	;; [unrolled: 6-line block ×4, first 2 shown]
	v_fmac_f64_e32 v[14:15], v[0:1], v[54:55]
	v_fmac_f64_e32 v[40:41], v[2:3], v[54:55]
	v_fma_f64 v[64:65], -v[2:3], v[56:57], v[14:15]
	v_fmac_f64_e32 v[40:41], v[0:1], v[56:57]
	global_load_dwordx4 v[0:3], v[22:23], off offset:112
	global_load_dwordx4 v[4:7], v[22:23], off offset:96
	;; [unrolled: 1-line block ×4, first 2 shown]
	s_waitcnt vmcnt(0)
	v_cvt_f64_f32_e32 v[54:55], v12
	v_cvt_f64_f32_e32 v[12:13], v13
	v_fmac_f64_e32 v[58:59], v[54:55], v[24:25]
	v_fma_f64 v[56:57], -v[12:13], v[26:27], v[58:59]
	v_fmac_f64_e32 v[52:53], v[12:13], v[24:25]
	v_cvt_f64_f32_e32 v[12:13], v14
	v_cvt_f64_f32_e32 v[14:15], v15
	v_fmac_f64_e32 v[50:51], v[14:15], v[24:25]
	v_fmac_f64_e32 v[60:61], v[12:13], v[24:25]
	;; [unrolled: 1-line block ×3, first 2 shown]
	v_cvt_f64_f32_e32 v[12:13], v8
	v_cvt_f64_f32_e32 v[8:9], v9
	v_fmac_f64_e32 v[62:63], v[12:13], v[24:25]
	v_fmac_f64_e32 v[52:53], v[54:55], v[26:27]
	v_fma_f64 v[54:55], -v[14:15], v[26:27], v[60:61]
	v_fma_f64 v[14:15], -v[8:9], v[26:27], v[62:63]
	v_fmac_f64_e32 v[48:49], v[8:9], v[24:25]
	v_cvt_f64_f32_e32 v[8:9], v10
	v_cvt_f64_f32_e32 v[10:11], v11
	v_fmac_f64_e32 v[40:41], v[10:11], v[24:25]
	v_fmac_f64_e32 v[64:65], v[8:9], v[24:25]
	v_fmac_f64_e32 v[40:41], v[8:9], v[26:27]
	v_cvt_f64_f32_e32 v[8:9], v4
	v_cvt_f64_f32_e32 v[4:5], v5
	v_fmac_f64_e32 v[56:57], v[8:9], v[16:17]
	v_fma_f64 v[56:57], -v[4:5], v[18:19], v[56:57]
	v_fmac_f64_e32 v[52:53], v[4:5], v[16:17]
	v_cvt_f64_f32_e32 v[4:5], v6
	v_cvt_f64_f32_e32 v[6:7], v7
	v_fmac_f64_e32 v[50:51], v[6:7], v[16:17]
	v_fmac_f64_e32 v[54:55], v[4:5], v[16:17]
	;; [unrolled: 1-line block ×3, first 2 shown]
	v_cvt_f64_f32_e32 v[4:5], v0
	v_fmac_f64_e32 v[48:49], v[12:13], v[26:27]
	v_cvt_f64_f32_e32 v[0:1], v1
	v_fmac_f64_e32 v[14:15], v[4:5], v[16:17]
	v_fma_f64 v[12:13], -v[10:11], v[26:27], v[64:65]
	v_fma_f64 v[26:27], -v[0:1], v[18:19], v[14:15]
	v_fmac_f64_e32 v[48:49], v[0:1], v[16:17]
	v_cvt_f64_f32_e32 v[0:1], v2
	v_cvt_f64_f32_e32 v[2:3], v3
	v_fmac_f64_e32 v[40:41], v[2:3], v[16:17]
	v_fmac_f64_e32 v[12:13], v[0:1], v[16:17]
	;; [unrolled: 1-line block ×3, first 2 shown]
	global_load_dword v0, v[20:21], off offset:64
	v_fma_f64 v[24:25], -v[2:3], v[18:19], v[12:13]
	v_fmac_f64_e32 v[52:53], v[8:9], v[18:19]
	v_fma_f64 v[54:55], -v[6:7], v[18:19], v[54:55]
	v_fmac_f64_e32 v[48:49], v[4:5], v[18:19]
	s_waitcnt vmcnt(0)
	v_subrev_u32_e32 v0, s20, v0
	v_lshlrev_b32_e32 v12, 2, v0
	v_ashrrev_i32_e32 v13, 31, v12
	v_lshlrev_b64 v[12:13], 4, v[12:13]
	v_add_co_u32_e32 v72, vcc, s4, v12
	global_load_dwordx4 v[0:3], v[22:23], off offset:2096
	global_load_dwordx4 v[4:7], v[22:23], off offset:2080
	;; [unrolled: 1-line block ×4, first 2 shown]
	v_addc_co_u32_e32 v73, vcc, v37, v13, vcc
	global_load_dwordx4 v[12:15], v[72:73], off offset:48
	global_load_dwordx4 v[16:19], v[72:73], off offset:32
	;; [unrolled: 1-line block ×3, first 2 shown]
	global_load_dwordx4 v[66:69], v[72:73], off
	v_add_co_u32_e32 v42, vcc, 64, v42
	v_addc_co_u32_e32 v43, vcc, 0, v43, vcc
	v_add_co_u32_e32 v20, vcc, 0x100, v20
	v_addc_co_u32_e32 v21, vcc, 0, v21, vcc
	v_cmp_ge_i64_e64 s[0:1], v[42:43], v[44:45]
	v_add_co_u32_e32 v46, vcc, 0x2000, v46
	v_addc_co_u32_e32 v47, vcc, 0, v47, vcc
	s_or_b64 s[10:11], s[0:1], s[10:11]
	s_waitcnt vmcnt(4)
	v_cvt_f64_f32_e32 v[70:71], v58
	v_cvt_f64_f32_e32 v[58:59], v59
	s_waitcnt vmcnt(0)
	v_fmac_f64_e32 v[56:57], v[70:71], v[66:67]
	v_fma_f64 v[56:57], -v[58:59], v[68:69], v[56:57]
	v_fmac_f64_e32 v[52:53], v[58:59], v[66:67]
	v_cvt_f64_f32_e32 v[58:59], v60
	v_cvt_f64_f32_e32 v[60:61], v61
	v_fmac_f64_e32 v[50:51], v[60:61], v[66:67]
	v_fmac_f64_e32 v[54:55], v[58:59], v[66:67]
	v_fmac_f64_e32 v[50:51], v[58:59], v[68:69]
	v_cvt_f64_f32_e32 v[58:59], v8
	v_cvt_f64_f32_e32 v[8:9], v9
	v_fmac_f64_e32 v[26:27], v[58:59], v[66:67]
	v_fma_f64 v[26:27], -v[8:9], v[68:69], v[26:27]
	v_fmac_f64_e32 v[48:49], v[8:9], v[66:67]
	v_cvt_f64_f32_e32 v[8:9], v10
	v_cvt_f64_f32_e32 v[10:11], v11
	v_fmac_f64_e32 v[40:41], v[10:11], v[66:67]
	v_fmac_f64_e32 v[24:25], v[8:9], v[66:67]
	;; [unrolled: 1-line block ×3, first 2 shown]
	v_cvt_f64_f32_e32 v[8:9], v4
	v_fmac_f64_e32 v[52:53], v[70:71], v[68:69]
	v_cvt_f64_f32_e32 v[4:5], v5
	v_fmac_f64_e32 v[56:57], v[8:9], v[62:63]
	v_fma_f64 v[56:57], -v[4:5], v[64:65], v[56:57]
	v_fmac_f64_e32 v[52:53], v[4:5], v[62:63]
	v_cvt_f64_f32_e32 v[4:5], v6
	v_cvt_f64_f32_e32 v[6:7], v7
	v_fma_f64 v[54:55], -v[60:61], v[68:69], v[54:55]
	v_fmac_f64_e32 v[50:51], v[6:7], v[62:63]
	v_fmac_f64_e32 v[54:55], v[4:5], v[62:63]
	;; [unrolled: 1-line block ×3, first 2 shown]
	v_cvt_f64_f32_e32 v[4:5], v0
	v_fmac_f64_e32 v[48:49], v[58:59], v[68:69]
	v_cvt_f64_f32_e32 v[0:1], v1
	v_fmac_f64_e32 v[26:27], v[4:5], v[62:63]
	v_fma_f64 v[24:25], -v[10:11], v[68:69], v[24:25]
	v_fma_f64 v[58:59], -v[0:1], v[64:65], v[26:27]
	v_fmac_f64_e32 v[48:49], v[0:1], v[62:63]
	v_cvt_f64_f32_e32 v[0:1], v2
	v_cvt_f64_f32_e32 v[2:3], v3
	v_fmac_f64_e32 v[24:25], v[0:1], v[62:63]
	v_fmac_f64_e32 v[40:41], v[2:3], v[62:63]
	;; [unrolled: 1-line block ×3, first 2 shown]
	v_fma_f64 v[54:55], -v[6:7], v[64:65], v[54:55]
	v_fmac_f64_e32 v[48:49], v[4:5], v[64:65]
	v_fma_f64 v[60:61], -v[2:3], v[64:65], v[24:25]
	v_fmac_f64_e32 v[40:41], v[0:1], v[64:65]
	global_load_dwordx4 v[0:3], v[22:23], off offset:2160
	global_load_dwordx4 v[4:7], v[22:23], off offset:2144
	;; [unrolled: 1-line block ×4, first 2 shown]
	s_waitcnt vmcnt(0)
	v_cvt_f64_f32_e32 v[22:23], v24
	v_cvt_f64_f32_e32 v[24:25], v25
	v_fmac_f64_e32 v[56:57], v[22:23], v[16:17]
	v_fma_f64 v[56:57], -v[24:25], v[18:19], v[56:57]
	v_fmac_f64_e32 v[52:53], v[24:25], v[16:17]
	v_cvt_f64_f32_e32 v[24:25], v27
	v_fmac_f64_e32 v[52:53], v[22:23], v[18:19]
	v_cvt_f64_f32_e32 v[22:23], v26
	v_fmac_f64_e32 v[50:51], v[24:25], v[16:17]
	v_fmac_f64_e32 v[54:55], v[22:23], v[16:17]
	;; [unrolled: 1-line block ×3, first 2 shown]
	v_cvt_f64_f32_e32 v[22:23], v8
	v_cvt_f64_f32_e32 v[8:9], v9
	v_fmac_f64_e32 v[58:59], v[22:23], v[16:17]
	v_fma_f64 v[26:27], -v[24:25], v[18:19], v[54:55]
	v_fma_f64 v[24:25], -v[8:9], v[18:19], v[58:59]
	v_fmac_f64_e32 v[48:49], v[8:9], v[16:17]
	v_cvt_f64_f32_e32 v[8:9], v10
	v_cvt_f64_f32_e32 v[10:11], v11
	v_fmac_f64_e32 v[40:41], v[10:11], v[16:17]
	v_fmac_f64_e32 v[60:61], v[8:9], v[16:17]
	;; [unrolled: 1-line block ×3, first 2 shown]
	v_cvt_f64_f32_e32 v[8:9], v4
	v_cvt_f64_f32_e32 v[4:5], v5
	v_fmac_f64_e32 v[56:57], v[8:9], v[12:13]
	v_fma_f64 v[64:65], -v[4:5], v[14:15], v[56:57]
	v_fmac_f64_e32 v[52:53], v[4:5], v[12:13]
	v_cvt_f64_f32_e32 v[4:5], v6
	v_cvt_f64_f32_e32 v[6:7], v7
	v_fmac_f64_e32 v[50:51], v[6:7], v[12:13]
	v_fmac_f64_e32 v[26:27], v[4:5], v[12:13]
	;; [unrolled: 1-line block ×3, first 2 shown]
	v_cvt_f64_f32_e32 v[4:5], v0
	v_fmac_f64_e32 v[48:49], v[22:23], v[18:19]
	v_cvt_f64_f32_e32 v[0:1], v1
	v_fmac_f64_e32 v[24:25], v[4:5], v[12:13]
	v_fma_f64 v[22:23], -v[10:11], v[18:19], v[60:61]
	v_fma_f64 v[62:63], -v[0:1], v[14:15], v[24:25]
	v_fmac_f64_e32 v[48:49], v[0:1], v[12:13]
	v_cvt_f64_f32_e32 v[0:1], v2
	v_cvt_f64_f32_e32 v[2:3], v3
	v_fmac_f64_e32 v[22:23], v[0:1], v[12:13]
	v_fmac_f64_e32 v[40:41], v[2:3], v[12:13]
	;; [unrolled: 1-line block ×3, first 2 shown]
	v_fma_f64 v[66:67], -v[6:7], v[14:15], v[26:27]
	v_fmac_f64_e32 v[48:49], v[4:5], v[14:15]
	v_fma_f64 v[16:17], -v[2:3], v[14:15], v[22:23]
	v_fmac_f64_e32 v[40:41], v[0:1], v[14:15]
	s_andn2_b64 exec, exec, s[10:11]
	s_cbranch_execnz .LBB172_35
; %bb.36:
	s_or_b64 exec, exec, s[10:11]
.LBB172_37:
	s_or_b64 exec, exec, s[8:9]
.LBB172_38:
	s_or_b64 exec, exec, s[2:3]
.LBB172_39:
	v_mov_b32_dpp v0, v64 row_shr:1 row_mask:0xf bank_mask:0xf
	v_mov_b32_dpp v1, v65 row_shr:1 row_mask:0xf bank_mask:0xf
	v_mov_b32_dpp v4, v52 row_shr:1 row_mask:0xf bank_mask:0xf
	v_mov_b32_dpp v5, v53 row_shr:1 row_mask:0xf bank_mask:0xf
	v_mov_b32_dpp v8, v66 row_shr:1 row_mask:0xf bank_mask:0xf
	v_mov_b32_dpp v9, v67 row_shr:1 row_mask:0xf bank_mask:0xf
	v_mov_b32_dpp v12, v50 row_shr:1 row_mask:0xf bank_mask:0xf
	v_mov_b32_dpp v13, v51 row_shr:1 row_mask:0xf bank_mask:0xf
	v_mov_b32_dpp v18, v62 row_shr:1 row_mask:0xf bank_mask:0xf
	v_mov_b32_dpp v19, v63 row_shr:1 row_mask:0xf bank_mask:0xf
	v_mov_b32_dpp v22, v48 row_shr:1 row_mask:0xf bank_mask:0xf
	v_mov_b32_dpp v23, v49 row_shr:1 row_mask:0xf bank_mask:0xf
	v_mov_b32_dpp v26, v16 row_shr:1 row_mask:0xf bank_mask:0xf
	v_mov_b32_dpp v27, v17 row_shr:1 row_mask:0xf bank_mask:0xf
	v_mov_b32_dpp v42, v40 row_shr:1 row_mask:0xf bank_mask:0xf
	v_mov_b32_dpp v43, v41 row_shr:1 row_mask:0xf bank_mask:0xf
	v_add_f64 v[0:1], v[64:65], v[0:1]
	v_add_f64 v[4:5], v[52:53], v[4:5]
	v_add_f64 v[8:9], v[66:67], v[8:9]
	v_add_f64 v[12:13], v[50:51], v[12:13]
	v_add_f64 v[18:19], v[62:63], v[18:19]
	v_add_f64 v[22:23], v[48:49], v[22:23]
	v_add_f64 v[16:17], v[16:17], v[26:27]
	v_add_f64 v[40:41], v[40:41], v[42:43]
	v_mov_b32_dpp v2, v0 row_shr:2 row_mask:0xf bank_mask:0xf
	v_mov_b32_dpp v3, v1 row_shr:2 row_mask:0xf bank_mask:0xf
	v_mov_b32_dpp v6, v4 row_shr:2 row_mask:0xf bank_mask:0xf
	v_mov_b32_dpp v7, v5 row_shr:2 row_mask:0xf bank_mask:0xf
	v_mov_b32_dpp v10, v8 row_shr:2 row_mask:0xf bank_mask:0xf
	v_mov_b32_dpp v11, v9 row_shr:2 row_mask:0xf bank_mask:0xf
	v_mov_b32_dpp v14, v12 row_shr:2 row_mask:0xf bank_mask:0xf
	v_mov_b32_dpp v15, v13 row_shr:2 row_mask:0xf bank_mask:0xf
	v_mov_b32_dpp v20, v18 row_shr:2 row_mask:0xf bank_mask:0xf
	v_mov_b32_dpp v21, v19 row_shr:2 row_mask:0xf bank_mask:0xf
	v_mov_b32_dpp v24, v22 row_shr:2 row_mask:0xf bank_mask:0xf
	v_mov_b32_dpp v25, v23 row_shr:2 row_mask:0xf bank_mask:0xf
	v_mov_b32_dpp v26, v16 row_shr:2 row_mask:0xf bank_mask:0xf
	v_mov_b32_dpp v27, v17 row_shr:2 row_mask:0xf bank_mask:0xf
	v_mov_b32_dpp v42, v40 row_shr:2 row_mask:0xf bank_mask:0xf
	v_mov_b32_dpp v43, v41 row_shr:2 row_mask:0xf bank_mask:0xf
	v_add_f64 v[0:1], v[0:1], v[2:3]
	v_add_f64 v[4:5], v[4:5], v[6:7]
	v_add_f64 v[8:9], v[8:9], v[10:11]
	v_add_f64 v[12:13], v[12:13], v[14:15]
	v_add_f64 v[18:19], v[18:19], v[20:21]
	v_add_f64 v[22:23], v[22:23], v[24:25]
	v_add_f64 v[16:17], v[16:17], v[26:27]
	v_add_f64 v[40:41], v[40:41], v[42:43]
	;; [unrolled: 24-line block ×3, first 2 shown]
	v_mov_b32_dpp v2, v0 row_shr:8 row_mask:0xf bank_mask:0xc
	v_mov_b32_dpp v3, v1 row_shr:8 row_mask:0xf bank_mask:0xc
	;; [unrolled: 1-line block ×16, first 2 shown]
	v_cmp_eq_u32_e32 vcc, 15, v38
	s_and_b64 exec, exec, vcc
	s_cbranch_execz .LBB172_12
; %bb.40:
	s_load_dwordx2 s[2:3], s[6:7], 0x60
	v_add_f64 v[38:39], v[0:1], v[2:3]
	v_add_f64 v[0:1], v[4:5], v[6:7]
	;; [unrolled: 1-line block ×8, first 2 shown]
	v_cmp_eq_f64_e32 vcc, 0, v[28:29]
	v_cmp_eq_f64_e64 s[0:1], 0, v[30:31]
	v_mul_f64 v[12:13], v[0:1], -v[34:35]
	v_mul_f64 v[14:15], v[32:33], v[0:1]
	v_mul_f64 v[8:9], v[2:3], -v[34:35]
	v_mul_f64 v[10:11], v[32:33], v[2:3]
	;; [unrolled: 2-line block ×4, first 2 shown]
	s_and_b64 s[0:1], vcc, s[0:1]
	v_fmac_f64_e32 v[12:13], v[32:33], v[38:39]
	v_fmac_f64_e32 v[14:15], v[34:35], v[38:39]
	v_lshlrev_b32_e32 v16, 2, v36
	v_fmac_f64_e32 v[8:9], v[32:33], v[44:45]
	v_fmac_f64_e32 v[10:11], v[34:35], v[44:45]
	;; [unrolled: 1-line block ×6, first 2 shown]
	s_and_saveexec_b64 s[4:5], s[0:1]
	s_xor_b64 s[0:1], exec, s[4:5]
	s_cbranch_execz .LBB172_42
; %bb.41:
	v_ashrrev_i32_e32 v17, 31, v16
	v_lshlrev_b64 v[16:17], 4, v[16:17]
	s_waitcnt lgkmcnt(0)
	v_mov_b32_e32 v18, s3
	v_add_co_u32_e32 v16, vcc, s2, v16
	v_addc_co_u32_e32 v17, vcc, v18, v17, vcc
	global_store_dwordx4 v[16:17], v[12:15], off
	global_store_dwordx4 v[16:17], v[8:11], off offset:16
	global_store_dwordx4 v[16:17], v[4:7], off offset:32
	;; [unrolled: 1-line block ×3, first 2 shown]
                                        ; implicit-def: $vgpr28_vgpr29
                                        ; implicit-def: $vgpr30_vgpr31
                                        ; implicit-def: $vgpr12_vgpr13
                                        ; implicit-def: $vgpr16
                                        ; implicit-def: $vgpr8_vgpr9
                                        ; implicit-def: $vgpr4_vgpr5
                                        ; implicit-def: $vgpr0_vgpr1
.LBB172_42:
	s_andn2_saveexec_b64 s[0:1], s[0:1]
	s_cbranch_execz .LBB172_12
; %bb.43:
	v_ashrrev_i32_e32 v17, 31, v16
	v_lshlrev_b64 v[16:17], 4, v[16:17]
	s_waitcnt lgkmcnt(0)
	v_mov_b32_e32 v18, s3
	v_add_co_u32_e32 v36, vcc, s2, v16
	v_addc_co_u32_e32 v37, vcc, v18, v17, vcc
	global_load_dwordx4 v[16:19], v[36:37], off
	global_load_dwordx4 v[20:23], v[36:37], off offset:16
	global_load_dwordx4 v[24:27], v[36:37], off offset:32
	;; [unrolled: 1-line block ×3, first 2 shown]
	s_waitcnt vmcnt(3)
	v_fmac_f64_e32 v[12:13], v[28:29], v[16:17]
	v_fmac_f64_e32 v[14:15], v[30:31], v[16:17]
	s_waitcnt vmcnt(2)
	v_fmac_f64_e32 v[8:9], v[28:29], v[20:21]
	v_fmac_f64_e32 v[10:11], v[30:31], v[20:21]
	;; [unrolled: 3-line block ×4, first 2 shown]
	v_fma_f64 v[12:13], -v[30:31], v[18:19], v[12:13]
	v_fmac_f64_e32 v[14:15], v[28:29], v[18:19]
	v_fma_f64 v[8:9], -v[30:31], v[22:23], v[8:9]
	v_fmac_f64_e32 v[10:11], v[28:29], v[22:23]
	;; [unrolled: 2-line block ×4, first 2 shown]
	global_store_dwordx4 v[36:37], v[12:15], off
	global_store_dwordx4 v[36:37], v[8:11], off offset:16
	global_store_dwordx4 v[36:37], v[4:7], off offset:32
	;; [unrolled: 1-line block ×3, first 2 shown]
	s_endpgm
	.section	.rodata,"a",@progbits
	.p2align	6, 0x0
	.amdhsa_kernel _ZN9rocsparseL18bsrxmvn_4x4_kernelILj128ELj16E21rocsparse_complex_numIdEliS1_IfES2_S2_EEvT3_20rocsparse_direction_NS_24const_host_device_scalarIT1_EES4_PKS4_PKT2_SD_SA_PKT4_PKT5_S8_PT6_21rocsparse_index_base_b
		.amdhsa_group_segment_fixed_size 2048
		.amdhsa_private_segment_fixed_size 0
		.amdhsa_kernarg_size 112
		.amdhsa_user_sgpr_count 8
		.amdhsa_user_sgpr_private_segment_buffer 1
		.amdhsa_user_sgpr_dispatch_ptr 1
		.amdhsa_user_sgpr_queue_ptr 0
		.amdhsa_user_sgpr_kernarg_segment_ptr 1
		.amdhsa_user_sgpr_dispatch_id 0
		.amdhsa_user_sgpr_flat_scratch_init 0
		.amdhsa_user_sgpr_kernarg_preload_length 0
		.amdhsa_user_sgpr_kernarg_preload_offset 0
		.amdhsa_user_sgpr_private_segment_size 0
		.amdhsa_uses_dynamic_stack 0
		.amdhsa_system_sgpr_private_segment_wavefront_offset 0
		.amdhsa_system_sgpr_workgroup_id_x 1
		.amdhsa_system_sgpr_workgroup_id_y 0
		.amdhsa_system_sgpr_workgroup_id_z 0
		.amdhsa_system_sgpr_workgroup_info 0
		.amdhsa_system_vgpr_workitem_id 2
		.amdhsa_next_free_vgpr 128
		.amdhsa_next_free_sgpr 22
		.amdhsa_accum_offset 128
		.amdhsa_reserve_vcc 1
		.amdhsa_reserve_flat_scratch 0
		.amdhsa_float_round_mode_32 0
		.amdhsa_float_round_mode_16_64 0
		.amdhsa_float_denorm_mode_32 3
		.amdhsa_float_denorm_mode_16_64 3
		.amdhsa_dx10_clamp 1
		.amdhsa_ieee_mode 1
		.amdhsa_fp16_overflow 0
		.amdhsa_tg_split 0
		.amdhsa_exception_fp_ieee_invalid_op 0
		.amdhsa_exception_fp_denorm_src 0
		.amdhsa_exception_fp_ieee_div_zero 0
		.amdhsa_exception_fp_ieee_overflow 0
		.amdhsa_exception_fp_ieee_underflow 0
		.amdhsa_exception_fp_ieee_inexact 0
		.amdhsa_exception_int_div_zero 0
	.end_amdhsa_kernel
	.section	.text._ZN9rocsparseL18bsrxmvn_4x4_kernelILj128ELj16E21rocsparse_complex_numIdEliS1_IfES2_S2_EEvT3_20rocsparse_direction_NS_24const_host_device_scalarIT1_EES4_PKS4_PKT2_SD_SA_PKT4_PKT5_S8_PT6_21rocsparse_index_base_b,"axG",@progbits,_ZN9rocsparseL18bsrxmvn_4x4_kernelILj128ELj16E21rocsparse_complex_numIdEliS1_IfES2_S2_EEvT3_20rocsparse_direction_NS_24const_host_device_scalarIT1_EES4_PKS4_PKT2_SD_SA_PKT4_PKT5_S8_PT6_21rocsparse_index_base_b,comdat
.Lfunc_end172:
	.size	_ZN9rocsparseL18bsrxmvn_4x4_kernelILj128ELj16E21rocsparse_complex_numIdEliS1_IfES2_S2_EEvT3_20rocsparse_direction_NS_24const_host_device_scalarIT1_EES4_PKS4_PKT2_SD_SA_PKT4_PKT5_S8_PT6_21rocsparse_index_base_b, .Lfunc_end172-_ZN9rocsparseL18bsrxmvn_4x4_kernelILj128ELj16E21rocsparse_complex_numIdEliS1_IfES2_S2_EEvT3_20rocsparse_direction_NS_24const_host_device_scalarIT1_EES4_PKS4_PKT2_SD_SA_PKT4_PKT5_S8_PT6_21rocsparse_index_base_b
                                        ; -- End function
	.section	.AMDGPU.csdata,"",@progbits
; Kernel info:
; codeLenInByte = 8988
; NumSgprs: 26
; NumVgprs: 128
; NumAgprs: 0
; TotalNumVgprs: 128
; ScratchSize: 0
; MemoryBound: 0
; FloatMode: 240
; IeeeMode: 1
; LDSByteSize: 2048 bytes/workgroup (compile time only)
; SGPRBlocks: 3
; VGPRBlocks: 15
; NumSGPRsForWavesPerEU: 26
; NumVGPRsForWavesPerEU: 128
; AccumOffset: 128
; Occupancy: 4
; WaveLimiterHint : 1
; COMPUTE_PGM_RSRC2:SCRATCH_EN: 0
; COMPUTE_PGM_RSRC2:USER_SGPR: 8
; COMPUTE_PGM_RSRC2:TRAP_HANDLER: 0
; COMPUTE_PGM_RSRC2:TGID_X_EN: 1
; COMPUTE_PGM_RSRC2:TGID_Y_EN: 0
; COMPUTE_PGM_RSRC2:TGID_Z_EN: 0
; COMPUTE_PGM_RSRC2:TIDIG_COMP_CNT: 2
; COMPUTE_PGM_RSRC3_GFX90A:ACCUM_OFFSET: 31
; COMPUTE_PGM_RSRC3_GFX90A:TG_SPLIT: 0
	.section	.text._ZN9rocsparseL18bsrxmvn_4x4_kernelILj128ELj32E21rocsparse_complex_numIdEliS1_IfES2_S2_EEvT3_20rocsparse_direction_NS_24const_host_device_scalarIT1_EES4_PKS4_PKT2_SD_SA_PKT4_PKT5_S8_PT6_21rocsparse_index_base_b,"axG",@progbits,_ZN9rocsparseL18bsrxmvn_4x4_kernelILj128ELj32E21rocsparse_complex_numIdEliS1_IfES2_S2_EEvT3_20rocsparse_direction_NS_24const_host_device_scalarIT1_EES4_PKS4_PKT2_SD_SA_PKT4_PKT5_S8_PT6_21rocsparse_index_base_b,comdat
	.globl	_ZN9rocsparseL18bsrxmvn_4x4_kernelILj128ELj32E21rocsparse_complex_numIdEliS1_IfES2_S2_EEvT3_20rocsparse_direction_NS_24const_host_device_scalarIT1_EES4_PKS4_PKT2_SD_SA_PKT4_PKT5_S8_PT6_21rocsparse_index_base_b ; -- Begin function _ZN9rocsparseL18bsrxmvn_4x4_kernelILj128ELj32E21rocsparse_complex_numIdEliS1_IfES2_S2_EEvT3_20rocsparse_direction_NS_24const_host_device_scalarIT1_EES4_PKS4_PKT2_SD_SA_PKT4_PKT5_S8_PT6_21rocsparse_index_base_b
	.p2align	8
	.type	_ZN9rocsparseL18bsrxmvn_4x4_kernelILj128ELj32E21rocsparse_complex_numIdEliS1_IfES2_S2_EEvT3_20rocsparse_direction_NS_24const_host_device_scalarIT1_EES4_PKS4_PKT2_SD_SA_PKT4_PKT5_S8_PT6_21rocsparse_index_base_b,@function
_ZN9rocsparseL18bsrxmvn_4x4_kernelILj128ELj32E21rocsparse_complex_numIdEliS1_IfES2_S2_EEvT3_20rocsparse_direction_NS_24const_host_device_scalarIT1_EES4_PKS4_PKT2_SD_SA_PKT4_PKT5_S8_PT6_21rocsparse_index_base_b: ; @_ZN9rocsparseL18bsrxmvn_4x4_kernelILj128ELj32E21rocsparse_complex_numIdEliS1_IfES2_S2_EEvT3_20rocsparse_direction_NS_24const_host_device_scalarIT1_EES4_PKS4_PKT2_SD_SA_PKT4_PKT5_S8_PT6_21rocsparse_index_base_b
; %bb.0:
	s_load_dwordx2 s[20:21], s[6:7], 0x68
	s_load_dwordx4 s[12:15], s[6:7], 0x8
	s_load_dwordx2 s[10:11], s[4:5], 0x4
	s_load_dwordx4 s[16:19], s[6:7], 0x50
	s_mov_b64 s[2:3], src_shared_base
	v_bfe_u32 v2, v0, 10, 10
	s_waitcnt lgkmcnt(0)
	s_bitcmp1_b32 s21, 0
	s_cselect_b64 s[0:1], -1, 0
	s_and_b64 vcc, s[0:1], exec
	s_cselect_b32 s2, s3, s13
	s_lshr_b32 s4, s10, 16
	v_and_b32_e32 v1, 0x3ff, v0
	s_mul_i32 s4, s4, s11
	v_mul_u32_u24_e32 v2, s11, v2
	v_mad_u32_u24 v2, s4, v1, v2
	v_bfe_u32 v0, v0, 20, 10
	v_add_lshl_u32 v0, v2, v0, 3
	v_mov_b32_e32 v6, s12
	v_add_u32_e32 v7, 0x400, v0
	v_pk_mov_b32 v[2:3], s[12:13], s[12:13] op_sel:[0,1]
	v_pk_mov_b32 v[4:5], s[16:17], s[16:17] op_sel:[0,1]
	ds_write2st64_b64 v0, v[4:5], v[2:3] offset1:2
	v_cndmask_b32_e64 v2, v6, v7, s[0:1]
	v_mov_b32_e32 v3, s2
	flat_load_dwordx2 v[20:21], v[2:3]
	s_xor_b64 s[4:5], s[0:1], -1
	v_pk_mov_b32 v[22:23], s[14:15], s[14:15] op_sel:[0,1]
	s_cbranch_vccnz .LBB173_2
; %bb.1:
	v_pk_mov_b32 v[2:3], s[12:13], s[12:13] op_sel:[0,1]
	flat_load_dwordx2 v[22:23], v[2:3] offset:8
.LBB173_2:
	s_and_b64 s[10:11], s[0:1], exec
	s_cselect_b32 s2, s3, s17
	v_mov_b32_e32 v2, s16
	v_cndmask_b32_e64 v2, v2, v0, s[0:1]
	v_mov_b32_e32 v3, s2
	flat_load_dwordx2 v[16:17], v[2:3]
	s_andn2_b64 vcc, exec, s[4:5]
	v_pk_mov_b32 v[18:19], s[18:19], s[18:19] op_sel:[0,1]
	s_cbranch_vccnz .LBB173_4
; %bb.3:
	v_pk_mov_b32 v[2:3], s[16:17], s[16:17] op_sel:[0,1]
	flat_load_dwordx2 v[18:19], v[2:3] offset:8
.LBB173_4:
	s_waitcnt vmcnt(0) lgkmcnt(0)
	v_cmp_eq_f64_e32 vcc, 0, v[20:21]
	v_cmp_eq_f64_e64 s[0:1], 0, v[22:23]
	s_and_b64 s[4:5], vcc, s[0:1]
	s_mov_b64 s[0:1], -1
	s_and_saveexec_b64 s[2:3], s[4:5]
; %bb.5:
	v_cmp_neq_f64_e32 vcc, 1.0, v[16:17]
	v_cmp_neq_f64_e64 s[0:1], 0, v[18:19]
	s_or_b64 s[0:1], vcc, s[0:1]
	s_orn2_b64 s[0:1], s[0:1], exec
; %bb.6:
	s_or_b64 exec, exec, s[2:3]
	s_and_saveexec_b64 s[2:3], s[0:1]
	s_cbranch_execz .LBB173_12
; %bb.7:
	s_load_dwordx2 s[4:5], s[6:7], 0x20
	s_load_dwordx2 s[0:1], s[6:7], 0x0
	v_lshrrev_b32_e32 v0, 5, v1
	v_lshl_or_b32 v24, s8, 2, v0
	s_mov_b64 s[2:3], 0
	s_waitcnt lgkmcnt(0)
	s_cmp_lg_u64 s[4:5], 0
	s_cbranch_scc0 .LBB173_13
; %bb.8:
	s_load_dword s8, s[6:7], 0x18
                                        ; implicit-def: $vgpr0
	s_waitcnt lgkmcnt(0)
	v_cmp_gt_i32_e32 vcc, s8, v24
	s_and_saveexec_b64 s[8:9], vcc
	s_xor_b64 s[8:9], exec, s[8:9]
	s_cbranch_execz .LBB173_10
; %bb.9:
	v_ashrrev_i32_e32 v25, 31, v24
	v_lshlrev_b64 v[2:3], 2, v[24:25]
	v_mov_b32_e32 v0, s5
	v_add_co_u32_e32 v2, vcc, s4, v2
	v_addc_co_u32_e32 v3, vcc, v0, v3, vcc
	global_load_dword v0, v[2:3], off
	s_mov_b64 s[2:3], exec
	s_waitcnt vmcnt(0)
	v_subrev_u32_e32 v0, s20, v0
.LBB173_10:
	s_or_b64 exec, exec, s[8:9]
	s_branch .LBB173_14
.LBB173_11:
	v_cmp_gt_i32_e32 vcc, s0, v24
	s_andn2_b64 s[2:3], s[2:3], exec
	s_and_b64 s[4:5], vcc, exec
	s_or_b64 s[2:3], s[2:3], s[4:5]
	s_and_b64 exec, exec, s[2:3]
	s_cbranch_execnz .LBB173_15
.LBB173_12:
	s_endpgm
.LBB173_13:
                                        ; implicit-def: $vgpr0
	s_cbranch_execnz .LBB173_11
.LBB173_14:
	v_mov_b32_e32 v24, v0
	s_and_b64 exec, exec, s[2:3]
	s_cbranch_execz .LBB173_12
.LBB173_15:
	s_load_dwordx8 s[8:15], s[6:7], 0x28
	v_ashrrev_i32_e32 v25, 31, v24
	v_lshlrev_b64 v[2:3], 3, v[24:25]
	v_and_b32_e32 v26, 31, v1
	s_load_dwordx2 s[4:5], s[6:7], 0x48
	s_waitcnt lgkmcnt(0)
	v_mov_b32_e32 v0, s9
	v_add_co_u32_e32 v4, vcc, s8, v2
	v_addc_co_u32_e32 v5, vcc, v0, v3, vcc
	v_add_co_u32_e32 v0, vcc, 8, v4
	global_load_dwordx2 v[42:43], v[4:5], off
	v_addc_co_u32_e32 v4, vcc, 0, v5, vcc
	v_mov_b32_e32 v5, s11
	v_add_co_u32_e32 v2, vcc, s10, v2
	s_cmp_eq_u64 s[10:11], 0
	v_addc_co_u32_e32 v3, vcc, v5, v3, vcc
	s_cselect_b64 vcc, -1, 0
	v_cndmask_b32_e32 v3, v3, v4, vcc
	v_cndmask_b32_e32 v2, v2, v0, vcc
	global_load_dwordx2 v[2:3], v[2:3], off
	v_mov_b32_e32 v4, s15
	s_mov_b32 s18, 0
	s_cmp_eq_u32 s1, 1
	s_waitcnt vmcnt(1)
	v_subrev_co_u32_e32 v0, vcc, s20, v42
	v_subbrev_co_u32_e32 v1, vcc, 0, v43, vcc
	v_add_co_u32_e32 v32, vcc, v0, v26
	v_addc_co_u32_e32 v33, vcc, 0, v1, vcc
	v_lshlrev_b64 v[0:1], 7, v[32:33]
	s_waitcnt vmcnt(0)
	v_subrev_co_u32_e32 v34, vcc, s20, v2
	v_subbrev_co_u32_e32 v35, vcc, 0, v3, vcc
	v_add_co_u32_e32 v36, vcc, s14, v0
	v_addc_co_u32_e32 v37, vcc, v4, v1, vcc
	v_cmp_lt_i64_e64 s[0:1], v[32:33], v[34:35]
	s_cbranch_scc1 .LBB173_27
; %bb.16:
	v_pk_mov_b32 v[40:41], 0, 0
	s_mov_b64 s[8:9], 0
	v_pk_mov_b32 v[54:55], v[40:41], v[40:41] op_sel:[0,1]
	v_pk_mov_b32 v[38:39], v[40:41], v[40:41] op_sel:[0,1]
	;; [unrolled: 1-line block ×7, first 2 shown]
	s_and_saveexec_b64 s[10:11], s[0:1]
	s_cbranch_execz .LBB173_26
; %bb.17:
	v_or_b32_e32 v0, 32, v26
	v_mov_b32_e32 v1, s18
	v_subrev_co_u32_e32 v0, vcc, s20, v0
	v_subb_co_u32_e32 v1, vcc, 0, v1, vcc
	v_add_co_u32_e32 v0, vcc, v0, v42
	v_addc_co_u32_e32 v1, vcc, v1, v43, vcc
	v_cmp_gt_i64_e32 vcc, v[0:1], v[34:35]
	v_cndmask_b32_e32 v1, v35, v1, vcc
	v_cndmask_b32_e32 v0, v34, v0, vcc
	v_mov_b32_e32 v4, s18
	v_sub_co_u32_e32 v5, vcc, s20, v26
	v_not_b32_e32 v3, v42
	v_subbrev_co_u32_e32 v4, vcc, 0, v4, vcc
	v_not_b32_e32 v2, v43
	v_add_co_u32_e32 v3, vcc, v5, v3
	v_addc_co_u32_e32 v2, vcc, v4, v2, vcc
	v_add_co_u32_e32 v8, vcc, v3, v0
	v_lshrrev_b32_e32 v0, 5, v8
	v_add_u32_e32 v0, 1, v0
	v_addc_co_u32_e32 v9, vcc, v2, v1, vcc
	v_and_b32_e32 v0, 3, v0
	v_pk_mov_b32 v[52:53], 0, 0
	v_cmp_ne_u32_e32 vcc, 0, v0
	s_mov_b64 s[16:17], 0
	v_pk_mov_b32 v[28:29], v[52:53], v[52:53] op_sel:[0,1]
	v_pk_mov_b32 v[50:51], v[52:53], v[52:53] op_sel:[0,1]
	;; [unrolled: 1-line block ×9, first 2 shown]
	s_and_saveexec_b64 s[14:15], vcc
	s_cbranch_execz .LBB173_21
; %bb.18:
	v_lshlrev_b64 v[2:3], 2, v[32:33]
	v_mov_b32_e32 v1, s13
	v_add_co_u32_e32 v12, vcc, s12, v2
	v_pk_mov_b32 v[40:41], 0, 0
	v_mov_b32_e32 v11, 0
	v_addc_co_u32_e32 v13, vcc, v1, v3, vcc
	v_lshlrev_b32_e32 v10, 2, v0
	s_movk_i32 s19, 0x1000
	v_mov_b32_e32 v14, s5
	v_pk_mov_b32 v[46:47], v[32:33], v[32:33] op_sel:[0,1]
	v_pk_mov_b32 v[44:45], v[36:37], v[36:37] op_sel:[0,1]
	v_pk_mov_b32 v[54:55], v[40:41], v[40:41] op_sel:[0,1]
	v_pk_mov_b32 v[38:39], v[40:41], v[40:41] op_sel:[0,1]
	v_pk_mov_b32 v[56:57], v[40:41], v[40:41] op_sel:[0,1]
	v_pk_mov_b32 v[30:31], v[40:41], v[40:41] op_sel:[0,1]
	v_pk_mov_b32 v[50:51], v[40:41], v[40:41] op_sel:[0,1]
	v_pk_mov_b32 v[28:29], v[40:41], v[40:41] op_sel:[0,1]
	v_pk_mov_b32 v[52:53], v[40:41], v[40:41] op_sel:[0,1]
.LBB173_19:                             ; =>This Inner Loop Header: Depth=1
	global_load_dword v15, v[12:13], off
	global_load_dwordx4 v[4:7], v[44:45], off
	global_load_dwordx4 v[0:3], v[44:45], off offset:32
	global_load_dwordx4 v[58:61], v[44:45], off offset:64
	;; [unrolled: 1-line block ×7, first 2 shown]
	v_add_co_u32_e32 v44, vcc, s19, v44
	v_addc_co_u32_e32 v45, vcc, 0, v45, vcc
	v_add_co_u32_e32 v12, vcc, 0x80, v12
	v_addc_co_u32_e32 v13, vcc, 0, v13, vcc
	v_add_co_u32_e64 v46, s[2:3], 32, v46
	v_addc_co_u32_e64 v47, s[2:3], 0, v47, s[2:3]
	v_add_co_u32_e64 v10, s[2:3], -4, v10
	v_addc_co_u32_e64 v11, s[2:3], -1, v11, s[2:3]
	v_cmp_eq_u64_e64 s[2:3], 0, v[10:11]
	s_or_b64 s[16:17], s[2:3], s[16:17]
	s_waitcnt vmcnt(8)
	v_subrev_u32_e32 v15, s20, v15
	s_waitcnt vmcnt(7)
	v_cvt_f64_f32_e32 v[48:49], v4
	v_lshlrev_b32_e32 v4, 2, v15
	v_cvt_f64_f32_e32 v[90:91], v5
	v_ashrrev_i32_e32 v5, 31, v4
	v_lshlrev_b64 v[4:5], 4, v[4:5]
	v_add_co_u32_e32 v112, vcc, s4, v4
	v_addc_co_u32_e32 v113, vcc, v14, v5, vcc
	v_cvt_f64_f32_e32 v[92:93], v6
	v_cvt_f64_f32_e32 v[94:95], v7
	s_waitcnt vmcnt(3)
	v_cvt_f64_f32_e32 v[102:103], v66
	v_cvt_f64_f32_e32 v[104:105], v67
	v_cvt_f64_f32_e32 v[106:107], v68
	v_cvt_f64_f32_e32 v[108:109], v69
	global_load_dwordx4 v[4:7], v[112:113], off
	global_load_dwordx4 v[66:69], v[112:113], off offset:16
	global_load_dwordx4 v[82:85], v[112:113], off offset:32
	;; [unrolled: 1-line block ×3, first 2 shown]
	v_cvt_f64_f32_e32 v[96:97], v0
	v_cvt_f64_f32_e32 v[0:1], v1
	;; [unrolled: 1-line block ×12, first 2 shown]
	s_waitcnt vmcnt(6)
	v_cvt_f64_f32_e32 v[112:113], v70
	v_cvt_f64_f32_e32 v[70:71], v71
	s_waitcnt vmcnt(5)
	v_cvt_f64_f32_e32 v[120:121], v74
	v_cvt_f64_f32_e32 v[74:75], v75
	;; [unrolled: 3-line block ×3, first 2 shown]
	v_cvt_f64_f32_e32 v[114:115], v72
	v_cvt_f64_f32_e32 v[72:73], v73
	;; [unrolled: 1-line block ×6, first 2 shown]
	s_waitcnt vmcnt(3)
	v_fmac_f64_e32 v[54:55], v[48:49], v[4:5]
	v_fmac_f64_e32 v[40:41], v[90:91], v[4:5]
	v_fmac_f64_e32 v[56:57], v[96:97], v[4:5]
	v_fmac_f64_e32 v[38:39], v[0:1], v[4:5]
	v_fmac_f64_e32 v[50:51], v[98:99], v[4:5]
	v_fmac_f64_e32 v[30:31], v[58:59], v[4:5]
	v_fmac_f64_e32 v[52:53], v[100:101], v[4:5]
	v_fmac_f64_e32 v[28:29], v[62:63], v[4:5]
	v_fma_f64 v[4:5], -v[90:91], v[6:7], v[54:55]
	v_fmac_f64_e32 v[40:41], v[48:49], v[6:7]
	v_fma_f64 v[0:1], -v[0:1], v[6:7], v[56:57]
	v_fmac_f64_e32 v[38:39], v[96:97], v[6:7]
	v_fma_f64 v[48:49], -v[58:59], v[6:7], v[50:51]
	v_fmac_f64_e32 v[30:31], v[98:99], v[6:7]
	v_fma_f64 v[50:51], -v[62:63], v[6:7], v[52:53]
	v_fmac_f64_e32 v[28:29], v[100:101], v[6:7]
	s_waitcnt vmcnt(2)
	v_fmac_f64_e32 v[4:5], v[92:93], v[66:67]
	v_fmac_f64_e32 v[40:41], v[94:95], v[66:67]
	v_fmac_f64_e32 v[0:1], v[110:111], v[66:67]
	v_fmac_f64_e32 v[38:39], v[2:3], v[66:67]
	v_fmac_f64_e32 v[48:49], v[116:117], v[66:67]
	v_fmac_f64_e32 v[30:31], v[60:61], v[66:67]
	v_fmac_f64_e32 v[50:51], v[118:119], v[66:67]
	v_fmac_f64_e32 v[28:29], v[64:65], v[66:67]
	v_fma_f64 v[4:5], -v[94:95], v[68:69], v[4:5]
	v_fmac_f64_e32 v[40:41], v[92:93], v[68:69]
	v_fma_f64 v[0:1], -v[2:3], v[68:69], v[0:1]
	v_fmac_f64_e32 v[38:39], v[110:111], v[68:69]
	v_fma_f64 v[2:3], -v[60:61], v[68:69], v[48:49]
	v_fmac_f64_e32 v[30:31], v[116:117], v[68:69]
	v_fma_f64 v[6:7], -v[64:65], v[68:69], v[50:51]
	v_fmac_f64_e32 v[28:29], v[118:119], v[68:69]
	;; [unrolled: 17-line block ×4, first 2 shown]
	s_andn2_b64 exec, exec, s[16:17]
	s_cbranch_execnz .LBB173_19
; %bb.20:
	s_or_b64 exec, exec, s[16:17]
.LBB173_21:
	s_or_b64 exec, exec, s[14:15]
	s_mov_b64 s[2:3], 0x5f
	v_cmp_lt_u64_e32 vcc, s[2:3], v[8:9]
	s_and_saveexec_b64 s[14:15], vcc
	s_cbranch_execz .LBB173_25
; %bb.22:
	v_lshlrev_b64 v[0:1], 2, v[46:47]
	v_mov_b32_e32 v2, s13
	v_add_co_u32_e32 v0, vcc, s12, v0
	v_addc_co_u32_e32 v1, vcc, v1, v2, vcc
	v_add_co_u32_e32 v48, vcc, 0x100, v0
	v_addc_co_u32_e32 v49, vcc, 0, v1, vcc
	s_mov_b64 s[16:17], 0
	v_mov_b32_e32 v25, s5
	s_movk_i32 s19, 0x1000
	s_movk_i32 s21, 0x2000
	;; [unrolled: 1-line block ×3, first 2 shown]
.LBB173_23:                             ; =>This Inner Loop Header: Depth=1
	global_load_dword v0, v[48:49], off offset:-256
	global_load_dwordx4 v[58:61], v[44:45], off offset:48
	global_load_dwordx4 v[62:65], v[44:45], off offset:32
	;; [unrolled: 1-line block ×3, first 2 shown]
	global_load_dwordx4 v[70:73], v[44:45], off
	s_waitcnt vmcnt(4)
	v_subrev_u32_e32 v0, s20, v0
	v_lshlrev_b32_e32 v0, 2, v0
	v_ashrrev_i32_e32 v1, 31, v0
	v_lshlrev_b64 v[0:1], 4, v[0:1]
	v_add_co_u32_e32 v76, vcc, s4, v0
	v_addc_co_u32_e32 v77, vcc, v25, v1, vcc
	global_load_dwordx4 v[0:3], v[76:77], off offset:48
	global_load_dwordx4 v[4:7], v[76:77], off offset:32
	;; [unrolled: 1-line block ×3, first 2 shown]
	global_load_dwordx4 v[12:15], v[76:77], off
	s_waitcnt vmcnt(4)
	v_cvt_f64_f32_e32 v[74:75], v70
	v_cvt_f64_f32_e32 v[70:71], v71
	v_add_co_u32_e32 v78, vcc, s19, v44
	v_addc_co_u32_e32 v79, vcc, 0, v45, vcc
	s_waitcnt vmcnt(0)
	v_fmac_f64_e32 v[54:55], v[74:75], v[12:13]
	v_fmac_f64_e32 v[40:41], v[70:71], v[12:13]
	v_fma_f64 v[54:55], -v[70:71], v[14:15], v[54:55]
	v_fmac_f64_e32 v[40:41], v[74:75], v[14:15]
	v_cvt_f64_f32_e32 v[70:71], v72
	v_cvt_f64_f32_e32 v[72:73], v73
	v_fmac_f64_e32 v[54:55], v[70:71], v[8:9]
	v_fmac_f64_e32 v[40:41], v[72:73], v[8:9]
	v_fma_f64 v[54:55], -v[72:73], v[10:11], v[54:55]
	v_fmac_f64_e32 v[40:41], v[70:71], v[10:11]
	v_cvt_f64_f32_e32 v[70:71], v66
	v_cvt_f64_f32_e32 v[66:67], v67
	;; [unrolled: 6-line block ×3, first 2 shown]
	v_fmac_f64_e32 v[40:41], v[68:69], v[0:1]
	v_fmac_f64_e32 v[54:55], v[66:67], v[0:1]
	;; [unrolled: 1-line block ×3, first 2 shown]
	v_cvt_f64_f32_e32 v[66:67], v62
	v_cvt_f64_f32_e32 v[62:63], v63
	v_fmac_f64_e32 v[56:57], v[66:67], v[12:13]
	v_fmac_f64_e32 v[38:39], v[62:63], v[12:13]
	v_fma_f64 v[56:57], -v[62:63], v[14:15], v[56:57]
	v_fmac_f64_e32 v[38:39], v[66:67], v[14:15]
	v_cvt_f64_f32_e32 v[62:63], v64
	v_cvt_f64_f32_e32 v[64:65], v65
	v_fmac_f64_e32 v[56:57], v[62:63], v[8:9]
	v_fmac_f64_e32 v[38:39], v[64:65], v[8:9]
	v_fma_f64 v[56:57], -v[64:65], v[10:11], v[56:57]
	v_fmac_f64_e32 v[38:39], v[62:63], v[10:11]
	;; [unrolled: 6-line block ×3, first 2 shown]
	v_cvt_f64_f32_e32 v[58:59], v60
	v_cvt_f64_f32_e32 v[60:61], v61
	v_fmac_f64_e32 v[56:57], v[58:59], v[0:1]
	v_fmac_f64_e32 v[38:39], v[60:61], v[0:1]
	v_fma_f64 v[54:55], -v[68:69], v[2:3], v[54:55]
	v_fma_f64 v[56:57], -v[60:61], v[2:3], v[56:57]
	v_fmac_f64_e32 v[38:39], v[58:59], v[2:3]
	global_load_dwordx4 v[58:61], v[44:45], off offset:112
	global_load_dwordx4 v[62:65], v[44:45], off offset:96
	global_load_dwordx4 v[66:69], v[44:45], off offset:80
	global_load_dwordx4 v[70:73], v[44:45], off offset:64
	s_waitcnt vmcnt(0)
	v_cvt_f64_f32_e32 v[74:75], v70
	v_cvt_f64_f32_e32 v[70:71], v71
	v_fmac_f64_e32 v[50:51], v[74:75], v[12:13]
	v_fmac_f64_e32 v[30:31], v[70:71], v[12:13]
	v_fma_f64 v[50:51], -v[70:71], v[14:15], v[50:51]
	v_fmac_f64_e32 v[30:31], v[74:75], v[14:15]
	v_cvt_f64_f32_e32 v[70:71], v72
	v_cvt_f64_f32_e32 v[72:73], v73
	v_fmac_f64_e32 v[50:51], v[70:71], v[8:9]
	v_fmac_f64_e32 v[30:31], v[72:73], v[8:9]
	v_fma_f64 v[50:51], -v[72:73], v[10:11], v[50:51]
	v_fmac_f64_e32 v[30:31], v[70:71], v[10:11]
	v_cvt_f64_f32_e32 v[70:71], v66
	v_cvt_f64_f32_e32 v[66:67], v67
	v_fmac_f64_e32 v[50:51], v[70:71], v[4:5]
	v_fma_f64 v[50:51], -v[66:67], v[6:7], v[50:51]
	v_fmac_f64_e32 v[30:31], v[66:67], v[4:5]
	v_cvt_f64_f32_e32 v[66:67], v68
	v_cvt_f64_f32_e32 v[68:69], v69
	v_fmac_f64_e32 v[50:51], v[66:67], v[0:1]
	v_fma_f64 v[74:75], -v[68:69], v[2:3], v[50:51]
	v_cvt_f64_f32_e32 v[50:51], v62
	v_cvt_f64_f32_e32 v[62:63], v63
	v_fmac_f64_e32 v[52:53], v[50:51], v[12:13]
	v_fmac_f64_e32 v[28:29], v[62:63], v[12:13]
	v_fma_f64 v[52:53], -v[62:63], v[14:15], v[52:53]
	v_fmac_f64_e32 v[28:29], v[50:51], v[14:15]
	v_cvt_f64_f32_e32 v[12:13], v64
	v_cvt_f64_f32_e32 v[14:15], v65
	v_fmac_f64_e32 v[52:53], v[12:13], v[8:9]
	v_fmac_f64_e32 v[28:29], v[14:15], v[8:9]
	v_fma_f64 v[50:51], -v[14:15], v[10:11], v[52:53]
	v_fmac_f64_e32 v[28:29], v[12:13], v[10:11]
	v_cvt_f64_f32_e32 v[8:9], v58
	v_cvt_f64_f32_e32 v[10:11], v59
	v_fmac_f64_e32 v[50:51], v[8:9], v[4:5]
	v_fmac_f64_e32 v[28:29], v[10:11], v[4:5]
	;; [unrolled: 1-line block ×3, first 2 shown]
	v_fma_f64 v[12:13], -v[10:11], v[6:7], v[50:51]
	v_fmac_f64_e32 v[28:29], v[8:9], v[6:7]
	v_cvt_f64_f32_e32 v[4:5], v60
	v_cvt_f64_f32_e32 v[6:7], v61
	v_fmac_f64_e32 v[30:31], v[68:69], v[0:1]
	v_fmac_f64_e32 v[12:13], v[4:5], v[0:1]
	;; [unrolled: 1-line block ×3, first 2 shown]
	global_load_dword v0, v[48:49], off offset:-128
	v_fmac_f64_e32 v[30:31], v[66:67], v[2:3]
	v_fma_f64 v[76:77], -v[6:7], v[2:3], v[12:13]
	v_fmac_f64_e32 v[28:29], v[4:5], v[2:3]
	s_waitcnt vmcnt(0)
	v_subrev_u32_e32 v0, s20, v0
	v_lshlrev_b32_e32 v14, 2, v0
	v_add_co_u32_e32 v0, vcc, s21, v44
	v_ashrrev_i32_e32 v15, 31, v14
	v_addc_co_u32_e32 v1, vcc, 0, v45, vcc
	v_lshlrev_b64 v[14:15], 4, v[14:15]
	v_add_co_u32_e32 v14, vcc, s4, v14
	v_addc_co_u32_e32 v15, vcc, v25, v15, vcc
	global_load_dwordx4 v[2:5], v[0:1], off offset:-4096
	global_load_dwordx4 v[6:9], v[78:79], off offset:48
	global_load_dwordx4 v[10:13], v[78:79], off offset:32
	;; [unrolled: 1-line block ×6, first 2 shown]
	global_load_dwordx4 v[70:73], v[14:15], off
	s_waitcnt vmcnt(7)
	v_cvt_f64_f32_e32 v[80:81], v2
	v_cvt_f64_f32_e32 v[2:3], v3
	s_waitcnt vmcnt(0)
	v_fmac_f64_e32 v[54:55], v[80:81], v[70:71]
	v_fmac_f64_e32 v[40:41], v[2:3], v[70:71]
	v_fma_f64 v[14:15], -v[2:3], v[72:73], v[54:55]
	v_fmac_f64_e32 v[40:41], v[80:81], v[72:73]
	v_cvt_f64_f32_e32 v[2:3], v4
	v_cvt_f64_f32_e32 v[4:5], v5
	v_fmac_f64_e32 v[14:15], v[2:3], v[66:67]
	v_fmac_f64_e32 v[40:41], v[4:5], v[66:67]
	v_fma_f64 v[14:15], -v[4:5], v[68:69], v[14:15]
	v_fmac_f64_e32 v[40:41], v[2:3], v[68:69]
	v_cvt_f64_f32_e32 v[4:5], v51
	v_cvt_f64_f32_e32 v[2:3], v50
	v_fmac_f64_e32 v[40:41], v[4:5], v[62:63]
	v_fmac_f64_e32 v[14:15], v[2:3], v[62:63]
	;; [unrolled: 1-line block ×3, first 2 shown]
	v_cvt_f64_f32_e32 v[50:51], v53
	v_fma_f64 v[14:15], -v[4:5], v[64:65], v[14:15]
	v_cvt_f64_f32_e32 v[4:5], v52
	v_fmac_f64_e32 v[40:41], v[50:51], v[58:59]
	v_fmac_f64_e32 v[14:15], v[4:5], v[58:59]
	;; [unrolled: 1-line block ×3, first 2 shown]
	v_cvt_f64_f32_e32 v[4:5], v10
	v_cvt_f64_f32_e32 v[10:11], v11
	v_fmac_f64_e32 v[56:57], v[4:5], v[70:71]
	v_fmac_f64_e32 v[38:39], v[10:11], v[70:71]
	v_fma_f64 v[2:3], -v[50:51], v[60:61], v[14:15]
	v_fma_f64 v[14:15], -v[10:11], v[72:73], v[56:57]
	v_fmac_f64_e32 v[38:39], v[4:5], v[72:73]
	v_cvt_f64_f32_e32 v[4:5], v12
	v_cvt_f64_f32_e32 v[10:11], v13
	v_fmac_f64_e32 v[14:15], v[4:5], v[66:67]
	v_fmac_f64_e32 v[38:39], v[10:11], v[66:67]
	v_fma_f64 v[12:13], -v[10:11], v[68:69], v[14:15]
	v_fmac_f64_e32 v[38:39], v[4:5], v[68:69]
	v_cvt_f64_f32_e32 v[4:5], v6
	v_cvt_f64_f32_e32 v[6:7], v7
	v_fmac_f64_e32 v[12:13], v[4:5], v[62:63]
	v_fma_f64 v[10:11], -v[6:7], v[64:65], v[12:13]
	v_fmac_f64_e32 v[38:39], v[6:7], v[62:63]
	v_cvt_f64_f32_e32 v[6:7], v8
	v_fmac_f64_e32 v[38:39], v[4:5], v[64:65]
	v_cvt_f64_f32_e32 v[8:9], v9
	v_fmac_f64_e32 v[10:11], v[6:7], v[58:59]
	v_fma_f64 v[4:5], -v[8:9], v[60:61], v[10:11]
	v_fmac_f64_e32 v[38:39], v[8:9], v[58:59]
	global_load_dwordx4 v[8:11], v[78:79], off offset:112
	global_load_dwordx4 v[12:15], v[78:79], off offset:96
	;; [unrolled: 1-line block ×4, first 2 shown]
	v_fmac_f64_e32 v[38:39], v[6:7], v[60:61]
	s_waitcnt vmcnt(0)
	v_cvt_f64_f32_e32 v[6:7], v54
	v_cvt_f64_f32_e32 v[54:55], v55
	v_fmac_f64_e32 v[74:75], v[6:7], v[70:71]
	v_fmac_f64_e32 v[30:31], v[54:55], v[70:71]
	v_fma_f64 v[74:75], -v[54:55], v[72:73], v[74:75]
	v_fmac_f64_e32 v[30:31], v[6:7], v[72:73]
	v_cvt_f64_f32_e32 v[6:7], v56
	v_cvt_f64_f32_e32 v[54:55], v57
	v_fmac_f64_e32 v[74:75], v[6:7], v[66:67]
	v_fmac_f64_e32 v[30:31], v[54:55], v[66:67]
	v_fma_f64 v[56:57], -v[54:55], v[68:69], v[74:75]
	v_fmac_f64_e32 v[30:31], v[6:7], v[68:69]
	;; [unrolled: 6-line block ×3, first 2 shown]
	v_cvt_f64_f32_e32 v[50:51], v52
	v_cvt_f64_f32_e32 v[52:53], v53
	v_fmac_f64_e32 v[30:31], v[52:53], v[58:59]
	v_fmac_f64_e32 v[54:55], v[50:51], v[58:59]
	;; [unrolled: 1-line block ×3, first 2 shown]
	v_cvt_f64_f32_e32 v[50:51], v12
	v_cvt_f64_f32_e32 v[12:13], v13
	v_fmac_f64_e32 v[76:77], v[50:51], v[70:71]
	v_fmac_f64_e32 v[28:29], v[12:13], v[70:71]
	v_fma_f64 v[6:7], -v[52:53], v[60:61], v[54:55]
	v_fma_f64 v[52:53], -v[12:13], v[72:73], v[76:77]
	v_fmac_f64_e32 v[28:29], v[50:51], v[72:73]
	v_cvt_f64_f32_e32 v[12:13], v14
	v_cvt_f64_f32_e32 v[14:15], v15
	v_fmac_f64_e32 v[52:53], v[12:13], v[66:67]
	v_fmac_f64_e32 v[28:29], v[14:15], v[66:67]
	v_fma_f64 v[50:51], -v[14:15], v[68:69], v[52:53]
	v_fmac_f64_e32 v[28:29], v[12:13], v[68:69]
	v_cvt_f64_f32_e32 v[12:13], v8
	v_cvt_f64_f32_e32 v[8:9], v9
	v_fmac_f64_e32 v[50:51], v[12:13], v[62:63]
	v_fmac_f64_e32 v[28:29], v[8:9], v[62:63]
	v_fma_f64 v[14:15], -v[8:9], v[64:65], v[50:51]
	v_fmac_f64_e32 v[28:29], v[12:13], v[64:65]
	v_cvt_f64_f32_e32 v[12:13], v10
	v_cvt_f64_f32_e32 v[10:11], v11
	v_fmac_f64_e32 v[14:15], v[12:13], v[58:59]
	v_fma_f64 v[8:9], -v[10:11], v[60:61], v[14:15]
	v_fmac_f64_e32 v[28:29], v[10:11], v[58:59]
	global_load_dword v10, v[48:49], off
	v_fmac_f64_e32 v[28:29], v[12:13], v[60:61]
	s_waitcnt vmcnt(0)
	v_subrev_u32_e32 v10, s20, v10
	v_lshlrev_b32_e32 v14, 2, v10
	v_ashrrev_i32_e32 v15, 31, v14
	v_lshlrev_b64 v[14:15], 4, v[14:15]
	v_add_co_u32_e32 v14, vcc, s4, v14
	v_addc_co_u32_e32 v15, vcc, v25, v15, vcc
	global_load_dwordx4 v[10:13], v[0:1], off
	global_load_dwordx4 v[50:53], v[0:1], off offset:48
	global_load_dwordx4 v[56:59], v[0:1], off offset:32
	;; [unrolled: 1-line block ×6, first 2 shown]
	global_load_dwordx4 v[76:79], v[14:15], off
	s_waitcnt vmcnt(7)
	v_cvt_f64_f32_e32 v[54:55], v10
	v_cvt_f64_f32_e32 v[10:11], v11
	s_waitcnt vmcnt(0)
	v_fmac_f64_e32 v[2:3], v[54:55], v[76:77]
	v_fmac_f64_e32 v[40:41], v[10:11], v[76:77]
	v_fma_f64 v[2:3], -v[10:11], v[78:79], v[2:3]
	v_fmac_f64_e32 v[40:41], v[54:55], v[78:79]
	v_cvt_f64_f32_e32 v[10:11], v12
	v_cvt_f64_f32_e32 v[12:13], v13
	v_fmac_f64_e32 v[2:3], v[10:11], v[72:73]
	v_fmac_f64_e32 v[40:41], v[12:13], v[72:73]
	v_fma_f64 v[2:3], -v[12:13], v[74:75], v[2:3]
	v_fmac_f64_e32 v[40:41], v[10:11], v[74:75]
	v_cvt_f64_f32_e32 v[10:11], v60
	v_cvt_f64_f32_e32 v[12:13], v61
	;; [unrolled: 6-line block ×7, first 2 shown]
	v_fmac_f64_e32 v[4:5], v[2:3], v[64:65]
	v_fmac_f64_e32 v[38:39], v[10:11], v[64:65]
	v_fma_f64 v[56:57], -v[10:11], v[66:67], v[4:5]
	v_fmac_f64_e32 v[38:39], v[2:3], v[66:67]
	global_load_dwordx4 v[2:5], v[0:1], off offset:112
	global_load_dwordx4 v[10:13], v[0:1], off offset:96
	;; [unrolled: 1-line block ×4, first 2 shown]
	s_waitcnt vmcnt(0)
	v_cvt_f64_f32_e32 v[0:1], v58
	v_cvt_f64_f32_e32 v[14:15], v59
	v_fmac_f64_e32 v[6:7], v[0:1], v[76:77]
	v_fmac_f64_e32 v[30:31], v[14:15], v[76:77]
	v_fma_f64 v[6:7], -v[14:15], v[78:79], v[6:7]
	v_fmac_f64_e32 v[30:31], v[0:1], v[78:79]
	v_cvt_f64_f32_e32 v[0:1], v60
	v_cvt_f64_f32_e32 v[14:15], v61
	v_fmac_f64_e32 v[6:7], v[0:1], v[72:73]
	v_fmac_f64_e32 v[30:31], v[14:15], v[72:73]
	v_fma_f64 v[6:7], -v[14:15], v[74:75], v[6:7]
	v_fmac_f64_e32 v[30:31], v[0:1], v[74:75]
	;; [unrolled: 6-line block ×7, first 2 shown]
	v_cvt_f64_f32_e32 v[2:3], v5
	v_cvt_f64_f32_e32 v[0:1], v4
	v_fmac_f64_e32 v[28:29], v[2:3], v[64:65]
	v_fmac_f64_e32 v[6:7], v[0:1], v[64:65]
	;; [unrolled: 1-line block ×3, first 2 shown]
	global_load_dword v0, v[48:49], off offset:128
	v_add_co_u32_e32 v58, vcc, s22, v44
	v_addc_co_u32_e32 v59, vcc, 0, v45, vcc
	v_fma_f64 v[52:53], -v[2:3], v[66:67], v[6:7]
	global_load_dwordx4 v[60:63], v[58:59], off
	global_load_dwordx4 v[64:67], v[58:59], off offset:48
	global_load_dwordx4 v[68:71], v[58:59], off offset:32
	;; [unrolled: 1-line block ×3, first 2 shown]
	s_waitcnt vmcnt(4)
	v_subrev_u32_e32 v0, s20, v0
	v_lshlrev_b32_e32 v0, 2, v0
	v_ashrrev_i32_e32 v1, 31, v0
	v_lshlrev_b64 v[0:1], 4, v[0:1]
	v_add_co_u32_e32 v78, vcc, s4, v0
	v_addc_co_u32_e32 v79, vcc, v25, v1, vcc
	global_load_dwordx4 v[0:3], v[78:79], off offset:48
	global_load_dwordx4 v[4:7], v[78:79], off offset:32
	;; [unrolled: 1-line block ×3, first 2 shown]
	global_load_dwordx4 v[12:15], v[78:79], off
	s_waitcnt vmcnt(7)
	v_cvt_f64_f32_e32 v[76:77], v60
	v_cvt_f64_f32_e32 v[60:61], v61
	v_add_co_u32_e32 v46, vcc, 0x80, v46
	v_addc_co_u32_e32 v47, vcc, 0, v47, vcc
	v_add_co_u32_e32 v48, vcc, 0x200, v48
	v_addc_co_u32_e32 v49, vcc, 0, v49, vcc
	v_cmp_ge_i64_e64 s[2:3], v[46:47], v[34:35]
	v_add_co_u32_e32 v44, vcc, 0x4000, v44
	v_addc_co_u32_e32 v45, vcc, 0, v45, vcc
	s_or_b64 s[16:17], s[2:3], s[16:17]
	s_waitcnt vmcnt(0)
	v_fmac_f64_e32 v[54:55], v[76:77], v[12:13]
	v_fmac_f64_e32 v[40:41], v[60:61], v[12:13]
	v_fma_f64 v[54:55], -v[60:61], v[14:15], v[54:55]
	v_fmac_f64_e32 v[40:41], v[76:77], v[14:15]
	v_cvt_f64_f32_e32 v[60:61], v62
	v_cvt_f64_f32_e32 v[62:63], v63
	v_fmac_f64_e32 v[54:55], v[60:61], v[8:9]
	v_fmac_f64_e32 v[40:41], v[62:63], v[8:9]
	v_fma_f64 v[54:55], -v[62:63], v[10:11], v[54:55]
	v_fmac_f64_e32 v[40:41], v[60:61], v[10:11]
	v_cvt_f64_f32_e32 v[60:61], v72
	v_cvt_f64_f32_e32 v[62:63], v73
	v_fmac_f64_e32 v[54:55], v[60:61], v[4:5]
	v_fmac_f64_e32 v[40:41], v[62:63], v[4:5]
	v_fma_f64 v[54:55], -v[62:63], v[6:7], v[54:55]
	v_fmac_f64_e32 v[40:41], v[60:61], v[6:7]
	v_cvt_f64_f32_e32 v[60:61], v74
	v_cvt_f64_f32_e32 v[62:63], v75
	v_fmac_f64_e32 v[54:55], v[60:61], v[0:1]
	v_fmac_f64_e32 v[40:41], v[62:63], v[0:1]
	v_fma_f64 v[54:55], -v[62:63], v[2:3], v[54:55]
	v_fmac_f64_e32 v[40:41], v[60:61], v[2:3]
	v_cvt_f64_f32_e32 v[60:61], v68
	v_cvt_f64_f32_e32 v[62:63], v69
	v_fmac_f64_e32 v[56:57], v[60:61], v[12:13]
	v_fmac_f64_e32 v[38:39], v[62:63], v[12:13]
	v_fma_f64 v[56:57], -v[62:63], v[14:15], v[56:57]
	v_fmac_f64_e32 v[38:39], v[60:61], v[14:15]
	v_cvt_f64_f32_e32 v[60:61], v70
	v_cvt_f64_f32_e32 v[62:63], v71
	v_fmac_f64_e32 v[56:57], v[60:61], v[8:9]
	v_fmac_f64_e32 v[38:39], v[62:63], v[8:9]
	v_fma_f64 v[56:57], -v[62:63], v[10:11], v[56:57]
	v_fmac_f64_e32 v[38:39], v[60:61], v[10:11]
	v_cvt_f64_f32_e32 v[60:61], v64
	v_cvt_f64_f32_e32 v[62:63], v65
	v_fmac_f64_e32 v[56:57], v[60:61], v[4:5]
	v_fmac_f64_e32 v[38:39], v[62:63], v[4:5]
	v_fma_f64 v[56:57], -v[62:63], v[6:7], v[56:57]
	v_fmac_f64_e32 v[38:39], v[60:61], v[6:7]
	v_cvt_f64_f32_e32 v[60:61], v66
	v_cvt_f64_f32_e32 v[62:63], v67
	v_fmac_f64_e32 v[56:57], v[60:61], v[0:1]
	v_fmac_f64_e32 v[38:39], v[62:63], v[0:1]
	v_fma_f64 v[56:57], -v[62:63], v[2:3], v[56:57]
	v_fmac_f64_e32 v[38:39], v[60:61], v[2:3]
	global_load_dwordx4 v[60:63], v[58:59], off offset:112
	global_load_dwordx4 v[64:67], v[58:59], off offset:96
	;; [unrolled: 1-line block ×4, first 2 shown]
	s_waitcnt vmcnt(0)
	v_cvt_f64_f32_e32 v[58:59], v72
	v_cvt_f64_f32_e32 v[72:73], v73
	v_fmac_f64_e32 v[50:51], v[58:59], v[12:13]
	v_fmac_f64_e32 v[30:31], v[72:73], v[12:13]
	v_fma_f64 v[50:51], -v[72:73], v[14:15], v[50:51]
	v_fmac_f64_e32 v[30:31], v[58:59], v[14:15]
	v_cvt_f64_f32_e32 v[58:59], v74
	v_cvt_f64_f32_e32 v[72:73], v75
	v_fmac_f64_e32 v[50:51], v[58:59], v[8:9]
	v_fmac_f64_e32 v[30:31], v[72:73], v[8:9]
	v_fma_f64 v[50:51], -v[72:73], v[10:11], v[50:51]
	v_fmac_f64_e32 v[30:31], v[58:59], v[10:11]
	;; [unrolled: 6-line block ×3, first 2 shown]
	v_cvt_f64_f32_e32 v[68:69], v71
	v_cvt_f64_f32_e32 v[58:59], v70
	v_fmac_f64_e32 v[30:31], v[68:69], v[0:1]
	v_fmac_f64_e32 v[50:51], v[58:59], v[0:1]
	v_fmac_f64_e32 v[30:31], v[58:59], v[2:3]
	v_cvt_f64_f32_e32 v[58:59], v64
	v_cvt_f64_f32_e32 v[64:65], v65
	v_fmac_f64_e32 v[52:53], v[58:59], v[12:13]
	v_fmac_f64_e32 v[28:29], v[64:65], v[12:13]
	v_fma_f64 v[52:53], -v[64:65], v[14:15], v[52:53]
	v_fmac_f64_e32 v[28:29], v[58:59], v[14:15]
	v_cvt_f64_f32_e32 v[12:13], v66
	v_cvt_f64_f32_e32 v[14:15], v67
	v_fmac_f64_e32 v[52:53], v[12:13], v[8:9]
	v_fmac_f64_e32 v[28:29], v[14:15], v[8:9]
	v_fma_f64 v[52:53], -v[14:15], v[10:11], v[52:53]
	v_fmac_f64_e32 v[28:29], v[12:13], v[10:11]
	;; [unrolled: 6-line block ×3, first 2 shown]
	v_cvt_f64_f32_e32 v[4:5], v62
	v_cvt_f64_f32_e32 v[6:7], v63
	v_fmac_f64_e32 v[12:13], v[4:5], v[0:1]
	v_fmac_f64_e32 v[28:29], v[6:7], v[0:1]
	v_fma_f64 v[50:51], -v[68:69], v[2:3], v[50:51]
	v_fma_f64 v[52:53], -v[6:7], v[2:3], v[12:13]
	v_fmac_f64_e32 v[28:29], v[4:5], v[2:3]
	s_andn2_b64 exec, exec, s[16:17]
	s_cbranch_execnz .LBB173_23
; %bb.24:
	s_or_b64 exec, exec, s[16:17]
.LBB173_25:
	s_or_b64 exec, exec, s[14:15]
.LBB173_26:
	s_or_b64 exec, exec, s[10:11]
	s_andn2_b64 vcc, exec, s[8:9]
	s_cbranch_vccz .LBB173_28
	s_branch .LBB173_39
.LBB173_27:
                                        ; implicit-def: $vgpr40_vgpr41
                                        ; implicit-def: $vgpr54_vgpr55
                                        ; implicit-def: $vgpr38_vgpr39
                                        ; implicit-def: $vgpr56_vgpr57
                                        ; implicit-def: $vgpr30_vgpr31
                                        ; implicit-def: $vgpr50_vgpr51
                                        ; implicit-def: $vgpr28_vgpr29
                                        ; implicit-def: $vgpr52_vgpr53
.LBB173_28:
	v_pk_mov_b32 v[40:41], 0, 0
	v_pk_mov_b32 v[54:55], v[40:41], v[40:41] op_sel:[0,1]
	v_pk_mov_b32 v[38:39], v[40:41], v[40:41] op_sel:[0,1]
	;; [unrolled: 1-line block ×7, first 2 shown]
	s_and_saveexec_b64 s[2:3], s[0:1]
	s_cbranch_execz .LBB173_38
; %bb.29:
	v_or_b32_e32 v0, 32, v26
	v_mov_b32_e32 v1, s18
	v_subrev_co_u32_e32 v0, vcc, s20, v0
	v_subb_co_u32_e32 v1, vcc, 0, v1, vcc
	v_add_co_u32_e32 v0, vcc, v0, v42
	v_addc_co_u32_e32 v1, vcc, v1, v43, vcc
	v_cmp_gt_i64_e32 vcc, v[0:1], v[34:35]
	v_cndmask_b32_e32 v1, v35, v1, vcc
	v_cndmask_b32_e32 v0, v34, v0, vcc
	v_mov_b32_e32 v4, s18
	v_sub_co_u32_e32 v5, vcc, s20, v26
	v_not_b32_e32 v3, v42
	v_subbrev_co_u32_e32 v4, vcc, 0, v4, vcc
	v_not_b32_e32 v2, v43
	v_add_co_u32_e32 v3, vcc, v5, v3
	v_addc_co_u32_e32 v2, vcc, v4, v2, vcc
	v_add_co_u32_e32 v42, vcc, v3, v0
	v_lshrrev_b32_e32 v0, 5, v42
	v_add_u32_e32 v0, 1, v0
	v_addc_co_u32_e32 v43, vcc, v2, v1, vcc
	v_and_b32_e32 v0, 3, v0
	v_pk_mov_b32 v[52:53], 0, 0
	v_cmp_ne_u32_e32 vcc, 0, v0
	s_mov_b64 s[10:11], 0
	v_pk_mov_b32 v[28:29], v[52:53], v[52:53] op_sel:[0,1]
	v_pk_mov_b32 v[50:51], v[52:53], v[52:53] op_sel:[0,1]
	;; [unrolled: 1-line block ×7, first 2 shown]
	s_and_saveexec_b64 s[8:9], vcc
	s_cbranch_execz .LBB173_33
; %bb.30:
	v_lshlrev_b64 v[2:3], 2, v[32:33]
	v_mov_b32_e32 v1, s13
	v_add_co_u32_e32 v46, vcc, s12, v2
	v_pk_mov_b32 v[40:41], 0, 0
	v_mov_b32_e32 v45, 0
	v_addc_co_u32_e32 v47, vcc, v1, v3, vcc
	v_lshlrev_b32_e32 v44, 2, v0
	s_movk_i32 s14, 0x1000
	v_mov_b32_e32 v25, s5
	v_pk_mov_b32 v[54:55], v[40:41], v[40:41] op_sel:[0,1]
	v_pk_mov_b32 v[38:39], v[40:41], v[40:41] op_sel:[0,1]
	;; [unrolled: 1-line block ×7, first 2 shown]
.LBB173_31:                             ; =>This Inner Loop Header: Depth=1
	global_load_dword v27, v[46:47], off
	global_load_dwordx4 v[12:15], v[36:37], off
	global_load_dwordx4 v[8:11], v[36:37], off offset:16
	global_load_dwordx4 v[4:7], v[36:37], off offset:32
	;; [unrolled: 1-line block ×7, first 2 shown]
	v_add_co_u32_e32 v36, vcc, s14, v36
	v_addc_co_u32_e32 v37, vcc, 0, v37, vcc
	v_add_co_u32_e32 v46, vcc, 0x80, v46
	v_addc_co_u32_e32 v47, vcc, 0, v47, vcc
	v_add_co_u32_e64 v32, s[0:1], 32, v32
	v_addc_co_u32_e64 v33, s[0:1], 0, v33, s[0:1]
	v_add_co_u32_e64 v44, s[0:1], -4, v44
	v_addc_co_u32_e64 v45, s[0:1], -1, v45, s[0:1]
	v_cmp_eq_u64_e64 s[0:1], 0, v[44:45]
	s_or_b64 s[10:11], s[0:1], s[10:11]
	s_waitcnt vmcnt(8)
	v_subrev_u32_e32 v27, s20, v27
	s_waitcnt vmcnt(7)
	v_cvt_f64_f32_e32 v[48:49], v12
	v_cvt_f64_f32_e32 v[78:79], v13
	s_waitcnt vmcnt(5)
	v_cvt_f64_f32_e32 v[92:93], v4
	v_lshlrev_b32_e32 v4, 2, v27
	v_cvt_f64_f32_e32 v[94:95], v5
	v_ashrrev_i32_e32 v5, 31, v4
	v_lshlrev_b64 v[4:5], 4, v[4:5]
	v_add_co_u32_e32 v104, vcc, s4, v4
	v_addc_co_u32_e32 v105, vcc, v25, v5, vcc
	v_cvt_f64_f32_e32 v[80:81], v14
	v_cvt_f64_f32_e32 v[82:83], v15
	;; [unrolled: 1-line block ×8, first 2 shown]
	global_load_dwordx4 v[4:7], v[104:105], off
	global_load_dwordx4 v[8:11], v[104:105], off offset:16
	global_load_dwordx4 v[12:15], v[104:105], off offset:32
	;; [unrolled: 1-line block ×3, first 2 shown]
	s_waitcnt vmcnt(8)
	v_cvt_f64_f32_e32 v[100:101], v0
	v_cvt_f64_f32_e32 v[0:1], v1
	v_cvt_f64_f32_e32 v[102:103], v2
	v_cvt_f64_f32_e32 v[2:3], v3
	s_waitcnt vmcnt(7)
	v_cvt_f64_f32_e32 v[104:105], v58
	v_cvt_f64_f32_e32 v[58:59], v59
	v_cvt_f64_f32_e32 v[106:107], v60
	v_cvt_f64_f32_e32 v[60:61], v61
	;; [unrolled: 5-line block ×5, first 2 shown]
	s_waitcnt vmcnt(3)
	v_fmac_f64_e32 v[54:55], v[48:49], v[4:5]
	v_fmac_f64_e32 v[40:41], v[78:79], v[4:5]
	v_fmac_f64_e32 v[56:57], v[80:81], v[4:5]
	v_fmac_f64_e32 v[38:39], v[82:83], v[4:5]
	v_fmac_f64_e32 v[50:51], v[84:85], v[4:5]
	v_fmac_f64_e32 v[30:31], v[86:87], v[4:5]
	v_fmac_f64_e32 v[52:53], v[88:89], v[4:5]
	v_fmac_f64_e32 v[28:29], v[90:91], v[4:5]
	v_fma_f64 v[4:5], -v[78:79], v[6:7], v[54:55]
	v_fmac_f64_e32 v[40:41], v[48:49], v[6:7]
	v_fma_f64 v[48:49], -v[82:83], v[6:7], v[56:57]
	v_fmac_f64_e32 v[38:39], v[80:81], v[6:7]
	v_fma_f64 v[50:51], -v[86:87], v[6:7], v[50:51]
	v_fmac_f64_e32 v[30:31], v[84:85], v[6:7]
	v_fma_f64 v[52:53], -v[90:91], v[6:7], v[52:53]
	v_fmac_f64_e32 v[28:29], v[88:89], v[6:7]
	s_waitcnt vmcnt(2)
	v_fmac_f64_e32 v[4:5], v[92:93], v[8:9]
	v_fmac_f64_e32 v[40:41], v[94:95], v[8:9]
	v_fmac_f64_e32 v[48:49], v[96:97], v[8:9]
	v_fmac_f64_e32 v[38:39], v[98:99], v[8:9]
	v_fmac_f64_e32 v[50:51], v[100:101], v[8:9]
	v_fmac_f64_e32 v[30:31], v[0:1], v[8:9]
	v_fmac_f64_e32 v[52:53], v[102:103], v[8:9]
	v_fmac_f64_e32 v[28:29], v[2:3], v[8:9]
	v_fma_f64 v[4:5], -v[94:95], v[10:11], v[4:5]
	v_fmac_f64_e32 v[40:41], v[92:93], v[10:11]
	v_fma_f64 v[6:7], -v[98:99], v[10:11], v[48:49]
	v_fmac_f64_e32 v[38:39], v[96:97], v[10:11]
	v_fma_f64 v[0:1], -v[0:1], v[10:11], v[50:51]
	v_fmac_f64_e32 v[30:31], v[100:101], v[10:11]
	v_fma_f64 v[2:3], -v[2:3], v[10:11], v[52:53]
	v_fmac_f64_e32 v[28:29], v[102:103], v[10:11]
	;; [unrolled: 17-line block ×4, first 2 shown]
	s_andn2_b64 exec, exec, s[10:11]
	s_cbranch_execnz .LBB173_31
; %bb.32:
	s_or_b64 exec, exec, s[10:11]
.LBB173_33:
	s_or_b64 exec, exec, s[8:9]
	s_mov_b64 s[0:1], 0x5f
	v_cmp_lt_u64_e32 vcc, s[0:1], v[42:43]
	s_and_saveexec_b64 s[8:9], vcc
	s_cbranch_execz .LBB173_37
; %bb.34:
	v_lshlrev_b64 v[0:1], 2, v[32:33]
	v_mov_b32_e32 v2, s13
	v_add_co_u32_e32 v0, vcc, s12, v0
	v_addc_co_u32_e32 v1, vcc, v1, v2, vcc
	v_add_co_u32_e32 v8, vcc, 0x100, v0
	v_addc_co_u32_e32 v9, vcc, 0, v1, vcc
	s_mov_b64 s[10:11], 0
	v_mov_b32_e32 v25, s5
	s_movk_i32 s5, 0x1000
	s_movk_i32 s12, 0x2000
	;; [unrolled: 1-line block ×3, first 2 shown]
.LBB173_35:                             ; =>This Inner Loop Header: Depth=1
	global_load_dword v0, v[8:9], off offset:-256
	global_load_dwordx4 v[10:13], v[36:37], off offset:48
	global_load_dwordx4 v[42:45], v[36:37], off offset:32
	;; [unrolled: 1-line block ×3, first 2 shown]
	global_load_dwordx4 v[58:61], v[36:37], off
	s_waitcnt vmcnt(4)
	v_subrev_u32_e32 v0, s20, v0
	v_lshlrev_b32_e32 v0, 2, v0
	v_ashrrev_i32_e32 v1, 31, v0
	v_lshlrev_b64 v[0:1], 4, v[0:1]
	v_add_co_u32_e32 v70, vcc, s4, v0
	v_addc_co_u32_e32 v71, vcc, v25, v1, vcc
	global_load_dwordx4 v[0:3], v[70:71], off offset:48
	global_load_dwordx4 v[4:7], v[70:71], off offset:32
	;; [unrolled: 1-line block ×3, first 2 shown]
	global_load_dwordx4 v[66:69], v[70:71], off
	s_waitcnt vmcnt(4)
	v_cvt_f64_f32_e32 v[14:15], v58
	v_cvt_f64_f32_e32 v[58:59], v59
	s_waitcnt vmcnt(0)
	v_fmac_f64_e32 v[54:55], v[14:15], v[66:67]
	v_fma_f64 v[54:55], -v[58:59], v[68:69], v[54:55]
	v_fmac_f64_e32 v[40:41], v[58:59], v[66:67]
	v_cvt_f64_f32_e32 v[58:59], v61
	v_fmac_f64_e32 v[40:41], v[14:15], v[68:69]
	v_cvt_f64_f32_e32 v[14:15], v60
	v_fmac_f64_e32 v[38:39], v[58:59], v[66:67]
	v_fmac_f64_e32 v[56:57], v[14:15], v[66:67]
	;; [unrolled: 1-line block ×3, first 2 shown]
	v_cvt_f64_f32_e32 v[14:15], v46
	v_cvt_f64_f32_e32 v[46:47], v47
	v_fmac_f64_e32 v[50:51], v[14:15], v[66:67]
	v_fma_f64 v[50:51], -v[46:47], v[68:69], v[50:51]
	v_fmac_f64_e32 v[30:31], v[46:47], v[66:67]
	v_cvt_f64_f32_e32 v[46:47], v49
	v_fmac_f64_e32 v[30:31], v[14:15], v[68:69]
	v_cvt_f64_f32_e32 v[14:15], v48
	v_fmac_f64_e32 v[28:29], v[46:47], v[66:67]
	v_fmac_f64_e32 v[52:53], v[14:15], v[66:67]
	;; [unrolled: 1-line block ×3, first 2 shown]
	v_cvt_f64_f32_e32 v[14:15], v42
	v_cvt_f64_f32_e32 v[42:43], v43
	v_fmac_f64_e32 v[54:55], v[14:15], v[62:63]
	v_fma_f64 v[54:55], -v[42:43], v[64:65], v[54:55]
	v_fmac_f64_e32 v[40:41], v[42:43], v[62:63]
	v_cvt_f64_f32_e32 v[42:43], v45
	v_fma_f64 v[56:57], -v[58:59], v[68:69], v[56:57]
	v_fmac_f64_e32 v[40:41], v[14:15], v[64:65]
	v_cvt_f64_f32_e32 v[14:15], v44
	v_fmac_f64_e32 v[38:39], v[42:43], v[62:63]
	v_fmac_f64_e32 v[56:57], v[14:15], v[62:63]
	v_fmac_f64_e32 v[38:39], v[14:15], v[64:65]
	v_cvt_f64_f32_e32 v[14:15], v10
	v_cvt_f64_f32_e32 v[10:11], v11
	v_fmac_f64_e32 v[50:51], v[14:15], v[62:63]
	v_fma_f64 v[48:49], -v[46:47], v[68:69], v[52:53]
	v_fma_f64 v[58:59], -v[10:11], v[64:65], v[50:51]
	v_fmac_f64_e32 v[30:31], v[10:11], v[62:63]
	v_cvt_f64_f32_e32 v[10:11], v12
	v_cvt_f64_f32_e32 v[12:13], v13
	v_fmac_f64_e32 v[48:49], v[10:11], v[62:63]
	v_fmac_f64_e32 v[28:29], v[12:13], v[62:63]
	v_fma_f64 v[56:57], -v[42:43], v[64:65], v[56:57]
	v_fmac_f64_e32 v[30:31], v[14:15], v[64:65]
	v_fma_f64 v[14:15], -v[12:13], v[64:65], v[48:49]
	v_fmac_f64_e32 v[28:29], v[10:11], v[64:65]
	global_load_dwordx4 v[10:13], v[36:37], off offset:112
	global_load_dwordx4 v[42:45], v[36:37], off offset:96
	;; [unrolled: 1-line block ×4, first 2 shown]
	s_waitcnt vmcnt(0)
	v_cvt_f64_f32_e32 v[60:61], v50
	v_cvt_f64_f32_e32 v[50:51], v51
	v_fmac_f64_e32 v[54:55], v[60:61], v[4:5]
	v_fma_f64 v[54:55], -v[50:51], v[6:7], v[54:55]
	v_fmac_f64_e32 v[40:41], v[50:51], v[4:5]
	v_cvt_f64_f32_e32 v[50:51], v52
	v_cvt_f64_f32_e32 v[52:53], v53
	v_fmac_f64_e32 v[38:39], v[52:53], v[4:5]
	v_fmac_f64_e32 v[56:57], v[50:51], v[4:5]
	;; [unrolled: 1-line block ×3, first 2 shown]
	v_cvt_f64_f32_e32 v[50:51], v46
	v_cvt_f64_f32_e32 v[46:47], v47
	v_fmac_f64_e32 v[58:59], v[50:51], v[4:5]
	v_fma_f64 v[56:57], -v[52:53], v[6:7], v[56:57]
	v_fma_f64 v[52:53], -v[46:47], v[6:7], v[58:59]
	v_fmac_f64_e32 v[30:31], v[46:47], v[4:5]
	v_cvt_f64_f32_e32 v[46:47], v48
	v_cvt_f64_f32_e32 v[48:49], v49
	v_fmac_f64_e32 v[14:15], v[46:47], v[4:5]
	v_fmac_f64_e32 v[28:29], v[48:49], v[4:5]
	;; [unrolled: 1-line block ×4, first 2 shown]
	v_fma_f64 v[14:15], -v[48:49], v[6:7], v[14:15]
	v_fmac_f64_e32 v[28:29], v[46:47], v[6:7]
	v_cvt_f64_f32_e32 v[4:5], v42
	v_cvt_f64_f32_e32 v[6:7], v43
	v_fmac_f64_e32 v[54:55], v[4:5], v[0:1]
	v_fmac_f64_e32 v[40:41], v[6:7], v[0:1]
	v_fma_f64 v[66:67], -v[6:7], v[2:3], v[54:55]
	v_fmac_f64_e32 v[40:41], v[4:5], v[2:3]
	v_cvt_f64_f32_e32 v[4:5], v44
	v_cvt_f64_f32_e32 v[6:7], v45
	v_fmac_f64_e32 v[56:57], v[4:5], v[0:1]
	v_fmac_f64_e32 v[38:39], v[6:7], v[0:1]
	v_fma_f64 v[68:69], -v[6:7], v[2:3], v[56:57]
	v_fmac_f64_e32 v[38:39], v[4:5], v[2:3]
	v_cvt_f64_f32_e32 v[4:5], v10
	v_cvt_f64_f32_e32 v[6:7], v11
	v_fmac_f64_e32 v[52:53], v[4:5], v[0:1]
	v_fmac_f64_e32 v[30:31], v[6:7], v[0:1]
	v_fma_f64 v[70:71], -v[6:7], v[2:3], v[52:53]
	v_fmac_f64_e32 v[30:31], v[4:5], v[2:3]
	v_cvt_f64_f32_e32 v[4:5], v12
	v_cvt_f64_f32_e32 v[6:7], v13
	v_fmac_f64_e32 v[14:15], v[4:5], v[0:1]
	v_fmac_f64_e32 v[28:29], v[6:7], v[0:1]
	global_load_dword v0, v[8:9], off offset:-128
	v_fma_f64 v[14:15], -v[6:7], v[2:3], v[14:15]
	v_add_co_u32_e32 v6, vcc, s5, v36
	v_addc_co_u32_e32 v7, vcc, 0, v37, vcc
	v_fmac_f64_e32 v[28:29], v[4:5], v[2:3]
	s_waitcnt vmcnt(0)
	v_subrev_u32_e32 v0, s20, v0
	v_lshlrev_b32_e32 v50, 2, v0
	v_add_co_u32_e32 v0, vcc, s12, v36
	v_ashrrev_i32_e32 v51, 31, v50
	v_addc_co_u32_e32 v1, vcc, 0, v37, vcc
	v_lshlrev_b64 v[50:51], 4, v[50:51]
	v_add_co_u32_e32 v74, vcc, s4, v50
	v_addc_co_u32_e32 v75, vcc, v25, v51, vcc
	global_load_dwordx4 v[2:5], v[0:1], off offset:-4096
	global_load_dwordx4 v[10:13], v[6:7], off offset:48
	global_load_dwordx4 v[42:45], v[6:7], off offset:32
	;; [unrolled: 1-line block ×6, first 2 shown]
	global_load_dwordx4 v[62:65], v[74:75], off
	s_waitcnt vmcnt(7)
	v_cvt_f64_f32_e32 v[72:73], v2
	v_cvt_f64_f32_e32 v[2:3], v3
	s_waitcnt vmcnt(0)
	v_fmac_f64_e32 v[66:67], v[72:73], v[62:63]
	v_fma_f64 v[66:67], -v[2:3], v[64:65], v[66:67]
	v_fmac_f64_e32 v[40:41], v[2:3], v[62:63]
	v_cvt_f64_f32_e32 v[2:3], v4
	v_cvt_f64_f32_e32 v[4:5], v5
	v_fmac_f64_e32 v[68:69], v[2:3], v[62:63]
	v_fmac_f64_e32 v[38:39], v[4:5], v[62:63]
	v_fma_f64 v[68:69], -v[4:5], v[64:65], v[68:69]
	v_fmac_f64_e32 v[38:39], v[2:3], v[64:65]
	v_cvt_f64_f32_e32 v[2:3], v46
	v_cvt_f64_f32_e32 v[4:5], v47
	v_fmac_f64_e32 v[70:71], v[2:3], v[62:63]
	;; [unrolled: 6-line block ×3, first 2 shown]
	v_fmac_f64_e32 v[28:29], v[4:5], v[62:63]
	v_fmac_f64_e32 v[40:41], v[72:73], v[64:65]
	v_fma_f64 v[14:15], -v[4:5], v[64:65], v[14:15]
	v_fmac_f64_e32 v[28:29], v[2:3], v[64:65]
	v_cvt_f64_f32_e32 v[2:3], v42
	v_cvt_f64_f32_e32 v[4:5], v43
	v_fmac_f64_e32 v[66:67], v[2:3], v[58:59]
	v_fmac_f64_e32 v[40:41], v[4:5], v[58:59]
	v_fma_f64 v[62:63], -v[4:5], v[60:61], v[66:67]
	v_fmac_f64_e32 v[40:41], v[2:3], v[60:61]
	v_cvt_f64_f32_e32 v[2:3], v44
	v_cvt_f64_f32_e32 v[4:5], v45
	;; [unrolled: 6-line block ×4, first 2 shown]
	v_fmac_f64_e32 v[14:15], v[2:3], v[58:59]
	v_fmac_f64_e32 v[28:29], v[4:5], v[58:59]
	v_fma_f64 v[14:15], -v[4:5], v[60:61], v[14:15]
	v_fmac_f64_e32 v[28:29], v[2:3], v[60:61]
	global_load_dwordx4 v[10:13], v[6:7], off offset:112
	global_load_dwordx4 v[2:5], v[6:7], off offset:96
	;; [unrolled: 1-line block ×4, first 2 shown]
	s_waitcnt vmcnt(0)
	v_cvt_f64_f32_e32 v[6:7], v46
	v_cvt_f64_f32_e32 v[46:47], v47
	v_fmac_f64_e32 v[62:63], v[6:7], v[54:55]
	v_fma_f64 v[58:59], -v[46:47], v[56:57], v[62:63]
	v_fmac_f64_e32 v[40:41], v[46:47], v[54:55]
	v_cvt_f64_f32_e32 v[46:47], v49
	v_fmac_f64_e32 v[40:41], v[6:7], v[56:57]
	v_cvt_f64_f32_e32 v[6:7], v48
	v_fmac_f64_e32 v[38:39], v[46:47], v[54:55]
	v_fmac_f64_e32 v[64:65], v[6:7], v[54:55]
	;; [unrolled: 1-line block ×3, first 2 shown]
	v_cvt_f64_f32_e32 v[6:7], v42
	v_cvt_f64_f32_e32 v[42:43], v43
	v_fmac_f64_e32 v[30:31], v[42:43], v[54:55]
	v_fmac_f64_e32 v[66:67], v[6:7], v[54:55]
	;; [unrolled: 1-line block ×3, first 2 shown]
	v_cvt_f64_f32_e32 v[6:7], v44
	v_fma_f64 v[48:49], -v[46:47], v[56:57], v[64:65]
	v_fma_f64 v[46:47], -v[42:43], v[56:57], v[66:67]
	v_cvt_f64_f32_e32 v[42:43], v45
	v_fmac_f64_e32 v[14:15], v[6:7], v[54:55]
	v_fma_f64 v[14:15], -v[42:43], v[56:57], v[14:15]
	v_fmac_f64_e32 v[28:29], v[42:43], v[54:55]
	v_cvt_f64_f32_e32 v[42:43], v3
	v_fmac_f64_e32 v[28:29], v[6:7], v[56:57]
	v_cvt_f64_f32_e32 v[6:7], v2
	v_fmac_f64_e32 v[40:41], v[42:43], v[50:51]
	v_fmac_f64_e32 v[58:59], v[6:7], v[50:51]
	;; [unrolled: 1-line block ×3, first 2 shown]
	v_cvt_f64_f32_e32 v[6:7], v4
	v_fma_f64 v[2:3], -v[42:43], v[52:53], v[58:59]
	v_cvt_f64_f32_e32 v[42:43], v5
	v_fmac_f64_e32 v[48:49], v[6:7], v[50:51]
	v_fma_f64 v[4:5], -v[42:43], v[52:53], v[48:49]
	v_fmac_f64_e32 v[38:39], v[42:43], v[50:51]
	v_cvt_f64_f32_e32 v[42:43], v10
	v_cvt_f64_f32_e32 v[10:11], v11
	v_fmac_f64_e32 v[30:31], v[10:11], v[50:51]
	v_fmac_f64_e32 v[46:47], v[42:43], v[50:51]
	;; [unrolled: 1-line block ×3, first 2 shown]
	v_cvt_f64_f32_e32 v[42:43], v12
	v_cvt_f64_f32_e32 v[12:13], v13
	v_fmac_f64_e32 v[14:15], v[42:43], v[50:51]
	v_fmac_f64_e32 v[38:39], v[6:7], v[52:53]
	v_fma_f64 v[6:7], -v[10:11], v[52:53], v[46:47]
	v_fma_f64 v[10:11], -v[12:13], v[52:53], v[14:15]
	v_fmac_f64_e32 v[28:29], v[12:13], v[50:51]
	global_load_dword v12, v[8:9], off
	v_fmac_f64_e32 v[28:29], v[42:43], v[52:53]
	s_waitcnt vmcnt(0)
	v_subrev_u32_e32 v12, s20, v12
	v_lshlrev_b32_e32 v54, 2, v12
	v_ashrrev_i32_e32 v55, 31, v54
	v_lshlrev_b64 v[54:55], 4, v[54:55]
	v_add_co_u32_e32 v72, vcc, s4, v54
	v_addc_co_u32_e32 v73, vcc, v25, v55, vcc
	global_load_dwordx4 v[12:15], v[0:1], off
	global_load_dwordx4 v[42:45], v[0:1], off offset:48
	global_load_dwordx4 v[46:49], v[0:1], off offset:32
	;; [unrolled: 1-line block ×6, first 2 shown]
	global_load_dwordx4 v[66:69], v[72:73], off
	s_waitcnt vmcnt(7)
	v_cvt_f64_f32_e32 v[70:71], v12
	v_cvt_f64_f32_e32 v[12:13], v13
	s_waitcnt vmcnt(0)
	v_fmac_f64_e32 v[2:3], v[70:71], v[66:67]
	v_fma_f64 v[2:3], -v[12:13], v[68:69], v[2:3]
	v_fmac_f64_e32 v[40:41], v[12:13], v[66:67]
	v_cvt_f64_f32_e32 v[12:13], v14
	v_cvt_f64_f32_e32 v[14:15], v15
	v_fmac_f64_e32 v[4:5], v[12:13], v[66:67]
	v_fmac_f64_e32 v[38:39], v[14:15], v[66:67]
	v_fma_f64 v[4:5], -v[14:15], v[68:69], v[4:5]
	v_fmac_f64_e32 v[38:39], v[12:13], v[68:69]
	v_cvt_f64_f32_e32 v[12:13], v50
	v_cvt_f64_f32_e32 v[14:15], v51
	v_fmac_f64_e32 v[6:7], v[12:13], v[66:67]
	;; [unrolled: 6-line block ×3, first 2 shown]
	v_fmac_f64_e32 v[28:29], v[14:15], v[66:67]
	v_fmac_f64_e32 v[40:41], v[70:71], v[68:69]
	v_fma_f64 v[10:11], -v[14:15], v[68:69], v[10:11]
	v_fmac_f64_e32 v[28:29], v[12:13], v[68:69]
	v_cvt_f64_f32_e32 v[12:13], v46
	v_cvt_f64_f32_e32 v[14:15], v47
	v_fmac_f64_e32 v[2:3], v[12:13], v[62:63]
	v_fmac_f64_e32 v[40:41], v[14:15], v[62:63]
	v_fma_f64 v[50:51], -v[14:15], v[64:65], v[2:3]
	v_fmac_f64_e32 v[40:41], v[12:13], v[64:65]
	v_cvt_f64_f32_e32 v[2:3], v48
	v_cvt_f64_f32_e32 v[12:13], v49
	;; [unrolled: 6-line block ×4, first 2 shown]
	v_fmac_f64_e32 v[10:11], v[2:3], v[62:63]
	v_fmac_f64_e32 v[28:29], v[4:5], v[62:63]
	v_fma_f64 v[52:53], -v[4:5], v[64:65], v[10:11]
	v_fmac_f64_e32 v[28:29], v[2:3], v[64:65]
	global_load_dwordx4 v[2:5], v[0:1], off offset:112
	global_load_dwordx4 v[10:13], v[0:1], off offset:96
	;; [unrolled: 1-line block ×4, first 2 shown]
	s_waitcnt vmcnt(0)
	v_cvt_f64_f32_e32 v[0:1], v46
	v_cvt_f64_f32_e32 v[46:47], v47
	v_fmac_f64_e32 v[50:51], v[0:1], v[58:59]
	v_fma_f64 v[50:51], -v[46:47], v[60:61], v[50:51]
	v_fmac_f64_e32 v[40:41], v[46:47], v[58:59]
	v_cvt_f64_f32_e32 v[46:47], v49
	v_fmac_f64_e32 v[40:41], v[0:1], v[60:61]
	v_cvt_f64_f32_e32 v[0:1], v48
	v_fmac_f64_e32 v[38:39], v[46:47], v[58:59]
	v_fmac_f64_e32 v[14:15], v[0:1], v[58:59]
	;; [unrolled: 1-line block ×3, first 2 shown]
	v_cvt_f64_f32_e32 v[0:1], v42
	v_cvt_f64_f32_e32 v[42:43], v43
	v_fmac_f64_e32 v[6:7], v[0:1], v[58:59]
	v_fma_f64 v[6:7], -v[42:43], v[60:61], v[6:7]
	v_fmac_f64_e32 v[30:31], v[42:43], v[58:59]
	v_cvt_f64_f32_e32 v[42:43], v45
	v_fmac_f64_e32 v[30:31], v[0:1], v[60:61]
	v_cvt_f64_f32_e32 v[0:1], v44
	v_fmac_f64_e32 v[28:29], v[42:43], v[58:59]
	v_fmac_f64_e32 v[52:53], v[0:1], v[58:59]
	;; [unrolled: 1-line block ×3, first 2 shown]
	v_cvt_f64_f32_e32 v[0:1], v10
	v_cvt_f64_f32_e32 v[10:11], v11
	v_fmac_f64_e32 v[50:51], v[0:1], v[54:55]
	v_fma_f64 v[44:45], -v[42:43], v[60:61], v[52:53]
	v_fma_f64 v[42:43], -v[10:11], v[56:57], v[50:51]
	v_fmac_f64_e32 v[40:41], v[10:11], v[54:55]
	v_cvt_f64_f32_e32 v[10:11], v13
	v_fma_f64 v[14:15], -v[46:47], v[60:61], v[14:15]
	v_fmac_f64_e32 v[40:41], v[0:1], v[56:57]
	v_cvt_f64_f32_e32 v[0:1], v12
	v_fmac_f64_e32 v[38:39], v[10:11], v[54:55]
	v_fmac_f64_e32 v[14:15], v[0:1], v[54:55]
	;; [unrolled: 1-line block ×3, first 2 shown]
	v_cvt_f64_f32_e32 v[0:1], v2
	v_cvt_f64_f32_e32 v[2:3], v3
	v_fmac_f64_e32 v[6:7], v[0:1], v[54:55]
	v_fma_f64 v[12:13], -v[2:3], v[56:57], v[6:7]
	v_fmac_f64_e32 v[30:31], v[2:3], v[54:55]
	v_cvt_f64_f32_e32 v[2:3], v5
	v_fmac_f64_e32 v[30:31], v[0:1], v[56:57]
	v_cvt_f64_f32_e32 v[0:1], v4
	v_fmac_f64_e32 v[28:29], v[2:3], v[54:55]
	v_fmac_f64_e32 v[44:45], v[0:1], v[54:55]
	;; [unrolled: 1-line block ×3, first 2 shown]
	global_load_dword v0, v[8:9], off offset:128
	v_fma_f64 v[14:15], -v[10:11], v[56:57], v[14:15]
	v_fma_f64 v[10:11], -v[2:3], v[56:57], v[44:45]
	v_add_co_u32_e32 v44, vcc, s13, v36
	v_addc_co_u32_e32 v45, vcc, 0, v37, vcc
	global_load_dwordx4 v[46:49], v[44:45], off
	global_load_dwordx4 v[50:53], v[44:45], off offset:48
	global_load_dwordx4 v[54:57], v[44:45], off offset:32
	;; [unrolled: 1-line block ×3, first 2 shown]
	s_waitcnt vmcnt(4)
	v_subrev_u32_e32 v0, s20, v0
	v_lshlrev_b32_e32 v0, 2, v0
	v_ashrrev_i32_e32 v1, 31, v0
	v_lshlrev_b64 v[0:1], 4, v[0:1]
	v_add_co_u32_e32 v72, vcc, s4, v0
	v_addc_co_u32_e32 v73, vcc, v25, v1, vcc
	global_load_dwordx4 v[0:3], v[72:73], off offset:48
	global_load_dwordx4 v[4:7], v[72:73], off offset:32
	;; [unrolled: 1-line block ×3, first 2 shown]
	global_load_dwordx4 v[66:69], v[72:73], off
	s_waitcnt vmcnt(7)
	v_cvt_f64_f32_e32 v[70:71], v46
	v_cvt_f64_f32_e32 v[46:47], v47
	v_add_co_u32_e32 v32, vcc, 0x80, v32
	v_addc_co_u32_e32 v33, vcc, 0, v33, vcc
	v_add_co_u32_e32 v8, vcc, 0x200, v8
	v_addc_co_u32_e32 v9, vcc, 0, v9, vcc
	v_cmp_ge_i64_e64 s[0:1], v[32:33], v[34:35]
	v_add_co_u32_e32 v36, vcc, 0x4000, v36
	v_addc_co_u32_e32 v37, vcc, 0, v37, vcc
	s_or_b64 s[10:11], s[0:1], s[10:11]
	s_waitcnt vmcnt(0)
	v_fmac_f64_e32 v[42:43], v[70:71], v[66:67]
	v_fma_f64 v[42:43], -v[46:47], v[68:69], v[42:43]
	v_fmac_f64_e32 v[40:41], v[46:47], v[66:67]
	v_cvt_f64_f32_e32 v[46:47], v48
	v_cvt_f64_f32_e32 v[48:49], v49
	v_fmac_f64_e32 v[14:15], v[46:47], v[66:67]
	v_fmac_f64_e32 v[38:39], v[48:49], v[66:67]
	v_fma_f64 v[14:15], -v[48:49], v[68:69], v[14:15]
	v_fmac_f64_e32 v[38:39], v[46:47], v[68:69]
	v_cvt_f64_f32_e32 v[46:47], v58
	v_cvt_f64_f32_e32 v[48:49], v59
	v_fmac_f64_e32 v[12:13], v[46:47], v[66:67]
	;; [unrolled: 6-line block ×3, first 2 shown]
	v_fmac_f64_e32 v[28:29], v[48:49], v[66:67]
	v_fmac_f64_e32 v[40:41], v[70:71], v[68:69]
	v_fma_f64 v[10:11], -v[48:49], v[68:69], v[10:11]
	v_fmac_f64_e32 v[28:29], v[46:47], v[68:69]
	v_cvt_f64_f32_e32 v[46:47], v54
	v_cvt_f64_f32_e32 v[48:49], v55
	v_fmac_f64_e32 v[42:43], v[46:47], v[62:63]
	v_fmac_f64_e32 v[40:41], v[48:49], v[62:63]
	v_fma_f64 v[42:43], -v[48:49], v[64:65], v[42:43]
	v_fmac_f64_e32 v[40:41], v[46:47], v[64:65]
	v_cvt_f64_f32_e32 v[46:47], v56
	v_cvt_f64_f32_e32 v[48:49], v57
	;; [unrolled: 6-line block ×4, first 2 shown]
	v_fmac_f64_e32 v[10:11], v[12:13], v[62:63]
	v_fmac_f64_e32 v[28:29], v[46:47], v[62:63]
	v_fma_f64 v[60:61], -v[46:47], v[64:65], v[10:11]
	v_fmac_f64_e32 v[28:29], v[12:13], v[64:65]
	global_load_dwordx4 v[10:13], v[44:45], off offset:112
	global_load_dwordx4 v[46:49], v[44:45], off offset:96
	;; [unrolled: 1-line block ×4, first 2 shown]
	s_waitcnt vmcnt(0)
	v_cvt_f64_f32_e32 v[44:45], v54
	v_cvt_f64_f32_e32 v[54:55], v55
	v_fmac_f64_e32 v[42:43], v[44:45], v[4:5]
	v_fma_f64 v[42:43], -v[54:55], v[6:7], v[42:43]
	v_fmac_f64_e32 v[40:41], v[54:55], v[4:5]
	v_cvt_f64_f32_e32 v[54:55], v57
	v_fmac_f64_e32 v[40:41], v[44:45], v[6:7]
	v_cvt_f64_f32_e32 v[44:45], v56
	v_fmac_f64_e32 v[38:39], v[54:55], v[4:5]
	v_fmac_f64_e32 v[14:15], v[44:45], v[4:5]
	;; [unrolled: 1-line block ×3, first 2 shown]
	v_cvt_f64_f32_e32 v[44:45], v50
	v_cvt_f64_f32_e32 v[50:51], v51
	v_fmac_f64_e32 v[58:59], v[44:45], v[4:5]
	v_fmac_f64_e32 v[30:31], v[50:51], v[4:5]
	v_fma_f64 v[58:59], -v[50:51], v[6:7], v[58:59]
	v_fmac_f64_e32 v[30:31], v[44:45], v[6:7]
	v_cvt_f64_f32_e32 v[44:45], v52
	v_cvt_f64_f32_e32 v[50:51], v53
	v_fmac_f64_e32 v[60:61], v[44:45], v[4:5]
	v_fmac_f64_e32 v[28:29], v[50:51], v[4:5]
	v_fma_f64 v[14:15], -v[54:55], v[6:7], v[14:15]
	v_fma_f64 v[52:53], -v[50:51], v[6:7], v[60:61]
	v_fmac_f64_e32 v[28:29], v[44:45], v[6:7]
	v_cvt_f64_f32_e32 v[4:5], v46
	v_cvt_f64_f32_e32 v[6:7], v47
	v_fmac_f64_e32 v[42:43], v[4:5], v[0:1]
	v_fmac_f64_e32 v[40:41], v[6:7], v[0:1]
	v_fma_f64 v[54:55], -v[6:7], v[2:3], v[42:43]
	v_fmac_f64_e32 v[40:41], v[4:5], v[2:3]
	v_cvt_f64_f32_e32 v[4:5], v48
	v_cvt_f64_f32_e32 v[6:7], v49
	v_fmac_f64_e32 v[14:15], v[4:5], v[0:1]
	v_fmac_f64_e32 v[38:39], v[6:7], v[0:1]
	;; [unrolled: 6-line block ×4, first 2 shown]
	v_fma_f64 v[52:53], -v[6:7], v[2:3], v[52:53]
	v_fmac_f64_e32 v[28:29], v[4:5], v[2:3]
	s_andn2_b64 exec, exec, s[10:11]
	s_cbranch_execnz .LBB173_35
; %bb.36:
	s_or_b64 exec, exec, s[10:11]
.LBB173_37:
	s_or_b64 exec, exec, s[8:9]
.LBB173_38:
	s_or_b64 exec, exec, s[2:3]
.LBB173_39:
	v_mov_b32_dpp v12, v38 row_shr:1 row_mask:0xf bank_mask:0xf
	v_mov_b32_dpp v13, v39 row_shr:1 row_mask:0xf bank_mask:0xf
	;; [unrolled: 1-line block ×8, first 2 shown]
	v_add_f64 v[12:13], v[38:39], v[12:13]
	v_mov_b32_dpp v32, v50 row_shr:1 row_mask:0xf bank_mask:0xf
	v_mov_b32_dpp v33, v51 row_shr:1 row_mask:0xf bank_mask:0xf
	;; [unrolled: 1-line block ×8, first 2 shown]
	v_add_f64 v[0:1], v[54:55], v[0:1]
	v_add_f64 v[4:5], v[40:41], v[4:5]
	v_add_f64 v[8:9], v[56:57], v[8:9]
	v_add_f64 v[32:33], v[50:51], v[32:33]
	v_add_f64 v[30:31], v[30:31], v[36:37]
	v_add_f64 v[38:39], v[52:53], v[38:39]
	v_add_f64 v[28:29], v[28:29], v[42:43]
	v_mov_b32_dpp v2, v0 row_shr:2 row_mask:0xf bank_mask:0xf
	v_mov_b32_dpp v3, v1 row_shr:2 row_mask:0xf bank_mask:0xf
	v_mov_b32_dpp v6, v4 row_shr:2 row_mask:0xf bank_mask:0xf
	v_mov_b32_dpp v7, v5 row_shr:2 row_mask:0xf bank_mask:0xf
	v_mov_b32_dpp v10, v8 row_shr:2 row_mask:0xf bank_mask:0xf
	v_mov_b32_dpp v11, v9 row_shr:2 row_mask:0xf bank_mask:0xf
	v_mov_b32_dpp v14, v12 row_shr:2 row_mask:0xf bank_mask:0xf
	v_mov_b32_dpp v15, v13 row_shr:2 row_mask:0xf bank_mask:0xf
	v_mov_b32_dpp v34, v32 row_shr:2 row_mask:0xf bank_mask:0xf
	v_mov_b32_dpp v35, v33 row_shr:2 row_mask:0xf bank_mask:0xf
	v_mov_b32_dpp v36, v30 row_shr:2 row_mask:0xf bank_mask:0xf
	v_mov_b32_dpp v37, v31 row_shr:2 row_mask:0xf bank_mask:0xf
	v_mov_b32_dpp v40, v38 row_shr:2 row_mask:0xf bank_mask:0xf
	v_mov_b32_dpp v41, v39 row_shr:2 row_mask:0xf bank_mask:0xf
	v_mov_b32_dpp v42, v28 row_shr:2 row_mask:0xf bank_mask:0xf
	v_mov_b32_dpp v43, v29 row_shr:2 row_mask:0xf bank_mask:0xf
	v_add_f64 v[0:1], v[0:1], v[2:3]
	v_add_f64 v[4:5], v[4:5], v[6:7]
	v_add_f64 v[8:9], v[8:9], v[10:11]
	v_add_f64 v[12:13], v[12:13], v[14:15]
	v_add_f64 v[32:33], v[32:33], v[34:35]
	v_add_f64 v[30:31], v[30:31], v[36:37]
	v_add_f64 v[38:39], v[38:39], v[40:41]
	v_add_f64 v[28:29], v[28:29], v[42:43]
	v_mov_b32_dpp v2, v0 row_shr:4 row_mask:0xf bank_mask:0xe
	v_mov_b32_dpp v3, v1 row_shr:4 row_mask:0xf bank_mask:0xe
	v_mov_b32_dpp v6, v4 row_shr:4 row_mask:0xf bank_mask:0xe
	v_mov_b32_dpp v7, v5 row_shr:4 row_mask:0xf bank_mask:0xe
	v_mov_b32_dpp v10, v8 row_shr:4 row_mask:0xf bank_mask:0xe
	v_mov_b32_dpp v11, v9 row_shr:4 row_mask:0xf bank_mask:0xe
	v_mov_b32_dpp v14, v12 row_shr:4 row_mask:0xf bank_mask:0xe
	v_mov_b32_dpp v15, v13 row_shr:4 row_mask:0xf bank_mask:0xe
	v_mov_b32_dpp v34, v32 row_shr:4 row_mask:0xf bank_mask:0xe
	v_mov_b32_dpp v35, v33 row_shr:4 row_mask:0xf bank_mask:0xe
	v_mov_b32_dpp v36, v30 row_shr:4 row_mask:0xf bank_mask:0xe
	v_mov_b32_dpp v37, v31 row_shr:4 row_mask:0xf bank_mask:0xe
	v_mov_b32_dpp v40, v38 row_shr:4 row_mask:0xf bank_mask:0xe
	v_mov_b32_dpp v41, v39 row_shr:4 row_mask:0xf bank_mask:0xe
	v_mov_b32_dpp v42, v28 row_shr:4 row_mask:0xf bank_mask:0xe
	v_mov_b32_dpp v43, v29 row_shr:4 row_mask:0xf bank_mask:0xe
	v_add_f64 v[0:1], v[0:1], v[2:3]
	;; [unrolled: 24-line block ×3, first 2 shown]
	v_add_f64 v[4:5], v[4:5], v[6:7]
	v_add_f64 v[8:9], v[8:9], v[10:11]
	;; [unrolled: 1-line block ×7, first 2 shown]
	v_mov_b32_dpp v2, v0 row_bcast:15 row_mask:0xa bank_mask:0xf
	v_mov_b32_dpp v3, v1 row_bcast:15 row_mask:0xa bank_mask:0xf
	v_mov_b32_dpp v6, v4 row_bcast:15 row_mask:0xa bank_mask:0xf
	v_mov_b32_dpp v7, v5 row_bcast:15 row_mask:0xa bank_mask:0xf
	v_mov_b32_dpp v10, v8 row_bcast:15 row_mask:0xa bank_mask:0xf
	v_mov_b32_dpp v11, v9 row_bcast:15 row_mask:0xa bank_mask:0xf
	v_mov_b32_dpp v14, v12 row_bcast:15 row_mask:0xa bank_mask:0xf
	v_mov_b32_dpp v15, v13 row_bcast:15 row_mask:0xa bank_mask:0xf
	v_mov_b32_dpp v34, v32 row_bcast:15 row_mask:0xa bank_mask:0xf
	v_mov_b32_dpp v35, v33 row_bcast:15 row_mask:0xa bank_mask:0xf
	v_mov_b32_dpp v36, v30 row_bcast:15 row_mask:0xa bank_mask:0xf
	v_mov_b32_dpp v37, v31 row_bcast:15 row_mask:0xa bank_mask:0xf
	v_mov_b32_dpp v40, v38 row_bcast:15 row_mask:0xa bank_mask:0xf
	v_mov_b32_dpp v41, v39 row_bcast:15 row_mask:0xa bank_mask:0xf
	v_mov_b32_dpp v42, v28 row_bcast:15 row_mask:0xa bank_mask:0xf
	v_mov_b32_dpp v43, v29 row_bcast:15 row_mask:0xa bank_mask:0xf
	v_cmp_eq_u32_e32 vcc, 31, v26
	s_and_b64 exec, exec, vcc
	s_cbranch_execz .LBB173_12
; %bb.40:
	s_load_dwordx2 s[2:3], s[6:7], 0x60
	v_add_f64 v[26:27], v[0:1], v[2:3]
	v_add_f64 v[0:1], v[4:5], v[6:7]
	;; [unrolled: 1-line block ×8, first 2 shown]
	v_cmp_eq_f64_e32 vcc, 0, v[16:17]
	v_cmp_eq_f64_e64 s[0:1], 0, v[18:19]
	v_mul_f64 v[12:13], v[0:1], -v[22:23]
	v_mul_f64 v[14:15], v[20:21], v[0:1]
	v_mul_f64 v[8:9], v[2:3], -v[22:23]
	v_mul_f64 v[10:11], v[20:21], v[2:3]
	;; [unrolled: 2-line block ×4, first 2 shown]
	s_and_b64 s[0:1], vcc, s[0:1]
	v_fmac_f64_e32 v[12:13], v[20:21], v[26:27]
	v_fmac_f64_e32 v[14:15], v[22:23], v[26:27]
	v_lshlrev_b32_e32 v24, 2, v24
	v_fmac_f64_e32 v[8:9], v[20:21], v[44:45]
	v_fmac_f64_e32 v[10:11], v[22:23], v[44:45]
	;; [unrolled: 1-line block ×6, first 2 shown]
	s_and_saveexec_b64 s[4:5], s[0:1]
	s_xor_b64 s[0:1], exec, s[4:5]
	s_cbranch_execz .LBB173_42
; %bb.41:
	v_ashrrev_i32_e32 v25, 31, v24
	v_lshlrev_b64 v[16:17], 4, v[24:25]
	s_waitcnt lgkmcnt(0)
	v_mov_b32_e32 v18, s3
	v_add_co_u32_e32 v16, vcc, s2, v16
	v_addc_co_u32_e32 v17, vcc, v18, v17, vcc
	global_store_dwordx4 v[16:17], v[12:15], off
	global_store_dwordx4 v[16:17], v[8:11], off offset:16
	global_store_dwordx4 v[16:17], v[4:7], off offset:32
	;; [unrolled: 1-line block ×3, first 2 shown]
                                        ; implicit-def: $vgpr16_vgpr17
                                        ; implicit-def: $vgpr18_vgpr19
                                        ; implicit-def: $vgpr12_vgpr13
                                        ; implicit-def: $vgpr24
                                        ; implicit-def: $vgpr8_vgpr9
                                        ; implicit-def: $vgpr4_vgpr5
                                        ; implicit-def: $vgpr0_vgpr1
.LBB173_42:
	s_andn2_saveexec_b64 s[0:1], s[0:1]
	s_cbranch_execz .LBB173_12
; %bb.43:
	v_ashrrev_i32_e32 v25, 31, v24
	v_lshlrev_b64 v[20:21], 4, v[24:25]
	s_waitcnt lgkmcnt(0)
	v_mov_b32_e32 v22, s3
	v_add_co_u32_e32 v36, vcc, s2, v20
	v_addc_co_u32_e32 v37, vcc, v22, v21, vcc
	global_load_dwordx4 v[20:23], v[36:37], off
	global_load_dwordx4 v[24:27], v[36:37], off offset:16
	global_load_dwordx4 v[28:31], v[36:37], off offset:32
	;; [unrolled: 1-line block ×3, first 2 shown]
	s_waitcnt vmcnt(3)
	v_fmac_f64_e32 v[12:13], v[16:17], v[20:21]
	v_fmac_f64_e32 v[14:15], v[18:19], v[20:21]
	s_waitcnt vmcnt(2)
	v_fmac_f64_e32 v[8:9], v[16:17], v[24:25]
	v_fmac_f64_e32 v[10:11], v[18:19], v[24:25]
	s_waitcnt vmcnt(1)
	v_fmac_f64_e32 v[4:5], v[16:17], v[28:29]
	v_fmac_f64_e32 v[6:7], v[18:19], v[28:29]
	s_waitcnt vmcnt(0)
	v_fmac_f64_e32 v[0:1], v[16:17], v[32:33]
	v_fmac_f64_e32 v[2:3], v[18:19], v[32:33]
	v_fma_f64 v[12:13], -v[18:19], v[22:23], v[12:13]
	v_fmac_f64_e32 v[14:15], v[16:17], v[22:23]
	v_fma_f64 v[8:9], -v[18:19], v[26:27], v[8:9]
	v_fmac_f64_e32 v[10:11], v[16:17], v[26:27]
	;; [unrolled: 2-line block ×4, first 2 shown]
	global_store_dwordx4 v[36:37], v[12:15], off
	global_store_dwordx4 v[36:37], v[8:11], off offset:16
	global_store_dwordx4 v[36:37], v[4:7], off offset:32
	global_store_dwordx4 v[36:37], v[0:3], off offset:48
	s_endpgm
	.section	.rodata,"a",@progbits
	.p2align	6, 0x0
	.amdhsa_kernel _ZN9rocsparseL18bsrxmvn_4x4_kernelILj128ELj32E21rocsparse_complex_numIdEliS1_IfES2_S2_EEvT3_20rocsparse_direction_NS_24const_host_device_scalarIT1_EES4_PKS4_PKT2_SD_SA_PKT4_PKT5_S8_PT6_21rocsparse_index_base_b
		.amdhsa_group_segment_fixed_size 2048
		.amdhsa_private_segment_fixed_size 0
		.amdhsa_kernarg_size 112
		.amdhsa_user_sgpr_count 8
		.amdhsa_user_sgpr_private_segment_buffer 1
		.amdhsa_user_sgpr_dispatch_ptr 1
		.amdhsa_user_sgpr_queue_ptr 0
		.amdhsa_user_sgpr_kernarg_segment_ptr 1
		.amdhsa_user_sgpr_dispatch_id 0
		.amdhsa_user_sgpr_flat_scratch_init 0
		.amdhsa_user_sgpr_kernarg_preload_length 0
		.amdhsa_user_sgpr_kernarg_preload_offset 0
		.amdhsa_user_sgpr_private_segment_size 0
		.amdhsa_uses_dynamic_stack 0
		.amdhsa_system_sgpr_private_segment_wavefront_offset 0
		.amdhsa_system_sgpr_workgroup_id_x 1
		.amdhsa_system_sgpr_workgroup_id_y 0
		.amdhsa_system_sgpr_workgroup_id_z 0
		.amdhsa_system_sgpr_workgroup_info 0
		.amdhsa_system_vgpr_workitem_id 2
		.amdhsa_next_free_vgpr 128
		.amdhsa_next_free_sgpr 23
		.amdhsa_accum_offset 128
		.amdhsa_reserve_vcc 1
		.amdhsa_reserve_flat_scratch 0
		.amdhsa_float_round_mode_32 0
		.amdhsa_float_round_mode_16_64 0
		.amdhsa_float_denorm_mode_32 3
		.amdhsa_float_denorm_mode_16_64 3
		.amdhsa_dx10_clamp 1
		.amdhsa_ieee_mode 1
		.amdhsa_fp16_overflow 0
		.amdhsa_tg_split 0
		.amdhsa_exception_fp_ieee_invalid_op 0
		.amdhsa_exception_fp_denorm_src 0
		.amdhsa_exception_fp_ieee_div_zero 0
		.amdhsa_exception_fp_ieee_overflow 0
		.amdhsa_exception_fp_ieee_underflow 0
		.amdhsa_exception_fp_ieee_inexact 0
		.amdhsa_exception_int_div_zero 0
	.end_amdhsa_kernel
	.section	.text._ZN9rocsparseL18bsrxmvn_4x4_kernelILj128ELj32E21rocsparse_complex_numIdEliS1_IfES2_S2_EEvT3_20rocsparse_direction_NS_24const_host_device_scalarIT1_EES4_PKS4_PKT2_SD_SA_PKT4_PKT5_S8_PT6_21rocsparse_index_base_b,"axG",@progbits,_ZN9rocsparseL18bsrxmvn_4x4_kernelILj128ELj32E21rocsparse_complex_numIdEliS1_IfES2_S2_EEvT3_20rocsparse_direction_NS_24const_host_device_scalarIT1_EES4_PKS4_PKT2_SD_SA_PKT4_PKT5_S8_PT6_21rocsparse_index_base_b,comdat
.Lfunc_end173:
	.size	_ZN9rocsparseL18bsrxmvn_4x4_kernelILj128ELj32E21rocsparse_complex_numIdEliS1_IfES2_S2_EEvT3_20rocsparse_direction_NS_24const_host_device_scalarIT1_EES4_PKS4_PKT2_SD_SA_PKT4_PKT5_S8_PT6_21rocsparse_index_base_b, .Lfunc_end173-_ZN9rocsparseL18bsrxmvn_4x4_kernelILj128ELj32E21rocsparse_complex_numIdEliS1_IfES2_S2_EEvT3_20rocsparse_direction_NS_24const_host_device_scalarIT1_EES4_PKS4_PKT2_SD_SA_PKT4_PKT5_S8_PT6_21rocsparse_index_base_b
                                        ; -- End function
	.section	.AMDGPU.csdata,"",@progbits
; Kernel info:
; codeLenInByte = 9252
; NumSgprs: 27
; NumVgprs: 128
; NumAgprs: 0
; TotalNumVgprs: 128
; ScratchSize: 0
; MemoryBound: 0
; FloatMode: 240
; IeeeMode: 1
; LDSByteSize: 2048 bytes/workgroup (compile time only)
; SGPRBlocks: 3
; VGPRBlocks: 15
; NumSGPRsForWavesPerEU: 27
; NumVGPRsForWavesPerEU: 128
; AccumOffset: 128
; Occupancy: 4
; WaveLimiterHint : 1
; COMPUTE_PGM_RSRC2:SCRATCH_EN: 0
; COMPUTE_PGM_RSRC2:USER_SGPR: 8
; COMPUTE_PGM_RSRC2:TRAP_HANDLER: 0
; COMPUTE_PGM_RSRC2:TGID_X_EN: 1
; COMPUTE_PGM_RSRC2:TGID_Y_EN: 0
; COMPUTE_PGM_RSRC2:TGID_Z_EN: 0
; COMPUTE_PGM_RSRC2:TIDIG_COMP_CNT: 2
; COMPUTE_PGM_RSRC3_GFX90A:ACCUM_OFFSET: 31
; COMPUTE_PGM_RSRC3_GFX90A:TG_SPLIT: 0
	.section	.text._ZN9rocsparseL18bsrxmvn_4x4_kernelILj128ELj64E21rocsparse_complex_numIdEliS1_IfES2_S2_EEvT3_20rocsparse_direction_NS_24const_host_device_scalarIT1_EES4_PKS4_PKT2_SD_SA_PKT4_PKT5_S8_PT6_21rocsparse_index_base_b,"axG",@progbits,_ZN9rocsparseL18bsrxmvn_4x4_kernelILj128ELj64E21rocsparse_complex_numIdEliS1_IfES2_S2_EEvT3_20rocsparse_direction_NS_24const_host_device_scalarIT1_EES4_PKS4_PKT2_SD_SA_PKT4_PKT5_S8_PT6_21rocsparse_index_base_b,comdat
	.globl	_ZN9rocsparseL18bsrxmvn_4x4_kernelILj128ELj64E21rocsparse_complex_numIdEliS1_IfES2_S2_EEvT3_20rocsparse_direction_NS_24const_host_device_scalarIT1_EES4_PKS4_PKT2_SD_SA_PKT4_PKT5_S8_PT6_21rocsparse_index_base_b ; -- Begin function _ZN9rocsparseL18bsrxmvn_4x4_kernelILj128ELj64E21rocsparse_complex_numIdEliS1_IfES2_S2_EEvT3_20rocsparse_direction_NS_24const_host_device_scalarIT1_EES4_PKS4_PKT2_SD_SA_PKT4_PKT5_S8_PT6_21rocsparse_index_base_b
	.p2align	8
	.type	_ZN9rocsparseL18bsrxmvn_4x4_kernelILj128ELj64E21rocsparse_complex_numIdEliS1_IfES2_S2_EEvT3_20rocsparse_direction_NS_24const_host_device_scalarIT1_EES4_PKS4_PKT2_SD_SA_PKT4_PKT5_S8_PT6_21rocsparse_index_base_b,@function
_ZN9rocsparseL18bsrxmvn_4x4_kernelILj128ELj64E21rocsparse_complex_numIdEliS1_IfES2_S2_EEvT3_20rocsparse_direction_NS_24const_host_device_scalarIT1_EES4_PKS4_PKT2_SD_SA_PKT4_PKT5_S8_PT6_21rocsparse_index_base_b: ; @_ZN9rocsparseL18bsrxmvn_4x4_kernelILj128ELj64E21rocsparse_complex_numIdEliS1_IfES2_S2_EEvT3_20rocsparse_direction_NS_24const_host_device_scalarIT1_EES4_PKS4_PKT2_SD_SA_PKT4_PKT5_S8_PT6_21rocsparse_index_base_b
; %bb.0:
	s_load_dwordx2 s[20:21], s[6:7], 0x68
	s_load_dwordx4 s[12:15], s[6:7], 0x8
	s_load_dwordx2 s[10:11], s[4:5], 0x4
	s_load_dwordx4 s[16:19], s[6:7], 0x50
	s_mov_b64 s[2:3], src_shared_base
	v_bfe_u32 v2, v0, 10, 10
	s_waitcnt lgkmcnt(0)
	s_bitcmp1_b32 s21, 0
	s_cselect_b64 s[0:1], -1, 0
	s_and_b64 vcc, s[0:1], exec
	s_cselect_b32 s2, s3, s13
	s_lshr_b32 s4, s10, 16
	v_and_b32_e32 v1, 0x3ff, v0
	s_mul_i32 s4, s4, s11
	v_mul_u32_u24_e32 v2, s11, v2
	v_mad_u32_u24 v2, s4, v1, v2
	v_bfe_u32 v0, v0, 20, 10
	v_add_lshl_u32 v0, v2, v0, 3
	v_mov_b32_e32 v6, s12
	v_add_u32_e32 v7, 0x400, v0
	v_pk_mov_b32 v[2:3], s[12:13], s[12:13] op_sel:[0,1]
	v_pk_mov_b32 v[4:5], s[16:17], s[16:17] op_sel:[0,1]
	ds_write2st64_b64 v0, v[4:5], v[2:3] offset1:2
	v_cndmask_b32_e64 v2, v6, v7, s[0:1]
	v_mov_b32_e32 v3, s2
	flat_load_dwordx2 v[20:21], v[2:3]
	s_xor_b64 s[4:5], s[0:1], -1
	v_pk_mov_b32 v[22:23], s[14:15], s[14:15] op_sel:[0,1]
	s_cbranch_vccnz .LBB174_2
; %bb.1:
	v_pk_mov_b32 v[2:3], s[12:13], s[12:13] op_sel:[0,1]
	flat_load_dwordx2 v[22:23], v[2:3] offset:8
.LBB174_2:
	s_and_b64 s[10:11], s[0:1], exec
	s_cselect_b32 s2, s3, s17
	v_mov_b32_e32 v2, s16
	v_cndmask_b32_e64 v2, v2, v0, s[0:1]
	v_mov_b32_e32 v3, s2
	flat_load_dwordx2 v[16:17], v[2:3]
	s_andn2_b64 vcc, exec, s[4:5]
	v_pk_mov_b32 v[18:19], s[18:19], s[18:19] op_sel:[0,1]
	s_cbranch_vccnz .LBB174_4
; %bb.3:
	v_pk_mov_b32 v[2:3], s[16:17], s[16:17] op_sel:[0,1]
	flat_load_dwordx2 v[18:19], v[2:3] offset:8
.LBB174_4:
	s_waitcnt vmcnt(0) lgkmcnt(0)
	v_cmp_eq_f64_e32 vcc, 0, v[20:21]
	v_cmp_eq_f64_e64 s[0:1], 0, v[22:23]
	s_and_b64 s[4:5], vcc, s[0:1]
	s_mov_b64 s[0:1], -1
	s_and_saveexec_b64 s[2:3], s[4:5]
; %bb.5:
	v_cmp_neq_f64_e32 vcc, 1.0, v[16:17]
	v_cmp_neq_f64_e64 s[0:1], 0, v[18:19]
	s_or_b64 s[0:1], vcc, s[0:1]
	s_orn2_b64 s[0:1], s[0:1], exec
; %bb.6:
	s_or_b64 exec, exec, s[2:3]
	s_and_saveexec_b64 s[2:3], s[0:1]
	s_cbranch_execz .LBB174_12
; %bb.7:
	s_load_dwordx2 s[4:5], s[6:7], 0x20
	s_load_dwordx2 s[0:1], s[6:7], 0x0
	v_lshrrev_b32_e32 v0, 6, v1
	v_lshl_or_b32 v24, s8, 1, v0
	s_mov_b64 s[2:3], 0
	s_waitcnt lgkmcnt(0)
	s_cmp_lg_u64 s[4:5], 0
	s_cbranch_scc0 .LBB174_13
; %bb.8:
	s_load_dword s8, s[6:7], 0x18
                                        ; implicit-def: $vgpr0
	s_waitcnt lgkmcnt(0)
	v_cmp_gt_i32_e32 vcc, s8, v24
	s_and_saveexec_b64 s[8:9], vcc
	s_xor_b64 s[8:9], exec, s[8:9]
	s_cbranch_execz .LBB174_10
; %bb.9:
	v_ashrrev_i32_e32 v25, 31, v24
	v_lshlrev_b64 v[2:3], 2, v[24:25]
	v_mov_b32_e32 v0, s5
	v_add_co_u32_e32 v2, vcc, s4, v2
	v_addc_co_u32_e32 v3, vcc, v0, v3, vcc
	global_load_dword v0, v[2:3], off
	s_mov_b64 s[2:3], exec
	s_waitcnt vmcnt(0)
	v_subrev_u32_e32 v0, s20, v0
.LBB174_10:
	s_or_b64 exec, exec, s[8:9]
	s_branch .LBB174_14
.LBB174_11:
	v_cmp_gt_i32_e32 vcc, s0, v24
	s_andn2_b64 s[2:3], s[2:3], exec
	s_and_b64 s[4:5], vcc, exec
	s_or_b64 s[2:3], s[2:3], s[4:5]
	s_and_b64 exec, exec, s[2:3]
	s_cbranch_execnz .LBB174_15
.LBB174_12:
	s_endpgm
.LBB174_13:
                                        ; implicit-def: $vgpr0
	s_cbranch_execnz .LBB174_11
.LBB174_14:
	v_mov_b32_e32 v24, v0
	s_and_b64 exec, exec, s[2:3]
	s_cbranch_execz .LBB174_12
.LBB174_15:
	s_load_dwordx8 s[8:15], s[6:7], 0x28
	v_ashrrev_i32_e32 v25, 31, v24
	v_lshlrev_b64 v[2:3], 3, v[24:25]
	v_and_b32_e32 v26, 63, v1
	s_load_dwordx2 s[4:5], s[6:7], 0x48
	s_waitcnt lgkmcnt(0)
	v_mov_b32_e32 v0, s9
	v_add_co_u32_e32 v4, vcc, s8, v2
	v_addc_co_u32_e32 v5, vcc, v0, v3, vcc
	v_add_co_u32_e32 v0, vcc, 8, v4
	global_load_dwordx2 v[42:43], v[4:5], off
	v_addc_co_u32_e32 v4, vcc, 0, v5, vcc
	v_mov_b32_e32 v5, s11
	v_add_co_u32_e32 v2, vcc, s10, v2
	s_cmp_eq_u64 s[10:11], 0
	v_addc_co_u32_e32 v3, vcc, v5, v3, vcc
	s_cselect_b64 vcc, -1, 0
	v_cndmask_b32_e32 v3, v3, v4, vcc
	v_cndmask_b32_e32 v2, v2, v0, vcc
	global_load_dwordx2 v[2:3], v[2:3], off
	v_mov_b32_e32 v4, s15
	s_mov_b32 s18, 0
	s_cmp_eq_u32 s1, 1
	s_waitcnt vmcnt(1)
	v_subrev_co_u32_e32 v0, vcc, s20, v42
	v_subbrev_co_u32_e32 v1, vcc, 0, v43, vcc
	v_add_co_u32_e32 v32, vcc, v0, v26
	v_addc_co_u32_e32 v33, vcc, 0, v1, vcc
	v_lshlrev_b64 v[0:1], 7, v[32:33]
	s_waitcnt vmcnt(0)
	v_subrev_co_u32_e32 v34, vcc, s20, v2
	v_subbrev_co_u32_e32 v35, vcc, 0, v3, vcc
	v_add_co_u32_e32 v36, vcc, s14, v0
	v_addc_co_u32_e32 v37, vcc, v4, v1, vcc
	v_cmp_lt_i64_e64 s[0:1], v[32:33], v[34:35]
	s_cbranch_scc1 .LBB174_27
; %bb.16:
	v_pk_mov_b32 v[40:41], 0, 0
	s_mov_b64 s[8:9], 0
	v_pk_mov_b32 v[54:55], v[40:41], v[40:41] op_sel:[0,1]
	v_pk_mov_b32 v[38:39], v[40:41], v[40:41] op_sel:[0,1]
	;; [unrolled: 1-line block ×7, first 2 shown]
	s_and_saveexec_b64 s[10:11], s[0:1]
	s_cbranch_execz .LBB174_26
; %bb.17:
	v_or_b32_e32 v0, 64, v26
	v_mov_b32_e32 v1, s18
	v_subrev_co_u32_e32 v0, vcc, s20, v0
	v_subb_co_u32_e32 v1, vcc, 0, v1, vcc
	v_add_co_u32_e32 v0, vcc, v0, v42
	v_addc_co_u32_e32 v1, vcc, v1, v43, vcc
	v_cmp_gt_i64_e32 vcc, v[0:1], v[34:35]
	v_cndmask_b32_e32 v1, v35, v1, vcc
	v_cndmask_b32_e32 v0, v34, v0, vcc
	v_mov_b32_e32 v4, s18
	v_sub_co_u32_e32 v5, vcc, s20, v26
	v_not_b32_e32 v3, v42
	v_subbrev_co_u32_e32 v4, vcc, 0, v4, vcc
	v_not_b32_e32 v2, v43
	v_add_co_u32_e32 v3, vcc, v5, v3
	v_addc_co_u32_e32 v2, vcc, v4, v2, vcc
	v_add_co_u32_e32 v8, vcc, v3, v0
	v_lshrrev_b32_e32 v0, 6, v8
	v_add_u32_e32 v0, 1, v0
	v_addc_co_u32_e32 v9, vcc, v2, v1, vcc
	v_and_b32_e32 v0, 3, v0
	v_pk_mov_b32 v[52:53], 0, 0
	v_cmp_ne_u32_e32 vcc, 0, v0
	s_mov_b64 s[16:17], 0
	v_pk_mov_b32 v[28:29], v[52:53], v[52:53] op_sel:[0,1]
	v_pk_mov_b32 v[50:51], v[52:53], v[52:53] op_sel:[0,1]
	;; [unrolled: 1-line block ×9, first 2 shown]
	s_and_saveexec_b64 s[14:15], vcc
	s_cbranch_execz .LBB174_21
; %bb.18:
	v_lshlrev_b64 v[2:3], 2, v[32:33]
	v_mov_b32_e32 v1, s13
	v_add_co_u32_e32 v12, vcc, s12, v2
	v_pk_mov_b32 v[40:41], 0, 0
	v_mov_b32_e32 v11, 0
	v_addc_co_u32_e32 v13, vcc, v1, v3, vcc
	v_lshlrev_b32_e32 v10, 2, v0
	s_movk_i32 s19, 0x2000
	v_mov_b32_e32 v14, s5
	v_pk_mov_b32 v[46:47], v[32:33], v[32:33] op_sel:[0,1]
	v_pk_mov_b32 v[44:45], v[36:37], v[36:37] op_sel:[0,1]
	;; [unrolled: 1-line block ×9, first 2 shown]
.LBB174_19:                             ; =>This Inner Loop Header: Depth=1
	global_load_dword v15, v[12:13], off
	global_load_dwordx4 v[4:7], v[44:45], off
	global_load_dwordx4 v[0:3], v[44:45], off offset:32
	global_load_dwordx4 v[58:61], v[44:45], off offset:64
	;; [unrolled: 1-line block ×7, first 2 shown]
	v_add_co_u32_e32 v44, vcc, s19, v44
	v_addc_co_u32_e32 v45, vcc, 0, v45, vcc
	v_add_co_u32_e32 v12, vcc, 0x100, v12
	v_addc_co_u32_e32 v13, vcc, 0, v13, vcc
	v_add_co_u32_e64 v46, s[2:3], 64, v46
	v_addc_co_u32_e64 v47, s[2:3], 0, v47, s[2:3]
	v_add_co_u32_e64 v10, s[2:3], -4, v10
	v_addc_co_u32_e64 v11, s[2:3], -1, v11, s[2:3]
	v_cmp_eq_u64_e64 s[2:3], 0, v[10:11]
	s_or_b64 s[16:17], s[2:3], s[16:17]
	s_waitcnt vmcnt(8)
	v_subrev_u32_e32 v15, s20, v15
	s_waitcnt vmcnt(7)
	v_cvt_f64_f32_e32 v[48:49], v4
	v_lshlrev_b32_e32 v4, 2, v15
	v_cvt_f64_f32_e32 v[90:91], v5
	v_ashrrev_i32_e32 v5, 31, v4
	v_lshlrev_b64 v[4:5], 4, v[4:5]
	v_add_co_u32_e32 v112, vcc, s4, v4
	v_addc_co_u32_e32 v113, vcc, v14, v5, vcc
	v_cvt_f64_f32_e32 v[92:93], v6
	v_cvt_f64_f32_e32 v[94:95], v7
	s_waitcnt vmcnt(3)
	v_cvt_f64_f32_e32 v[102:103], v66
	v_cvt_f64_f32_e32 v[104:105], v67
	;; [unrolled: 1-line block ×4, first 2 shown]
	global_load_dwordx4 v[4:7], v[112:113], off
	global_load_dwordx4 v[66:69], v[112:113], off offset:16
	global_load_dwordx4 v[82:85], v[112:113], off offset:32
	;; [unrolled: 1-line block ×3, first 2 shown]
	v_cvt_f64_f32_e32 v[96:97], v0
	v_cvt_f64_f32_e32 v[0:1], v1
	;; [unrolled: 1-line block ×12, first 2 shown]
	s_waitcnt vmcnt(6)
	v_cvt_f64_f32_e32 v[112:113], v70
	v_cvt_f64_f32_e32 v[70:71], v71
	s_waitcnt vmcnt(5)
	v_cvt_f64_f32_e32 v[120:121], v74
	v_cvt_f64_f32_e32 v[74:75], v75
	;; [unrolled: 3-line block ×3, first 2 shown]
	v_cvt_f64_f32_e32 v[114:115], v72
	v_cvt_f64_f32_e32 v[72:73], v73
	;; [unrolled: 1-line block ×6, first 2 shown]
	s_waitcnt vmcnt(3)
	v_fmac_f64_e32 v[54:55], v[48:49], v[4:5]
	v_fmac_f64_e32 v[40:41], v[90:91], v[4:5]
	v_fmac_f64_e32 v[56:57], v[96:97], v[4:5]
	v_fmac_f64_e32 v[38:39], v[0:1], v[4:5]
	v_fmac_f64_e32 v[50:51], v[98:99], v[4:5]
	v_fmac_f64_e32 v[30:31], v[58:59], v[4:5]
	v_fmac_f64_e32 v[52:53], v[100:101], v[4:5]
	v_fmac_f64_e32 v[28:29], v[62:63], v[4:5]
	v_fma_f64 v[4:5], -v[90:91], v[6:7], v[54:55]
	v_fmac_f64_e32 v[40:41], v[48:49], v[6:7]
	v_fma_f64 v[0:1], -v[0:1], v[6:7], v[56:57]
	v_fmac_f64_e32 v[38:39], v[96:97], v[6:7]
	v_fma_f64 v[48:49], -v[58:59], v[6:7], v[50:51]
	v_fmac_f64_e32 v[30:31], v[98:99], v[6:7]
	v_fma_f64 v[50:51], -v[62:63], v[6:7], v[52:53]
	v_fmac_f64_e32 v[28:29], v[100:101], v[6:7]
	s_waitcnt vmcnt(2)
	v_fmac_f64_e32 v[4:5], v[92:93], v[66:67]
	v_fmac_f64_e32 v[40:41], v[94:95], v[66:67]
	v_fmac_f64_e32 v[0:1], v[110:111], v[66:67]
	v_fmac_f64_e32 v[38:39], v[2:3], v[66:67]
	v_fmac_f64_e32 v[48:49], v[116:117], v[66:67]
	v_fmac_f64_e32 v[30:31], v[60:61], v[66:67]
	v_fmac_f64_e32 v[50:51], v[118:119], v[66:67]
	v_fmac_f64_e32 v[28:29], v[64:65], v[66:67]
	v_fma_f64 v[4:5], -v[94:95], v[68:69], v[4:5]
	v_fmac_f64_e32 v[40:41], v[92:93], v[68:69]
	v_fma_f64 v[0:1], -v[2:3], v[68:69], v[0:1]
	v_fmac_f64_e32 v[38:39], v[110:111], v[68:69]
	v_fma_f64 v[2:3], -v[60:61], v[68:69], v[48:49]
	v_fmac_f64_e32 v[30:31], v[116:117], v[68:69]
	v_fma_f64 v[6:7], -v[64:65], v[68:69], v[50:51]
	v_fmac_f64_e32 v[28:29], v[118:119], v[68:69]
	;; [unrolled: 17-line block ×4, first 2 shown]
	s_andn2_b64 exec, exec, s[16:17]
	s_cbranch_execnz .LBB174_19
; %bb.20:
	s_or_b64 exec, exec, s[16:17]
.LBB174_21:
	s_or_b64 exec, exec, s[14:15]
	s_mov_b64 s[2:3], 0xbf
	v_cmp_lt_u64_e32 vcc, s[2:3], v[8:9]
	s_and_saveexec_b64 s[14:15], vcc
	s_cbranch_execz .LBB174_25
; %bb.22:
	v_lshlrev_b64 v[0:1], 2, v[46:47]
	v_mov_b32_e32 v2, s13
	v_add_co_u32_e32 v0, vcc, s12, v0
	v_addc_co_u32_e32 v1, vcc, v1, v2, vcc
	v_add_co_u32_e32 v48, vcc, 0x200, v0
	v_addc_co_u32_e32 v49, vcc, 0, v1, vcc
	s_mov_b64 s[16:17], 0
	v_mov_b32_e32 v25, s5
	s_movk_i32 s19, 0x2000
	s_movk_i32 s21, 0x4000
	s_movk_i32 s22, 0x6000
.LBB174_23:                             ; =>This Inner Loop Header: Depth=1
	global_load_dword v0, v[48:49], off offset:-512
	global_load_dwordx4 v[60:63], v[44:45], off offset:48
	global_load_dwordx4 v[64:67], v[44:45], off offset:32
	;; [unrolled: 1-line block ×3, first 2 shown]
	global_load_dwordx4 v[72:75], v[44:45], off
	s_waitcnt vmcnt(4)
	v_subrev_u32_e32 v0, s20, v0
	v_lshlrev_b32_e32 v0, 2, v0
	v_ashrrev_i32_e32 v1, 31, v0
	v_lshlrev_b64 v[0:1], 4, v[0:1]
	v_add_co_u32_e32 v76, vcc, s4, v0
	v_addc_co_u32_e32 v77, vcc, v25, v1, vcc
	global_load_dwordx4 v[0:3], v[76:77], off offset:48
	global_load_dwordx4 v[4:7], v[76:77], off offset:32
	;; [unrolled: 1-line block ×3, first 2 shown]
	global_load_dwordx4 v[12:15], v[76:77], off
	s_waitcnt vmcnt(4)
	v_cvt_f64_f32_e32 v[58:59], v72
	v_cvt_f64_f32_e32 v[72:73], v73
	s_waitcnt vmcnt(0)
	v_fmac_f64_e32 v[54:55], v[58:59], v[12:13]
	v_fmac_f64_e32 v[40:41], v[72:73], v[12:13]
	v_fma_f64 v[54:55], -v[72:73], v[14:15], v[54:55]
	v_fmac_f64_e32 v[40:41], v[58:59], v[14:15]
	v_cvt_f64_f32_e32 v[58:59], v74
	v_cvt_f64_f32_e32 v[72:73], v75
	v_fmac_f64_e32 v[54:55], v[58:59], v[8:9]
	v_fmac_f64_e32 v[40:41], v[72:73], v[8:9]
	v_fma_f64 v[54:55], -v[72:73], v[10:11], v[54:55]
	v_fmac_f64_e32 v[40:41], v[58:59], v[10:11]
	v_cvt_f64_f32_e32 v[58:59], v68
	v_cvt_f64_f32_e32 v[68:69], v69
	v_fmac_f64_e32 v[54:55], v[58:59], v[4:5]
	v_fma_f64 v[54:55], -v[68:69], v[6:7], v[54:55]
	v_fmac_f64_e32 v[40:41], v[68:69], v[4:5]
	v_cvt_f64_f32_e32 v[68:69], v70
	v_cvt_f64_f32_e32 v[70:71], v71
	v_fmac_f64_e32 v[54:55], v[68:69], v[0:1]
	v_fmac_f64_e32 v[40:41], v[58:59], v[6:7]
	v_fma_f64 v[58:59], -v[70:71], v[2:3], v[54:55]
	v_cvt_f64_f32_e32 v[54:55], v64
	v_cvt_f64_f32_e32 v[64:65], v65
	v_fmac_f64_e32 v[56:57], v[54:55], v[12:13]
	v_fmac_f64_e32 v[38:39], v[64:65], v[12:13]
	v_fma_f64 v[56:57], -v[64:65], v[14:15], v[56:57]
	v_fmac_f64_e32 v[38:39], v[54:55], v[14:15]
	v_cvt_f64_f32_e32 v[54:55], v66
	v_cvt_f64_f32_e32 v[64:65], v67
	v_fmac_f64_e32 v[56:57], v[54:55], v[8:9]
	v_fmac_f64_e32 v[38:39], v[64:65], v[8:9]
	v_fma_f64 v[56:57], -v[64:65], v[10:11], v[56:57]
	v_fmac_f64_e32 v[38:39], v[54:55], v[10:11]
	;; [unrolled: 6-line block ×3, first 2 shown]
	v_cvt_f64_f32_e32 v[60:61], v62
	v_cvt_f64_f32_e32 v[62:63], v63
	v_fmac_f64_e32 v[40:41], v[70:71], v[0:1]
	v_fmac_f64_e32 v[56:57], v[60:61], v[0:1]
	;; [unrolled: 1-line block ×4, first 2 shown]
	v_fma_f64 v[54:55], -v[62:63], v[2:3], v[56:57]
	v_fmac_f64_e32 v[38:39], v[60:61], v[2:3]
	global_load_dwordx4 v[60:63], v[44:45], off offset:112
	global_load_dwordx4 v[64:67], v[44:45], off offset:96
	;; [unrolled: 1-line block ×4, first 2 shown]
	s_waitcnt vmcnt(0)
	v_cvt_f64_f32_e32 v[56:57], v72
	v_cvt_f64_f32_e32 v[72:73], v73
	v_fmac_f64_e32 v[50:51], v[56:57], v[12:13]
	v_fmac_f64_e32 v[30:31], v[72:73], v[12:13]
	v_fma_f64 v[50:51], -v[72:73], v[14:15], v[50:51]
	v_fmac_f64_e32 v[30:31], v[56:57], v[14:15]
	v_cvt_f64_f32_e32 v[56:57], v74
	v_cvt_f64_f32_e32 v[72:73], v75
	v_fmac_f64_e32 v[50:51], v[56:57], v[8:9]
	v_fmac_f64_e32 v[30:31], v[72:73], v[8:9]
	v_fma_f64 v[50:51], -v[72:73], v[10:11], v[50:51]
	v_fmac_f64_e32 v[30:31], v[56:57], v[10:11]
	;; [unrolled: 6-line block ×3, first 2 shown]
	v_cvt_f64_f32_e32 v[68:69], v71
	v_cvt_f64_f32_e32 v[56:57], v70
	v_fmac_f64_e32 v[30:31], v[68:69], v[0:1]
	v_fmac_f64_e32 v[50:51], v[56:57], v[0:1]
	;; [unrolled: 1-line block ×3, first 2 shown]
	v_cvt_f64_f32_e32 v[56:57], v64
	v_cvt_f64_f32_e32 v[64:65], v65
	v_fmac_f64_e32 v[52:53], v[56:57], v[12:13]
	v_fmac_f64_e32 v[28:29], v[64:65], v[12:13]
	v_fma_f64 v[52:53], -v[64:65], v[14:15], v[52:53]
	v_fmac_f64_e32 v[28:29], v[56:57], v[14:15]
	v_cvt_f64_f32_e32 v[12:13], v66
	v_cvt_f64_f32_e32 v[14:15], v67
	v_fmac_f64_e32 v[52:53], v[12:13], v[8:9]
	v_fmac_f64_e32 v[28:29], v[14:15], v[8:9]
	v_fma_f64 v[52:53], -v[14:15], v[10:11], v[52:53]
	v_fmac_f64_e32 v[28:29], v[12:13], v[10:11]
	;; [unrolled: 6-line block ×3, first 2 shown]
	v_cvt_f64_f32_e32 v[6:7], v62
	v_cvt_f64_f32_e32 v[8:9], v63
	v_fmac_f64_e32 v[12:13], v[6:7], v[0:1]
	v_fmac_f64_e32 v[28:29], v[8:9], v[0:1]
	global_load_dword v0, v[48:49], off offset:-256
	v_fmac_f64_e32 v[28:29], v[6:7], v[2:3]
	v_fma_f64 v[4:5], -v[8:9], v[2:3], v[12:13]
	v_add_co_u32_e32 v8, vcc, s19, v44
	v_addc_co_u32_e32 v9, vcc, 0, v45, vcc
	v_fma_f64 v[50:51], -v[68:69], v[2:3], v[50:51]
	s_waitcnt vmcnt(0)
	v_subrev_u32_e32 v0, s20, v0
	v_lshlrev_b32_e32 v6, 2, v0
	v_ashrrev_i32_e32 v7, 31, v6
	v_lshlrev_b64 v[6:7], 4, v[6:7]
	v_add_co_u32_e32 v6, vcc, s4, v6
	v_addc_co_u32_e32 v7, vcc, v25, v7, vcc
	global_load_dwordx4 v[10:13], v[8:9], off
	global_load_dwordx4 v[0:3], v[8:9], off offset:48
	global_load_dwordx4 v[60:63], v[8:9], off offset:32
	;; [unrolled: 1-line block ×6, first 2 shown]
	global_load_dwordx4 v[80:83], v[6:7], off
	s_waitcnt vmcnt(7)
	v_cvt_f64_f32_e32 v[14:15], v10
	v_cvt_f64_f32_e32 v[10:11], v11
	s_waitcnt vmcnt(0)
	v_fmac_f64_e32 v[58:59], v[14:15], v[80:81]
	v_fmac_f64_e32 v[40:41], v[10:11], v[80:81]
	v_fma_f64 v[6:7], -v[10:11], v[82:83], v[58:59]
	v_fmac_f64_e32 v[40:41], v[14:15], v[82:83]
	v_cvt_f64_f32_e32 v[10:11], v12
	v_cvt_f64_f32_e32 v[12:13], v13
	v_fmac_f64_e32 v[6:7], v[10:11], v[76:77]
	v_fmac_f64_e32 v[40:41], v[12:13], v[76:77]
	v_fma_f64 v[6:7], -v[12:13], v[78:79], v[6:7]
	v_fmac_f64_e32 v[40:41], v[10:11], v[78:79]
	v_cvt_f64_f32_e32 v[10:11], v64
	v_cvt_f64_f32_e32 v[12:13], v65
	;; [unrolled: 6-line block ×7, first 2 shown]
	v_fmac_f64_e32 v[12:13], v[0:1], v[68:69]
	v_fmac_f64_e32 v[38:39], v[2:3], v[68:69]
	v_fma_f64 v[84:85], -v[2:3], v[70:71], v[12:13]
	v_fmac_f64_e32 v[38:39], v[0:1], v[70:71]
	global_load_dwordx4 v[0:3], v[8:9], off offset:112
	global_load_dwordx4 v[10:13], v[8:9], off offset:96
	;; [unrolled: 1-line block ×4, first 2 shown]
	s_waitcnt vmcnt(0)
	v_cvt_f64_f32_e32 v[8:9], v56
	v_cvt_f64_f32_e32 v[14:15], v57
	v_fmac_f64_e32 v[50:51], v[8:9], v[80:81]
	v_fmac_f64_e32 v[30:31], v[14:15], v[80:81]
	v_fma_f64 v[50:51], -v[14:15], v[82:83], v[50:51]
	v_fmac_f64_e32 v[30:31], v[8:9], v[82:83]
	v_cvt_f64_f32_e32 v[8:9], v58
	v_cvt_f64_f32_e32 v[14:15], v59
	v_fmac_f64_e32 v[50:51], v[8:9], v[76:77]
	v_fmac_f64_e32 v[30:31], v[14:15], v[76:77]
	v_fma_f64 v[50:51], -v[14:15], v[78:79], v[50:51]
	v_fmac_f64_e32 v[30:31], v[8:9], v[78:79]
	;; [unrolled: 6-line block ×3, first 2 shown]
	v_cvt_f64_f32_e32 v[14:15], v55
	v_cvt_f64_f32_e32 v[8:9], v54
	v_fmac_f64_e32 v[30:31], v[14:15], v[68:69]
	v_fmac_f64_e32 v[50:51], v[8:9], v[68:69]
	;; [unrolled: 1-line block ×3, first 2 shown]
	v_cvt_f64_f32_e32 v[8:9], v10
	v_cvt_f64_f32_e32 v[10:11], v11
	v_fmac_f64_e32 v[4:5], v[8:9], v[80:81]
	v_fmac_f64_e32 v[28:29], v[10:11], v[80:81]
	v_fma_f64 v[4:5], -v[10:11], v[82:83], v[4:5]
	v_fmac_f64_e32 v[28:29], v[8:9], v[82:83]
	v_cvt_f64_f32_e32 v[8:9], v12
	v_cvt_f64_f32_e32 v[10:11], v13
	v_fmac_f64_e32 v[4:5], v[8:9], v[76:77]
	v_fmac_f64_e32 v[28:29], v[10:11], v[76:77]
	v_fma_f64 v[4:5], -v[10:11], v[78:79], v[4:5]
	v_fmac_f64_e32 v[28:29], v[8:9], v[78:79]
	v_cvt_f64_f32_e32 v[8:9], v0
	v_cvt_f64_f32_e32 v[0:1], v1
	v_fmac_f64_e32 v[4:5], v[8:9], v[72:73]
	v_fmac_f64_e32 v[28:29], v[0:1], v[72:73]
	v_fma_f64 v[4:5], -v[0:1], v[74:75], v[4:5]
	v_fmac_f64_e32 v[28:29], v[8:9], v[74:75]
	v_cvt_f64_f32_e32 v[0:1], v2
	v_cvt_f64_f32_e32 v[2:3], v3
	v_fmac_f64_e32 v[28:29], v[2:3], v[68:69]
	v_fmac_f64_e32 v[4:5], v[0:1], v[68:69]
	;; [unrolled: 1-line block ×3, first 2 shown]
	global_load_dword v0, v[48:49], off
	v_fma_f64 v[74:75], -v[2:3], v[70:71], v[4:5]
	v_add_co_u32_e32 v76, vcc, s21, v44
	v_addc_co_u32_e32 v77, vcc, 0, v45, vcc
	v_fma_f64 v[86:87], -v[14:15], v[70:71], v[50:51]
	s_waitcnt vmcnt(0)
	v_subrev_u32_e32 v0, s20, v0
	v_lshlrev_b32_e32 v4, 2, v0
	v_ashrrev_i32_e32 v5, 31, v4
	v_lshlrev_b64 v[4:5], 4, v[4:5]
	v_add_co_u32_e32 v4, vcc, s4, v4
	v_addc_co_u32_e32 v5, vcc, v25, v5, vcc
	global_load_dwordx4 v[0:3], v[76:77], off
	global_load_dwordx4 v[8:11], v[76:77], off offset:48
	global_load_dwordx4 v[12:15], v[76:77], off offset:32
	;; [unrolled: 1-line block ×6, first 2 shown]
	global_load_dwordx4 v[70:73], v[4:5], off
	s_waitcnt vmcnt(7)
	v_cvt_f64_f32_e32 v[54:55], v0
	v_cvt_f64_f32_e32 v[0:1], v1
	s_waitcnt vmcnt(0)
	v_fmac_f64_e32 v[6:7], v[54:55], v[70:71]
	v_fmac_f64_e32 v[40:41], v[0:1], v[70:71]
	v_fma_f64 v[4:5], -v[0:1], v[72:73], v[6:7]
	v_fmac_f64_e32 v[40:41], v[54:55], v[72:73]
	v_cvt_f64_f32_e32 v[0:1], v2
	v_cvt_f64_f32_e32 v[2:3], v3
	v_fmac_f64_e32 v[4:5], v[0:1], v[66:67]
	v_fmac_f64_e32 v[40:41], v[2:3], v[66:67]
	v_fma_f64 v[4:5], -v[2:3], v[68:69], v[4:5]
	v_fmac_f64_e32 v[40:41], v[0:1], v[68:69]
	v_cvt_f64_f32_e32 v[0:1], v50
	v_cvt_f64_f32_e32 v[2:3], v51
	;; [unrolled: 6-line block ×7, first 2 shown]
	v_fmac_f64_e32 v[4:5], v[0:1], v[58:59]
	v_fmac_f64_e32 v[38:39], v[2:3], v[58:59]
	v_fma_f64 v[56:57], -v[2:3], v[60:61], v[4:5]
	v_fmac_f64_e32 v[38:39], v[0:1], v[60:61]
	global_load_dwordx4 v[0:3], v[76:77], off offset:112
	global_load_dwordx4 v[4:7], v[76:77], off offset:96
	global_load_dwordx4 v[8:11], v[76:77], off offset:80
	global_load_dwordx4 v[12:15], v[76:77], off offset:64
	s_waitcnt vmcnt(0)
	v_cvt_f64_f32_e32 v[50:51], v12
	v_cvt_f64_f32_e32 v[12:13], v13
	v_fmac_f64_e32 v[86:87], v[50:51], v[70:71]
	v_fmac_f64_e32 v[30:31], v[12:13], v[70:71]
	v_fma_f64 v[52:53], -v[12:13], v[72:73], v[86:87]
	v_fmac_f64_e32 v[30:31], v[50:51], v[72:73]
	v_cvt_f64_f32_e32 v[12:13], v14
	v_cvt_f64_f32_e32 v[14:15], v15
	v_fmac_f64_e32 v[52:53], v[12:13], v[66:67]
	v_fmac_f64_e32 v[30:31], v[14:15], v[66:67]
	v_fma_f64 v[50:51], -v[14:15], v[68:69], v[52:53]
	v_fmac_f64_e32 v[30:31], v[12:13], v[68:69]
	v_cvt_f64_f32_e32 v[12:13], v8
	v_cvt_f64_f32_e32 v[8:9], v9
	v_fmac_f64_e32 v[50:51], v[12:13], v[62:63]
	v_fmac_f64_e32 v[30:31], v[8:9], v[62:63]
	v_fma_f64 v[14:15], -v[8:9], v[64:65], v[50:51]
	v_fmac_f64_e32 v[30:31], v[12:13], v[64:65]
	v_cvt_f64_f32_e32 v[8:9], v10
	v_cvt_f64_f32_e32 v[10:11], v11
	v_fmac_f64_e32 v[30:31], v[10:11], v[58:59]
	v_fmac_f64_e32 v[14:15], v[8:9], v[58:59]
	;; [unrolled: 1-line block ×3, first 2 shown]
	v_cvt_f64_f32_e32 v[8:9], v4
	v_cvt_f64_f32_e32 v[4:5], v5
	v_fmac_f64_e32 v[74:75], v[8:9], v[70:71]
	v_fmac_f64_e32 v[28:29], v[4:5], v[70:71]
	v_fma_f64 v[50:51], -v[10:11], v[60:61], v[14:15]
	v_fma_f64 v[10:11], -v[4:5], v[72:73], v[74:75]
	v_fmac_f64_e32 v[28:29], v[8:9], v[72:73]
	v_cvt_f64_f32_e32 v[4:5], v6
	v_cvt_f64_f32_e32 v[6:7], v7
	v_fmac_f64_e32 v[10:11], v[4:5], v[66:67]
	v_fmac_f64_e32 v[28:29], v[6:7], v[66:67]
	v_fma_f64 v[8:9], -v[6:7], v[68:69], v[10:11]
	v_fmac_f64_e32 v[28:29], v[4:5], v[68:69]
	v_cvt_f64_f32_e32 v[4:5], v0
	v_cvt_f64_f32_e32 v[0:1], v1
	v_fmac_f64_e32 v[8:9], v[4:5], v[62:63]
	v_fmac_f64_e32 v[28:29], v[0:1], v[62:63]
	;; [unrolled: 6-line block ×3, first 2 shown]
	v_fmac_f64_e32 v[28:29], v[0:1], v[60:61]
	global_load_dword v0, v[48:49], off offset:256
	v_add_co_u32_e32 v58, vcc, s22, v44
	v_addc_co_u32_e32 v59, vcc, 0, v45, vcc
	v_fma_f64 v[52:53], -v[2:3], v[60:61], v[6:7]
	global_load_dwordx4 v[60:63], v[58:59], off
	global_load_dwordx4 v[64:67], v[58:59], off offset:48
	global_load_dwordx4 v[68:71], v[58:59], off offset:32
	global_load_dwordx4 v[72:75], v[58:59], off offset:16
	s_waitcnt vmcnt(4)
	v_subrev_u32_e32 v0, s20, v0
	v_lshlrev_b32_e32 v0, 2, v0
	v_ashrrev_i32_e32 v1, 31, v0
	v_lshlrev_b64 v[0:1], 4, v[0:1]
	v_add_co_u32_e32 v78, vcc, s4, v0
	v_addc_co_u32_e32 v79, vcc, v25, v1, vcc
	global_load_dwordx4 v[0:3], v[78:79], off offset:48
	global_load_dwordx4 v[4:7], v[78:79], off offset:32
	;; [unrolled: 1-line block ×3, first 2 shown]
	global_load_dwordx4 v[12:15], v[78:79], off
	s_waitcnt vmcnt(7)
	v_cvt_f64_f32_e32 v[76:77], v60
	v_cvt_f64_f32_e32 v[60:61], v61
	v_add_co_u32_e32 v46, vcc, 0x100, v46
	v_addc_co_u32_e32 v47, vcc, 0, v47, vcc
	v_add_co_u32_e32 v48, vcc, 0x400, v48
	v_addc_co_u32_e32 v49, vcc, 0, v49, vcc
	v_cmp_ge_i64_e64 s[2:3], v[46:47], v[34:35]
	v_add_co_u32_e32 v44, vcc, 0x8000, v44
	v_addc_co_u32_e32 v45, vcc, 0, v45, vcc
	s_or_b64 s[16:17], s[2:3], s[16:17]
	s_waitcnt vmcnt(0)
	v_fmac_f64_e32 v[54:55], v[76:77], v[12:13]
	v_fmac_f64_e32 v[40:41], v[60:61], v[12:13]
	v_fma_f64 v[54:55], -v[60:61], v[14:15], v[54:55]
	v_fmac_f64_e32 v[40:41], v[76:77], v[14:15]
	v_cvt_f64_f32_e32 v[60:61], v62
	v_cvt_f64_f32_e32 v[62:63], v63
	v_fmac_f64_e32 v[54:55], v[60:61], v[8:9]
	v_fmac_f64_e32 v[40:41], v[62:63], v[8:9]
	v_fma_f64 v[54:55], -v[62:63], v[10:11], v[54:55]
	v_fmac_f64_e32 v[40:41], v[60:61], v[10:11]
	v_cvt_f64_f32_e32 v[60:61], v72
	v_cvt_f64_f32_e32 v[62:63], v73
	v_fmac_f64_e32 v[54:55], v[60:61], v[4:5]
	v_fmac_f64_e32 v[40:41], v[62:63], v[4:5]
	v_fma_f64 v[54:55], -v[62:63], v[6:7], v[54:55]
	v_fmac_f64_e32 v[40:41], v[60:61], v[6:7]
	v_cvt_f64_f32_e32 v[60:61], v74
	v_cvt_f64_f32_e32 v[62:63], v75
	v_fmac_f64_e32 v[54:55], v[60:61], v[0:1]
	v_fmac_f64_e32 v[40:41], v[62:63], v[0:1]
	v_fma_f64 v[54:55], -v[62:63], v[2:3], v[54:55]
	v_fmac_f64_e32 v[40:41], v[60:61], v[2:3]
	v_cvt_f64_f32_e32 v[60:61], v68
	v_cvt_f64_f32_e32 v[62:63], v69
	v_fmac_f64_e32 v[56:57], v[60:61], v[12:13]
	v_fmac_f64_e32 v[38:39], v[62:63], v[12:13]
	v_fma_f64 v[56:57], -v[62:63], v[14:15], v[56:57]
	v_fmac_f64_e32 v[38:39], v[60:61], v[14:15]
	v_cvt_f64_f32_e32 v[60:61], v70
	v_cvt_f64_f32_e32 v[62:63], v71
	v_fmac_f64_e32 v[56:57], v[60:61], v[8:9]
	v_fmac_f64_e32 v[38:39], v[62:63], v[8:9]
	v_fma_f64 v[56:57], -v[62:63], v[10:11], v[56:57]
	v_fmac_f64_e32 v[38:39], v[60:61], v[10:11]
	v_cvt_f64_f32_e32 v[60:61], v64
	v_cvt_f64_f32_e32 v[62:63], v65
	v_fmac_f64_e32 v[56:57], v[60:61], v[4:5]
	v_fmac_f64_e32 v[38:39], v[62:63], v[4:5]
	v_fma_f64 v[56:57], -v[62:63], v[6:7], v[56:57]
	v_fmac_f64_e32 v[38:39], v[60:61], v[6:7]
	v_cvt_f64_f32_e32 v[60:61], v66
	v_cvt_f64_f32_e32 v[62:63], v67
	v_fmac_f64_e32 v[56:57], v[60:61], v[0:1]
	v_fmac_f64_e32 v[38:39], v[62:63], v[0:1]
	v_fma_f64 v[56:57], -v[62:63], v[2:3], v[56:57]
	v_fmac_f64_e32 v[38:39], v[60:61], v[2:3]
	global_load_dwordx4 v[60:63], v[58:59], off offset:112
	global_load_dwordx4 v[64:67], v[58:59], off offset:96
	global_load_dwordx4 v[68:71], v[58:59], off offset:80
	global_load_dwordx4 v[72:75], v[58:59], off offset:64
	s_waitcnt vmcnt(0)
	v_cvt_f64_f32_e32 v[58:59], v72
	v_cvt_f64_f32_e32 v[72:73], v73
	v_fmac_f64_e32 v[50:51], v[58:59], v[12:13]
	v_fmac_f64_e32 v[30:31], v[72:73], v[12:13]
	v_fma_f64 v[50:51], -v[72:73], v[14:15], v[50:51]
	v_fmac_f64_e32 v[30:31], v[58:59], v[14:15]
	v_cvt_f64_f32_e32 v[58:59], v74
	v_cvt_f64_f32_e32 v[72:73], v75
	v_fmac_f64_e32 v[50:51], v[58:59], v[8:9]
	v_fmac_f64_e32 v[30:31], v[72:73], v[8:9]
	v_fma_f64 v[50:51], -v[72:73], v[10:11], v[50:51]
	v_fmac_f64_e32 v[30:31], v[58:59], v[10:11]
	;; [unrolled: 6-line block ×3, first 2 shown]
	v_cvt_f64_f32_e32 v[68:69], v71
	v_cvt_f64_f32_e32 v[58:59], v70
	v_fmac_f64_e32 v[30:31], v[68:69], v[0:1]
	v_fmac_f64_e32 v[50:51], v[58:59], v[0:1]
	;; [unrolled: 1-line block ×3, first 2 shown]
	v_cvt_f64_f32_e32 v[58:59], v64
	v_cvt_f64_f32_e32 v[64:65], v65
	v_fmac_f64_e32 v[52:53], v[58:59], v[12:13]
	v_fmac_f64_e32 v[28:29], v[64:65], v[12:13]
	v_fma_f64 v[52:53], -v[64:65], v[14:15], v[52:53]
	v_fmac_f64_e32 v[28:29], v[58:59], v[14:15]
	v_cvt_f64_f32_e32 v[12:13], v66
	v_cvt_f64_f32_e32 v[14:15], v67
	v_fmac_f64_e32 v[52:53], v[12:13], v[8:9]
	v_fmac_f64_e32 v[28:29], v[14:15], v[8:9]
	v_fma_f64 v[52:53], -v[14:15], v[10:11], v[52:53]
	v_fmac_f64_e32 v[28:29], v[12:13], v[10:11]
	;; [unrolled: 6-line block ×3, first 2 shown]
	v_cvt_f64_f32_e32 v[4:5], v62
	v_cvt_f64_f32_e32 v[6:7], v63
	v_fmac_f64_e32 v[12:13], v[4:5], v[0:1]
	v_fmac_f64_e32 v[28:29], v[6:7], v[0:1]
	v_fma_f64 v[50:51], -v[68:69], v[2:3], v[50:51]
	v_fma_f64 v[52:53], -v[6:7], v[2:3], v[12:13]
	v_fmac_f64_e32 v[28:29], v[4:5], v[2:3]
	s_andn2_b64 exec, exec, s[16:17]
	s_cbranch_execnz .LBB174_23
; %bb.24:
	s_or_b64 exec, exec, s[16:17]
.LBB174_25:
	s_or_b64 exec, exec, s[14:15]
.LBB174_26:
	s_or_b64 exec, exec, s[10:11]
	s_andn2_b64 vcc, exec, s[8:9]
	s_cbranch_vccz .LBB174_28
	s_branch .LBB174_39
.LBB174_27:
                                        ; implicit-def: $vgpr40_vgpr41
                                        ; implicit-def: $vgpr54_vgpr55
                                        ; implicit-def: $vgpr38_vgpr39
                                        ; implicit-def: $vgpr56_vgpr57
                                        ; implicit-def: $vgpr30_vgpr31
                                        ; implicit-def: $vgpr50_vgpr51
                                        ; implicit-def: $vgpr28_vgpr29
                                        ; implicit-def: $vgpr52_vgpr53
.LBB174_28:
	v_pk_mov_b32 v[40:41], 0, 0
	v_pk_mov_b32 v[54:55], v[40:41], v[40:41] op_sel:[0,1]
	v_pk_mov_b32 v[38:39], v[40:41], v[40:41] op_sel:[0,1]
	;; [unrolled: 1-line block ×7, first 2 shown]
	s_and_saveexec_b64 s[2:3], s[0:1]
	s_cbranch_execz .LBB174_38
; %bb.29:
	v_or_b32_e32 v0, 64, v26
	v_mov_b32_e32 v1, s18
	v_subrev_co_u32_e32 v0, vcc, s20, v0
	v_subb_co_u32_e32 v1, vcc, 0, v1, vcc
	v_add_co_u32_e32 v0, vcc, v0, v42
	v_addc_co_u32_e32 v1, vcc, v1, v43, vcc
	v_cmp_gt_i64_e32 vcc, v[0:1], v[34:35]
	v_cndmask_b32_e32 v1, v35, v1, vcc
	v_cndmask_b32_e32 v0, v34, v0, vcc
	v_mov_b32_e32 v4, s18
	v_sub_co_u32_e32 v5, vcc, s20, v26
	v_not_b32_e32 v3, v42
	v_subbrev_co_u32_e32 v4, vcc, 0, v4, vcc
	v_not_b32_e32 v2, v43
	v_add_co_u32_e32 v3, vcc, v5, v3
	v_addc_co_u32_e32 v2, vcc, v4, v2, vcc
	v_add_co_u32_e32 v42, vcc, v3, v0
	v_lshrrev_b32_e32 v0, 6, v42
	v_add_u32_e32 v0, 1, v0
	v_addc_co_u32_e32 v43, vcc, v2, v1, vcc
	v_and_b32_e32 v0, 3, v0
	v_pk_mov_b32 v[52:53], 0, 0
	v_cmp_ne_u32_e32 vcc, 0, v0
	s_mov_b64 s[10:11], 0
	v_pk_mov_b32 v[28:29], v[52:53], v[52:53] op_sel:[0,1]
	v_pk_mov_b32 v[50:51], v[52:53], v[52:53] op_sel:[0,1]
	;; [unrolled: 1-line block ×7, first 2 shown]
	s_and_saveexec_b64 s[8:9], vcc
	s_cbranch_execz .LBB174_33
; %bb.30:
	v_lshlrev_b64 v[2:3], 2, v[32:33]
	v_mov_b32_e32 v1, s13
	v_add_co_u32_e32 v46, vcc, s12, v2
	v_pk_mov_b32 v[40:41], 0, 0
	v_mov_b32_e32 v45, 0
	v_addc_co_u32_e32 v47, vcc, v1, v3, vcc
	v_lshlrev_b32_e32 v44, 2, v0
	s_movk_i32 s14, 0x2000
	v_mov_b32_e32 v25, s5
	v_pk_mov_b32 v[54:55], v[40:41], v[40:41] op_sel:[0,1]
	v_pk_mov_b32 v[38:39], v[40:41], v[40:41] op_sel:[0,1]
	;; [unrolled: 1-line block ×7, first 2 shown]
.LBB174_31:                             ; =>This Inner Loop Header: Depth=1
	global_load_dword v27, v[46:47], off
	global_load_dwordx4 v[12:15], v[36:37], off
	global_load_dwordx4 v[8:11], v[36:37], off offset:16
	global_load_dwordx4 v[4:7], v[36:37], off offset:32
	;; [unrolled: 1-line block ×7, first 2 shown]
	v_add_co_u32_e32 v36, vcc, s14, v36
	v_addc_co_u32_e32 v37, vcc, 0, v37, vcc
	v_add_co_u32_e32 v46, vcc, 0x100, v46
	v_addc_co_u32_e32 v47, vcc, 0, v47, vcc
	v_add_co_u32_e64 v32, s[0:1], 64, v32
	v_addc_co_u32_e64 v33, s[0:1], 0, v33, s[0:1]
	v_add_co_u32_e64 v44, s[0:1], -4, v44
	v_addc_co_u32_e64 v45, s[0:1], -1, v45, s[0:1]
	v_cmp_eq_u64_e64 s[0:1], 0, v[44:45]
	s_or_b64 s[10:11], s[0:1], s[10:11]
	s_waitcnt vmcnt(8)
	v_subrev_u32_e32 v27, s20, v27
	s_waitcnt vmcnt(7)
	v_cvt_f64_f32_e32 v[48:49], v12
	v_cvt_f64_f32_e32 v[78:79], v13
	s_waitcnt vmcnt(5)
	v_cvt_f64_f32_e32 v[92:93], v4
	v_lshlrev_b32_e32 v4, 2, v27
	v_cvt_f64_f32_e32 v[94:95], v5
	v_ashrrev_i32_e32 v5, 31, v4
	v_lshlrev_b64 v[4:5], 4, v[4:5]
	v_add_co_u32_e32 v104, vcc, s4, v4
	v_addc_co_u32_e32 v105, vcc, v25, v5, vcc
	v_cvt_f64_f32_e32 v[80:81], v14
	v_cvt_f64_f32_e32 v[82:83], v15
	;; [unrolled: 1-line block ×8, first 2 shown]
	global_load_dwordx4 v[4:7], v[104:105], off
	global_load_dwordx4 v[8:11], v[104:105], off offset:16
	global_load_dwordx4 v[12:15], v[104:105], off offset:32
	;; [unrolled: 1-line block ×3, first 2 shown]
	s_waitcnt vmcnt(8)
	v_cvt_f64_f32_e32 v[100:101], v0
	v_cvt_f64_f32_e32 v[0:1], v1
	v_cvt_f64_f32_e32 v[102:103], v2
	v_cvt_f64_f32_e32 v[2:3], v3
	s_waitcnt vmcnt(7)
	v_cvt_f64_f32_e32 v[104:105], v58
	v_cvt_f64_f32_e32 v[58:59], v59
	v_cvt_f64_f32_e32 v[106:107], v60
	v_cvt_f64_f32_e32 v[60:61], v61
	;; [unrolled: 5-line block ×5, first 2 shown]
	s_waitcnt vmcnt(3)
	v_fmac_f64_e32 v[54:55], v[48:49], v[4:5]
	v_fmac_f64_e32 v[40:41], v[78:79], v[4:5]
	v_fmac_f64_e32 v[56:57], v[80:81], v[4:5]
	v_fmac_f64_e32 v[38:39], v[82:83], v[4:5]
	v_fmac_f64_e32 v[50:51], v[84:85], v[4:5]
	v_fmac_f64_e32 v[30:31], v[86:87], v[4:5]
	v_fmac_f64_e32 v[52:53], v[88:89], v[4:5]
	v_fmac_f64_e32 v[28:29], v[90:91], v[4:5]
	v_fma_f64 v[4:5], -v[78:79], v[6:7], v[54:55]
	v_fmac_f64_e32 v[40:41], v[48:49], v[6:7]
	v_fma_f64 v[48:49], -v[82:83], v[6:7], v[56:57]
	v_fmac_f64_e32 v[38:39], v[80:81], v[6:7]
	v_fma_f64 v[50:51], -v[86:87], v[6:7], v[50:51]
	v_fmac_f64_e32 v[30:31], v[84:85], v[6:7]
	v_fma_f64 v[52:53], -v[90:91], v[6:7], v[52:53]
	v_fmac_f64_e32 v[28:29], v[88:89], v[6:7]
	s_waitcnt vmcnt(2)
	v_fmac_f64_e32 v[4:5], v[92:93], v[8:9]
	v_fmac_f64_e32 v[40:41], v[94:95], v[8:9]
	v_fmac_f64_e32 v[48:49], v[96:97], v[8:9]
	v_fmac_f64_e32 v[38:39], v[98:99], v[8:9]
	v_fmac_f64_e32 v[50:51], v[100:101], v[8:9]
	v_fmac_f64_e32 v[30:31], v[0:1], v[8:9]
	v_fmac_f64_e32 v[52:53], v[102:103], v[8:9]
	v_fmac_f64_e32 v[28:29], v[2:3], v[8:9]
	v_fma_f64 v[4:5], -v[94:95], v[10:11], v[4:5]
	v_fmac_f64_e32 v[40:41], v[92:93], v[10:11]
	v_fma_f64 v[6:7], -v[98:99], v[10:11], v[48:49]
	v_fmac_f64_e32 v[38:39], v[96:97], v[10:11]
	v_fma_f64 v[0:1], -v[0:1], v[10:11], v[50:51]
	v_fmac_f64_e32 v[30:31], v[100:101], v[10:11]
	v_fma_f64 v[2:3], -v[2:3], v[10:11], v[52:53]
	v_fmac_f64_e32 v[28:29], v[102:103], v[10:11]
	;; [unrolled: 17-line block ×4, first 2 shown]
	s_andn2_b64 exec, exec, s[10:11]
	s_cbranch_execnz .LBB174_31
; %bb.32:
	s_or_b64 exec, exec, s[10:11]
.LBB174_33:
	s_or_b64 exec, exec, s[8:9]
	s_mov_b64 s[0:1], 0xbf
	v_cmp_lt_u64_e32 vcc, s[0:1], v[42:43]
	s_and_saveexec_b64 s[8:9], vcc
	s_cbranch_execz .LBB174_37
; %bb.34:
	v_lshlrev_b64 v[0:1], 2, v[32:33]
	v_mov_b32_e32 v2, s13
	v_add_co_u32_e32 v0, vcc, s12, v0
	v_addc_co_u32_e32 v1, vcc, v1, v2, vcc
	v_add_co_u32_e32 v8, vcc, 0x200, v0
	v_addc_co_u32_e32 v9, vcc, 0, v1, vcc
	s_mov_b64 s[10:11], 0
	v_mov_b32_e32 v25, s5
	s_movk_i32 s5, 0x2000
	s_movk_i32 s12, 0x4000
	;; [unrolled: 1-line block ×3, first 2 shown]
.LBB174_35:                             ; =>This Inner Loop Header: Depth=1
	global_load_dword v0, v[8:9], off offset:-512
	global_load_dwordx4 v[10:13], v[36:37], off offset:48
	global_load_dwordx4 v[42:45], v[36:37], off offset:32
	;; [unrolled: 1-line block ×3, first 2 shown]
	global_load_dwordx4 v[58:61], v[36:37], off
	s_waitcnt vmcnt(4)
	v_subrev_u32_e32 v0, s20, v0
	v_lshlrev_b32_e32 v0, 2, v0
	v_ashrrev_i32_e32 v1, 31, v0
	v_lshlrev_b64 v[0:1], 4, v[0:1]
	v_add_co_u32_e32 v70, vcc, s4, v0
	v_addc_co_u32_e32 v71, vcc, v25, v1, vcc
	global_load_dwordx4 v[0:3], v[70:71], off offset:48
	global_load_dwordx4 v[4:7], v[70:71], off offset:32
	;; [unrolled: 1-line block ×3, first 2 shown]
	global_load_dwordx4 v[66:69], v[70:71], off
	s_waitcnt vmcnt(4)
	v_cvt_f64_f32_e32 v[14:15], v58
	v_cvt_f64_f32_e32 v[58:59], v59
	s_waitcnt vmcnt(0)
	v_fmac_f64_e32 v[54:55], v[14:15], v[66:67]
	v_fma_f64 v[54:55], -v[58:59], v[68:69], v[54:55]
	v_fmac_f64_e32 v[40:41], v[58:59], v[66:67]
	v_cvt_f64_f32_e32 v[58:59], v61
	v_fmac_f64_e32 v[40:41], v[14:15], v[68:69]
	v_cvt_f64_f32_e32 v[14:15], v60
	v_fmac_f64_e32 v[38:39], v[58:59], v[66:67]
	v_fmac_f64_e32 v[56:57], v[14:15], v[66:67]
	;; [unrolled: 1-line block ×3, first 2 shown]
	v_cvt_f64_f32_e32 v[14:15], v46
	v_cvt_f64_f32_e32 v[46:47], v47
	v_fmac_f64_e32 v[50:51], v[14:15], v[66:67]
	v_fma_f64 v[50:51], -v[46:47], v[68:69], v[50:51]
	v_fmac_f64_e32 v[30:31], v[46:47], v[66:67]
	v_cvt_f64_f32_e32 v[46:47], v49
	v_fmac_f64_e32 v[30:31], v[14:15], v[68:69]
	v_cvt_f64_f32_e32 v[14:15], v48
	v_fmac_f64_e32 v[28:29], v[46:47], v[66:67]
	v_fmac_f64_e32 v[52:53], v[14:15], v[66:67]
	;; [unrolled: 1-line block ×3, first 2 shown]
	v_cvt_f64_f32_e32 v[14:15], v42
	v_cvt_f64_f32_e32 v[42:43], v43
	v_fmac_f64_e32 v[54:55], v[14:15], v[62:63]
	v_fma_f64 v[54:55], -v[42:43], v[64:65], v[54:55]
	v_fmac_f64_e32 v[40:41], v[42:43], v[62:63]
	v_cvt_f64_f32_e32 v[42:43], v45
	v_fma_f64 v[56:57], -v[58:59], v[68:69], v[56:57]
	v_fmac_f64_e32 v[40:41], v[14:15], v[64:65]
	v_cvt_f64_f32_e32 v[14:15], v44
	v_fmac_f64_e32 v[38:39], v[42:43], v[62:63]
	v_fmac_f64_e32 v[56:57], v[14:15], v[62:63]
	;; [unrolled: 1-line block ×3, first 2 shown]
	v_cvt_f64_f32_e32 v[14:15], v10
	v_cvt_f64_f32_e32 v[10:11], v11
	v_fmac_f64_e32 v[50:51], v[14:15], v[62:63]
	v_fma_f64 v[48:49], -v[46:47], v[68:69], v[52:53]
	v_fma_f64 v[58:59], -v[10:11], v[64:65], v[50:51]
	v_fmac_f64_e32 v[30:31], v[10:11], v[62:63]
	v_cvt_f64_f32_e32 v[10:11], v12
	v_cvt_f64_f32_e32 v[12:13], v13
	v_fmac_f64_e32 v[48:49], v[10:11], v[62:63]
	v_fma_f64 v[56:57], -v[42:43], v[64:65], v[56:57]
	v_fmac_f64_e32 v[30:31], v[14:15], v[64:65]
	v_fma_f64 v[60:61], -v[12:13], v[64:65], v[48:49]
	v_fmac_f64_e32 v[28:29], v[12:13], v[62:63]
	global_load_dwordx4 v[12:15], v[36:37], off offset:112
	global_load_dwordx4 v[42:45], v[36:37], off offset:96
	;; [unrolled: 1-line block ×4, first 2 shown]
	v_fmac_f64_e32 v[28:29], v[10:11], v[64:65]
	s_waitcnt vmcnt(0)
	v_cvt_f64_f32_e32 v[10:11], v50
	v_cvt_f64_f32_e32 v[50:51], v51
	v_fmac_f64_e32 v[54:55], v[10:11], v[4:5]
	v_fma_f64 v[54:55], -v[50:51], v[6:7], v[54:55]
	v_fmac_f64_e32 v[40:41], v[50:51], v[4:5]
	v_cvt_f64_f32_e32 v[50:51], v53
	v_fmac_f64_e32 v[40:41], v[10:11], v[6:7]
	v_cvt_f64_f32_e32 v[10:11], v52
	v_fmac_f64_e32 v[38:39], v[50:51], v[4:5]
	v_fmac_f64_e32 v[56:57], v[10:11], v[4:5]
	;; [unrolled: 1-line block ×3, first 2 shown]
	v_cvt_f64_f32_e32 v[10:11], v46
	v_cvt_f64_f32_e32 v[46:47], v47
	v_fmac_f64_e32 v[58:59], v[10:11], v[4:5]
	v_fmac_f64_e32 v[30:31], v[46:47], v[4:5]
	v_fma_f64 v[52:53], -v[50:51], v[6:7], v[56:57]
	v_fma_f64 v[50:51], -v[46:47], v[6:7], v[58:59]
	v_fmac_f64_e32 v[30:31], v[10:11], v[6:7]
	v_cvt_f64_f32_e32 v[10:11], v48
	v_cvt_f64_f32_e32 v[46:47], v49
	v_fmac_f64_e32 v[60:61], v[10:11], v[4:5]
	v_fmac_f64_e32 v[28:29], v[46:47], v[4:5]
	v_cvt_f64_f32_e32 v[4:5], v42
	v_fma_f64 v[48:49], -v[46:47], v[6:7], v[60:61]
	v_fmac_f64_e32 v[28:29], v[10:11], v[6:7]
	v_cvt_f64_f32_e32 v[6:7], v43
	v_fmac_f64_e32 v[54:55], v[4:5], v[0:1]
	v_fma_f64 v[70:71], -v[6:7], v[2:3], v[54:55]
	v_fmac_f64_e32 v[40:41], v[6:7], v[0:1]
	v_cvt_f64_f32_e32 v[6:7], v45
	v_fmac_f64_e32 v[40:41], v[4:5], v[2:3]
	v_cvt_f64_f32_e32 v[4:5], v44
	v_fmac_f64_e32 v[38:39], v[6:7], v[0:1]
	v_fmac_f64_e32 v[52:53], v[4:5], v[0:1]
	;; [unrolled: 1-line block ×3, first 2 shown]
	v_cvt_f64_f32_e32 v[4:5], v12
	v_cvt_f64_f32_e32 v[12:13], v13
	v_fmac_f64_e32 v[50:51], v[4:5], v[0:1]
	v_fma_f64 v[10:11], -v[6:7], v[2:3], v[52:53]
	v_fma_f64 v[6:7], -v[12:13], v[2:3], v[50:51]
	v_fmac_f64_e32 v[30:31], v[12:13], v[0:1]
	v_cvt_f64_f32_e32 v[12:13], v14
	v_cvt_f64_f32_e32 v[14:15], v15
	v_fmac_f64_e32 v[48:49], v[12:13], v[0:1]
	v_fmac_f64_e32 v[28:29], v[14:15], v[0:1]
	global_load_dword v0, v[8:9], off offset:-256
	v_fmac_f64_e32 v[30:31], v[4:5], v[2:3]
	v_fma_f64 v[4:5], -v[14:15], v[2:3], v[48:49]
	v_fmac_f64_e32 v[28:29], v[12:13], v[2:3]
	v_add_co_u32_e32 v12, vcc, s5, v36
	v_addc_co_u32_e32 v13, vcc, 0, v37, vcc
	s_waitcnt vmcnt(0)
	v_subrev_u32_e32 v0, s20, v0
	v_lshlrev_b32_e32 v14, 2, v0
	v_ashrrev_i32_e32 v15, 31, v14
	v_lshlrev_b64 v[14:15], 4, v[14:15]
	v_add_co_u32_e32 v14, vcc, s4, v14
	v_addc_co_u32_e32 v15, vcc, v25, v15, vcc
	global_load_dwordx4 v[42:45], v[12:13], off
	global_load_dwordx4 v[0:3], v[12:13], off offset:48
	global_load_dwordx4 v[46:49], v[12:13], off offset:32
	;; [unrolled: 1-line block ×6, first 2 shown]
	global_load_dwordx4 v[66:69], v[14:15], off
	s_waitcnt vmcnt(7)
	v_cvt_f64_f32_e32 v[72:73], v42
	v_cvt_f64_f32_e32 v[42:43], v43
	s_waitcnt vmcnt(0)
	v_fmac_f64_e32 v[70:71], v[72:73], v[66:67]
	v_fma_f64 v[14:15], -v[42:43], v[68:69], v[70:71]
	v_fmac_f64_e32 v[40:41], v[42:43], v[66:67]
	v_cvt_f64_f32_e32 v[42:43], v44
	v_cvt_f64_f32_e32 v[44:45], v45
	v_fmac_f64_e32 v[38:39], v[44:45], v[66:67]
	v_fmac_f64_e32 v[10:11], v[42:43], v[66:67]
	;; [unrolled: 1-line block ×3, first 2 shown]
	v_cvt_f64_f32_e32 v[42:43], v50
	v_fma_f64 v[10:11], -v[44:45], v[68:69], v[10:11]
	v_cvt_f64_f32_e32 v[44:45], v51
	v_fmac_f64_e32 v[6:7], v[42:43], v[66:67]
	v_fma_f64 v[6:7], -v[44:45], v[68:69], v[6:7]
	v_fmac_f64_e32 v[30:31], v[44:45], v[66:67]
	v_cvt_f64_f32_e32 v[44:45], v53
	v_fmac_f64_e32 v[30:31], v[42:43], v[68:69]
	v_cvt_f64_f32_e32 v[42:43], v52
	v_fmac_f64_e32 v[28:29], v[44:45], v[66:67]
	v_fmac_f64_e32 v[4:5], v[42:43], v[66:67]
	;; [unrolled: 1-line block ×3, first 2 shown]
	v_cvt_f64_f32_e32 v[42:43], v46
	v_fmac_f64_e32 v[40:41], v[72:73], v[68:69]
	v_fma_f64 v[4:5], -v[44:45], v[68:69], v[4:5]
	v_cvt_f64_f32_e32 v[44:45], v47
	v_fmac_f64_e32 v[14:15], v[42:43], v[62:63]
	v_fma_f64 v[14:15], -v[44:45], v[64:65], v[14:15]
	v_fmac_f64_e32 v[40:41], v[44:45], v[62:63]
	v_cvt_f64_f32_e32 v[44:45], v49
	v_fmac_f64_e32 v[40:41], v[42:43], v[64:65]
	v_cvt_f64_f32_e32 v[42:43], v48
	v_fmac_f64_e32 v[38:39], v[44:45], v[62:63]
	v_fmac_f64_e32 v[10:11], v[42:43], v[62:63]
	;; [unrolled: 1-line block ×3, first 2 shown]
	v_cvt_f64_f32_e32 v[42:43], v0
	v_cvt_f64_f32_e32 v[0:1], v1
	v_fmac_f64_e32 v[6:7], v[42:43], v[62:63]
	v_fma_f64 v[50:51], -v[0:1], v[64:65], v[6:7]
	v_fmac_f64_e32 v[30:31], v[0:1], v[62:63]
	v_cvt_f64_f32_e32 v[0:1], v2
	v_cvt_f64_f32_e32 v[2:3], v3
	v_fmac_f64_e32 v[4:5], v[0:1], v[62:63]
	v_fmac_f64_e32 v[28:29], v[2:3], v[62:63]
	v_fma_f64 v[10:11], -v[44:45], v[64:65], v[10:11]
	v_fmac_f64_e32 v[30:31], v[42:43], v[64:65]
	v_fma_f64 v[52:53], -v[2:3], v[64:65], v[4:5]
	v_fmac_f64_e32 v[28:29], v[0:1], v[64:65]
	global_load_dwordx4 v[0:3], v[12:13], off offset:112
	global_load_dwordx4 v[4:7], v[12:13], off offset:96
	;; [unrolled: 1-line block ×4, first 2 shown]
	v_add_co_u32_e32 v68, vcc, s12, v36
	v_addc_co_u32_e32 v69, vcc, 0, v37, vcc
	s_waitcnt vmcnt(0)
	v_cvt_f64_f32_e32 v[12:13], v46
	v_cvt_f64_f32_e32 v[46:47], v47
	v_fmac_f64_e32 v[14:15], v[12:13], v[58:59]
	v_fma_f64 v[14:15], -v[46:47], v[60:61], v[14:15]
	v_fmac_f64_e32 v[40:41], v[46:47], v[58:59]
	v_cvt_f64_f32_e32 v[46:47], v49
	v_fmac_f64_e32 v[40:41], v[12:13], v[60:61]
	v_cvt_f64_f32_e32 v[12:13], v48
	v_fmac_f64_e32 v[38:39], v[46:47], v[58:59]
	v_fmac_f64_e32 v[10:11], v[12:13], v[58:59]
	;; [unrolled: 1-line block ×3, first 2 shown]
	v_cvt_f64_f32_e32 v[12:13], v42
	v_cvt_f64_f32_e32 v[42:43], v43
	v_fmac_f64_e32 v[50:51], v[12:13], v[58:59]
	v_fma_f64 v[10:11], -v[46:47], v[60:61], v[10:11]
	v_fma_f64 v[46:47], -v[42:43], v[60:61], v[50:51]
	v_fmac_f64_e32 v[30:31], v[42:43], v[58:59]
	v_cvt_f64_f32_e32 v[42:43], v45
	v_fmac_f64_e32 v[30:31], v[12:13], v[60:61]
	v_cvt_f64_f32_e32 v[12:13], v44
	v_fmac_f64_e32 v[28:29], v[42:43], v[58:59]
	v_fmac_f64_e32 v[52:53], v[12:13], v[58:59]
	;; [unrolled: 1-line block ×3, first 2 shown]
	v_cvt_f64_f32_e32 v[12:13], v4
	v_cvt_f64_f32_e32 v[4:5], v5
	v_fmac_f64_e32 v[14:15], v[12:13], v[54:55]
	v_fma_f64 v[14:15], -v[4:5], v[56:57], v[14:15]
	v_fmac_f64_e32 v[40:41], v[4:5], v[54:55]
	v_cvt_f64_f32_e32 v[4:5], v6
	v_cvt_f64_f32_e32 v[6:7], v7
	v_fmac_f64_e32 v[38:39], v[6:7], v[54:55]
	v_fmac_f64_e32 v[10:11], v[4:5], v[54:55]
	;; [unrolled: 1-line block ×3, first 2 shown]
	v_cvt_f64_f32_e32 v[4:5], v0
	v_cvt_f64_f32_e32 v[0:1], v1
	v_fmac_f64_e32 v[46:47], v[4:5], v[54:55]
	v_fma_f64 v[64:65], -v[0:1], v[56:57], v[46:47]
	v_fmac_f64_e32 v[30:31], v[0:1], v[54:55]
	v_cvt_f64_f32_e32 v[0:1], v2
	v_cvt_f64_f32_e32 v[2:3], v3
	v_fma_f64 v[44:45], -v[42:43], v[60:61], v[52:53]
	v_fmac_f64_e32 v[28:29], v[2:3], v[54:55]
	v_fmac_f64_e32 v[44:45], v[0:1], v[54:55]
	;; [unrolled: 1-line block ×3, first 2 shown]
	global_load_dword v0, v[8:9], off
	v_fmac_f64_e32 v[40:41], v[12:13], v[56:57]
	v_fma_f64 v[62:63], -v[6:7], v[56:57], v[10:11]
	v_fmac_f64_e32 v[30:31], v[4:5], v[56:57]
	v_fma_f64 v[66:67], -v[2:3], v[56:57], v[44:45]
	s_waitcnt vmcnt(0)
	v_subrev_u32_e32 v0, s20, v0
	v_lshlrev_b32_e32 v46, 2, v0
	v_ashrrev_i32_e32 v47, 31, v46
	v_lshlrev_b64 v[46:47], 4, v[46:47]
	v_add_co_u32_e32 v72, vcc, s4, v46
	v_addc_co_u32_e32 v73, vcc, v25, v47, vcc
	global_load_dwordx4 v[0:3], v[68:69], off
	global_load_dwordx4 v[4:7], v[68:69], off offset:48
	global_load_dwordx4 v[10:13], v[68:69], off offset:32
	;; [unrolled: 1-line block ×6, first 2 shown]
	global_load_dwordx4 v[58:61], v[72:73], off
	s_waitcnt vmcnt(7)
	v_cvt_f64_f32_e32 v[70:71], v0
	v_cvt_f64_f32_e32 v[0:1], v1
	s_waitcnt vmcnt(0)
	v_fmac_f64_e32 v[14:15], v[70:71], v[58:59]
	v_fma_f64 v[14:15], -v[0:1], v[60:61], v[14:15]
	v_fmac_f64_e32 v[40:41], v[0:1], v[58:59]
	v_cvt_f64_f32_e32 v[0:1], v2
	v_cvt_f64_f32_e32 v[2:3], v3
	v_fmac_f64_e32 v[62:63], v[0:1], v[58:59]
	v_fmac_f64_e32 v[38:39], v[2:3], v[58:59]
	v_fma_f64 v[62:63], -v[2:3], v[60:61], v[62:63]
	v_fmac_f64_e32 v[38:39], v[0:1], v[60:61]
	v_cvt_f64_f32_e32 v[0:1], v42
	v_cvt_f64_f32_e32 v[2:3], v43
	v_fmac_f64_e32 v[64:65], v[0:1], v[58:59]
	v_fmac_f64_e32 v[30:31], v[2:3], v[58:59]
	v_fma_f64 v[42:43], -v[2:3], v[60:61], v[64:65]
	v_fmac_f64_e32 v[30:31], v[0:1], v[60:61]
	v_cvt_f64_f32_e32 v[0:1], v44
	v_cvt_f64_f32_e32 v[2:3], v45
	v_fmac_f64_e32 v[66:67], v[0:1], v[58:59]
	v_fmac_f64_e32 v[28:29], v[2:3], v[58:59]
	v_fmac_f64_e32 v[40:41], v[70:71], v[60:61]
	v_fma_f64 v[44:45], -v[2:3], v[60:61], v[66:67]
	v_fmac_f64_e32 v[28:29], v[0:1], v[60:61]
	v_cvt_f64_f32_e32 v[0:1], v10
	v_cvt_f64_f32_e32 v[2:3], v11
	v_fmac_f64_e32 v[14:15], v[0:1], v[54:55]
	v_fmac_f64_e32 v[40:41], v[2:3], v[54:55]
	v_fma_f64 v[14:15], -v[2:3], v[56:57], v[14:15]
	v_fmac_f64_e32 v[40:41], v[0:1], v[56:57]
	v_cvt_f64_f32_e32 v[0:1], v12
	v_cvt_f64_f32_e32 v[2:3], v13
	;; [unrolled: 6-line block ×4, first 2 shown]
	v_fmac_f64_e32 v[44:45], v[0:1], v[54:55]
	v_fmac_f64_e32 v[28:29], v[2:3], v[54:55]
	v_fma_f64 v[62:63], -v[2:3], v[56:57], v[44:45]
	v_fmac_f64_e32 v[28:29], v[0:1], v[56:57]
	global_load_dwordx4 v[0:3], v[68:69], off offset:112
	global_load_dwordx4 v[4:7], v[68:69], off offset:96
	;; [unrolled: 1-line block ×4, first 2 shown]
	s_waitcnt vmcnt(0)
	v_cvt_f64_f32_e32 v[54:55], v42
	v_cvt_f64_f32_e32 v[42:43], v43
	v_fmac_f64_e32 v[14:15], v[54:55], v[50:51]
	v_fma_f64 v[14:15], -v[42:43], v[52:53], v[14:15]
	v_fmac_f64_e32 v[40:41], v[42:43], v[50:51]
	v_cvt_f64_f32_e32 v[42:43], v44
	v_cvt_f64_f32_e32 v[44:45], v45
	v_fmac_f64_e32 v[38:39], v[44:45], v[50:51]
	v_fmac_f64_e32 v[58:59], v[42:43], v[50:51]
	;; [unrolled: 1-line block ×3, first 2 shown]
	v_cvt_f64_f32_e32 v[42:43], v10
	v_cvt_f64_f32_e32 v[10:11], v11
	v_fmac_f64_e32 v[60:61], v[42:43], v[50:51]
	v_fmac_f64_e32 v[40:41], v[54:55], v[52:53]
	v_fma_f64 v[54:55], -v[44:45], v[52:53], v[58:59]
	v_fma_f64 v[44:45], -v[10:11], v[52:53], v[60:61]
	v_fmac_f64_e32 v[30:31], v[10:11], v[50:51]
	v_cvt_f64_f32_e32 v[10:11], v12
	v_cvt_f64_f32_e32 v[12:13], v13
	v_fmac_f64_e32 v[28:29], v[12:13], v[50:51]
	v_fmac_f64_e32 v[62:63], v[10:11], v[50:51]
	;; [unrolled: 1-line block ×3, first 2 shown]
	v_cvt_f64_f32_e32 v[10:11], v4
	v_cvt_f64_f32_e32 v[4:5], v5
	v_fmac_f64_e32 v[14:15], v[10:11], v[46:47]
	v_fmac_f64_e32 v[30:31], v[42:43], v[52:53]
	v_fma_f64 v[42:43], -v[4:5], v[48:49], v[14:15]
	v_fmac_f64_e32 v[40:41], v[4:5], v[46:47]
	v_cvt_f64_f32_e32 v[4:5], v6
	v_cvt_f64_f32_e32 v[6:7], v7
	v_fmac_f64_e32 v[38:39], v[6:7], v[46:47]
	v_fmac_f64_e32 v[54:55], v[4:5], v[46:47]
	;; [unrolled: 1-line block ×3, first 2 shown]
	v_cvt_f64_f32_e32 v[4:5], v0
	v_cvt_f64_f32_e32 v[0:1], v1
	v_fmac_f64_e32 v[44:45], v[4:5], v[46:47]
	v_fma_f64 v[56:57], -v[12:13], v[52:53], v[62:63]
	v_fma_f64 v[12:13], -v[0:1], v[48:49], v[44:45]
	v_fmac_f64_e32 v[30:31], v[0:1], v[46:47]
	v_cvt_f64_f32_e32 v[0:1], v2
	v_cvt_f64_f32_e32 v[2:3], v3
	v_fmac_f64_e32 v[28:29], v[2:3], v[46:47]
	v_fmac_f64_e32 v[56:57], v[0:1], v[46:47]
	;; [unrolled: 1-line block ×3, first 2 shown]
	global_load_dword v0, v[8:9], off offset:256
	v_add_co_u32_e32 v44, vcc, s13, v36
	v_addc_co_u32_e32 v45, vcc, 0, v37, vcc
	v_fmac_f64_e32 v[40:41], v[10:11], v[48:49]
	v_fma_f64 v[14:15], -v[6:7], v[48:49], v[54:55]
	v_fmac_f64_e32 v[30:31], v[4:5], v[48:49]
	v_fma_f64 v[10:11], -v[2:3], v[48:49], v[56:57]
	global_load_dwordx4 v[46:49], v[44:45], off
	global_load_dwordx4 v[50:53], v[44:45], off offset:48
	global_load_dwordx4 v[54:57], v[44:45], off offset:32
	;; [unrolled: 1-line block ×3, first 2 shown]
	s_waitcnt vmcnt(4)
	v_subrev_u32_e32 v0, s20, v0
	v_lshlrev_b32_e32 v0, 2, v0
	v_ashrrev_i32_e32 v1, 31, v0
	v_lshlrev_b64 v[0:1], 4, v[0:1]
	v_add_co_u32_e32 v72, vcc, s4, v0
	v_addc_co_u32_e32 v73, vcc, v25, v1, vcc
	global_load_dwordx4 v[0:3], v[72:73], off offset:48
	global_load_dwordx4 v[4:7], v[72:73], off offset:32
	;; [unrolled: 1-line block ×3, first 2 shown]
	global_load_dwordx4 v[66:69], v[72:73], off
	s_waitcnt vmcnt(7)
	v_cvt_f64_f32_e32 v[70:71], v46
	v_cvt_f64_f32_e32 v[46:47], v47
	v_add_co_u32_e32 v32, vcc, 0x100, v32
	v_addc_co_u32_e32 v33, vcc, 0, v33, vcc
	v_add_co_u32_e32 v8, vcc, 0x400, v8
	v_addc_co_u32_e32 v9, vcc, 0, v9, vcc
	v_cmp_ge_i64_e64 s[0:1], v[32:33], v[34:35]
	v_add_co_u32_e32 v36, vcc, 0x8000, v36
	v_addc_co_u32_e32 v37, vcc, 0, v37, vcc
	s_or_b64 s[10:11], s[0:1], s[10:11]
	s_waitcnt vmcnt(0)
	v_fmac_f64_e32 v[42:43], v[70:71], v[66:67]
	v_fma_f64 v[42:43], -v[46:47], v[68:69], v[42:43]
	v_fmac_f64_e32 v[40:41], v[46:47], v[66:67]
	v_cvt_f64_f32_e32 v[46:47], v48
	v_cvt_f64_f32_e32 v[48:49], v49
	v_fmac_f64_e32 v[14:15], v[46:47], v[66:67]
	v_fmac_f64_e32 v[38:39], v[48:49], v[66:67]
	v_fma_f64 v[14:15], -v[48:49], v[68:69], v[14:15]
	v_fmac_f64_e32 v[38:39], v[46:47], v[68:69]
	v_cvt_f64_f32_e32 v[46:47], v58
	v_cvt_f64_f32_e32 v[48:49], v59
	v_fmac_f64_e32 v[12:13], v[46:47], v[66:67]
	;; [unrolled: 6-line block ×3, first 2 shown]
	v_fmac_f64_e32 v[28:29], v[48:49], v[66:67]
	v_fmac_f64_e32 v[40:41], v[70:71], v[68:69]
	v_fma_f64 v[10:11], -v[48:49], v[68:69], v[10:11]
	v_fmac_f64_e32 v[28:29], v[46:47], v[68:69]
	v_cvt_f64_f32_e32 v[46:47], v54
	v_cvt_f64_f32_e32 v[48:49], v55
	v_fmac_f64_e32 v[42:43], v[46:47], v[62:63]
	v_fmac_f64_e32 v[40:41], v[48:49], v[62:63]
	v_fma_f64 v[42:43], -v[48:49], v[64:65], v[42:43]
	v_fmac_f64_e32 v[40:41], v[46:47], v[64:65]
	v_cvt_f64_f32_e32 v[46:47], v56
	v_cvt_f64_f32_e32 v[48:49], v57
	v_fmac_f64_e32 v[14:15], v[46:47], v[62:63]
	v_fmac_f64_e32 v[38:39], v[48:49], v[62:63]
	v_fma_f64 v[14:15], -v[48:49], v[64:65], v[14:15]
	v_fmac_f64_e32 v[38:39], v[46:47], v[64:65]
	v_cvt_f64_f32_e32 v[46:47], v50
	v_cvt_f64_f32_e32 v[48:49], v51
	v_fmac_f64_e32 v[12:13], v[46:47], v[62:63]
	v_fmac_f64_e32 v[30:31], v[48:49], v[62:63]
	v_fma_f64 v[58:59], -v[48:49], v[64:65], v[12:13]
	v_fmac_f64_e32 v[30:31], v[46:47], v[64:65]
	v_cvt_f64_f32_e32 v[12:13], v52
	v_cvt_f64_f32_e32 v[46:47], v53
	v_fmac_f64_e32 v[10:11], v[12:13], v[62:63]
	v_fmac_f64_e32 v[28:29], v[46:47], v[62:63]
	v_fma_f64 v[60:61], -v[46:47], v[64:65], v[10:11]
	v_fmac_f64_e32 v[28:29], v[12:13], v[64:65]
	global_load_dwordx4 v[10:13], v[44:45], off offset:112
	global_load_dwordx4 v[46:49], v[44:45], off offset:96
	;; [unrolled: 1-line block ×4, first 2 shown]
	s_waitcnt vmcnt(0)
	v_cvt_f64_f32_e32 v[44:45], v54
	v_cvt_f64_f32_e32 v[54:55], v55
	v_fmac_f64_e32 v[42:43], v[44:45], v[4:5]
	v_fma_f64 v[42:43], -v[54:55], v[6:7], v[42:43]
	v_fmac_f64_e32 v[40:41], v[54:55], v[4:5]
	v_cvt_f64_f32_e32 v[54:55], v57
	v_fmac_f64_e32 v[40:41], v[44:45], v[6:7]
	v_cvt_f64_f32_e32 v[44:45], v56
	v_fmac_f64_e32 v[38:39], v[54:55], v[4:5]
	v_fmac_f64_e32 v[14:15], v[44:45], v[4:5]
	;; [unrolled: 1-line block ×3, first 2 shown]
	v_cvt_f64_f32_e32 v[44:45], v50
	v_cvt_f64_f32_e32 v[50:51], v51
	v_fmac_f64_e32 v[58:59], v[44:45], v[4:5]
	v_fmac_f64_e32 v[30:31], v[50:51], v[4:5]
	v_fma_f64 v[58:59], -v[50:51], v[6:7], v[58:59]
	v_fmac_f64_e32 v[30:31], v[44:45], v[6:7]
	v_cvt_f64_f32_e32 v[44:45], v52
	v_cvt_f64_f32_e32 v[50:51], v53
	v_fmac_f64_e32 v[60:61], v[44:45], v[4:5]
	v_fmac_f64_e32 v[28:29], v[50:51], v[4:5]
	v_fma_f64 v[14:15], -v[54:55], v[6:7], v[14:15]
	v_fma_f64 v[52:53], -v[50:51], v[6:7], v[60:61]
	v_fmac_f64_e32 v[28:29], v[44:45], v[6:7]
	v_cvt_f64_f32_e32 v[4:5], v46
	v_cvt_f64_f32_e32 v[6:7], v47
	v_fmac_f64_e32 v[42:43], v[4:5], v[0:1]
	v_fmac_f64_e32 v[40:41], v[6:7], v[0:1]
	v_fma_f64 v[54:55], -v[6:7], v[2:3], v[42:43]
	v_fmac_f64_e32 v[40:41], v[4:5], v[2:3]
	v_cvt_f64_f32_e32 v[4:5], v48
	v_cvt_f64_f32_e32 v[6:7], v49
	v_fmac_f64_e32 v[14:15], v[4:5], v[0:1]
	v_fmac_f64_e32 v[38:39], v[6:7], v[0:1]
	;; [unrolled: 6-line block ×4, first 2 shown]
	v_fma_f64 v[52:53], -v[6:7], v[2:3], v[52:53]
	v_fmac_f64_e32 v[28:29], v[4:5], v[2:3]
	s_andn2_b64 exec, exec, s[10:11]
	s_cbranch_execnz .LBB174_35
; %bb.36:
	s_or_b64 exec, exec, s[10:11]
.LBB174_37:
	s_or_b64 exec, exec, s[8:9]
.LBB174_38:
	s_or_b64 exec, exec, s[2:3]
.LBB174_39:
	v_mov_b32_dpp v12, v38 row_shr:1 row_mask:0xf bank_mask:0xf
	v_mov_b32_dpp v13, v39 row_shr:1 row_mask:0xf bank_mask:0xf
	;; [unrolled: 1-line block ×8, first 2 shown]
	v_add_f64 v[12:13], v[38:39], v[12:13]
	v_mov_b32_dpp v32, v50 row_shr:1 row_mask:0xf bank_mask:0xf
	v_mov_b32_dpp v33, v51 row_shr:1 row_mask:0xf bank_mask:0xf
	;; [unrolled: 1-line block ×8, first 2 shown]
	v_add_f64 v[0:1], v[54:55], v[0:1]
	v_add_f64 v[4:5], v[40:41], v[4:5]
	v_add_f64 v[8:9], v[56:57], v[8:9]
	v_add_f64 v[32:33], v[50:51], v[32:33]
	v_add_f64 v[30:31], v[30:31], v[36:37]
	v_add_f64 v[38:39], v[52:53], v[38:39]
	v_add_f64 v[28:29], v[28:29], v[42:43]
	v_mov_b32_dpp v2, v0 row_shr:2 row_mask:0xf bank_mask:0xf
	v_mov_b32_dpp v3, v1 row_shr:2 row_mask:0xf bank_mask:0xf
	v_mov_b32_dpp v6, v4 row_shr:2 row_mask:0xf bank_mask:0xf
	v_mov_b32_dpp v7, v5 row_shr:2 row_mask:0xf bank_mask:0xf
	v_mov_b32_dpp v10, v8 row_shr:2 row_mask:0xf bank_mask:0xf
	v_mov_b32_dpp v11, v9 row_shr:2 row_mask:0xf bank_mask:0xf
	v_mov_b32_dpp v14, v12 row_shr:2 row_mask:0xf bank_mask:0xf
	v_mov_b32_dpp v15, v13 row_shr:2 row_mask:0xf bank_mask:0xf
	v_mov_b32_dpp v34, v32 row_shr:2 row_mask:0xf bank_mask:0xf
	v_mov_b32_dpp v35, v33 row_shr:2 row_mask:0xf bank_mask:0xf
	v_mov_b32_dpp v36, v30 row_shr:2 row_mask:0xf bank_mask:0xf
	v_mov_b32_dpp v37, v31 row_shr:2 row_mask:0xf bank_mask:0xf
	v_mov_b32_dpp v40, v38 row_shr:2 row_mask:0xf bank_mask:0xf
	v_mov_b32_dpp v41, v39 row_shr:2 row_mask:0xf bank_mask:0xf
	v_mov_b32_dpp v42, v28 row_shr:2 row_mask:0xf bank_mask:0xf
	v_mov_b32_dpp v43, v29 row_shr:2 row_mask:0xf bank_mask:0xf
	v_add_f64 v[0:1], v[0:1], v[2:3]
	v_add_f64 v[4:5], v[4:5], v[6:7]
	v_add_f64 v[8:9], v[8:9], v[10:11]
	v_add_f64 v[12:13], v[12:13], v[14:15]
	v_add_f64 v[32:33], v[32:33], v[34:35]
	v_add_f64 v[30:31], v[30:31], v[36:37]
	v_add_f64 v[38:39], v[38:39], v[40:41]
	v_add_f64 v[28:29], v[28:29], v[42:43]
	v_mov_b32_dpp v2, v0 row_shr:4 row_mask:0xf bank_mask:0xe
	v_mov_b32_dpp v3, v1 row_shr:4 row_mask:0xf bank_mask:0xe
	v_mov_b32_dpp v6, v4 row_shr:4 row_mask:0xf bank_mask:0xe
	v_mov_b32_dpp v7, v5 row_shr:4 row_mask:0xf bank_mask:0xe
	v_mov_b32_dpp v10, v8 row_shr:4 row_mask:0xf bank_mask:0xe
	v_mov_b32_dpp v11, v9 row_shr:4 row_mask:0xf bank_mask:0xe
	v_mov_b32_dpp v14, v12 row_shr:4 row_mask:0xf bank_mask:0xe
	v_mov_b32_dpp v15, v13 row_shr:4 row_mask:0xf bank_mask:0xe
	v_mov_b32_dpp v34, v32 row_shr:4 row_mask:0xf bank_mask:0xe
	v_mov_b32_dpp v35, v33 row_shr:4 row_mask:0xf bank_mask:0xe
	v_mov_b32_dpp v36, v30 row_shr:4 row_mask:0xf bank_mask:0xe
	v_mov_b32_dpp v37, v31 row_shr:4 row_mask:0xf bank_mask:0xe
	v_mov_b32_dpp v40, v38 row_shr:4 row_mask:0xf bank_mask:0xe
	v_mov_b32_dpp v41, v39 row_shr:4 row_mask:0xf bank_mask:0xe
	v_mov_b32_dpp v42, v28 row_shr:4 row_mask:0xf bank_mask:0xe
	v_mov_b32_dpp v43, v29 row_shr:4 row_mask:0xf bank_mask:0xe
	v_add_f64 v[0:1], v[0:1], v[2:3]
	;; [unrolled: 24-line block ×3, first 2 shown]
	v_add_f64 v[4:5], v[4:5], v[6:7]
	v_add_f64 v[8:9], v[8:9], v[10:11]
	;; [unrolled: 1-line block ×7, first 2 shown]
	v_mov_b32_dpp v2, v0 row_bcast:15 row_mask:0xa bank_mask:0xf
	v_mov_b32_dpp v3, v1 row_bcast:15 row_mask:0xa bank_mask:0xf
	v_mov_b32_dpp v6, v4 row_bcast:15 row_mask:0xa bank_mask:0xf
	v_mov_b32_dpp v7, v5 row_bcast:15 row_mask:0xa bank_mask:0xf
	v_mov_b32_dpp v10, v8 row_bcast:15 row_mask:0xa bank_mask:0xf
	v_mov_b32_dpp v11, v9 row_bcast:15 row_mask:0xa bank_mask:0xf
	v_mov_b32_dpp v14, v12 row_bcast:15 row_mask:0xa bank_mask:0xf
	v_mov_b32_dpp v15, v13 row_bcast:15 row_mask:0xa bank_mask:0xf
	v_mov_b32_dpp v34, v32 row_bcast:15 row_mask:0xa bank_mask:0xf
	v_mov_b32_dpp v35, v33 row_bcast:15 row_mask:0xa bank_mask:0xf
	v_mov_b32_dpp v36, v30 row_bcast:15 row_mask:0xa bank_mask:0xf
	v_mov_b32_dpp v37, v31 row_bcast:15 row_mask:0xa bank_mask:0xf
	v_mov_b32_dpp v40, v38 row_bcast:15 row_mask:0xa bank_mask:0xf
	v_mov_b32_dpp v41, v39 row_bcast:15 row_mask:0xa bank_mask:0xf
	v_mov_b32_dpp v42, v28 row_bcast:15 row_mask:0xa bank_mask:0xf
	v_mov_b32_dpp v43, v29 row_bcast:15 row_mask:0xa bank_mask:0xf
	v_add_f64 v[0:1], v[0:1], v[2:3]
	v_add_f64 v[4:5], v[4:5], v[6:7]
	;; [unrolled: 1-line block ×8, first 2 shown]
	v_mov_b32_dpp v2, v0 row_bcast:31 row_mask:0xc bank_mask:0xf
	v_mov_b32_dpp v3, v1 row_bcast:31 row_mask:0xc bank_mask:0xf
	;; [unrolled: 1-line block ×16, first 2 shown]
	v_cmp_eq_u32_e32 vcc, 63, v26
	s_and_b64 exec, exec, vcc
	s_cbranch_execz .LBB174_12
; %bb.40:
	s_load_dwordx2 s[2:3], s[6:7], 0x60
	v_add_f64 v[26:27], v[0:1], v[2:3]
	v_add_f64 v[0:1], v[4:5], v[6:7]
	;; [unrolled: 1-line block ×8, first 2 shown]
	v_cmp_eq_f64_e32 vcc, 0, v[16:17]
	v_cmp_eq_f64_e64 s[0:1], 0, v[18:19]
	v_mul_f64 v[12:13], v[0:1], -v[22:23]
	v_mul_f64 v[14:15], v[20:21], v[0:1]
	v_mul_f64 v[8:9], v[2:3], -v[22:23]
	v_mul_f64 v[10:11], v[20:21], v[2:3]
	;; [unrolled: 2-line block ×4, first 2 shown]
	s_and_b64 s[0:1], vcc, s[0:1]
	v_fmac_f64_e32 v[12:13], v[20:21], v[26:27]
	v_fmac_f64_e32 v[14:15], v[22:23], v[26:27]
	v_lshlrev_b32_e32 v24, 2, v24
	v_fmac_f64_e32 v[8:9], v[20:21], v[44:45]
	v_fmac_f64_e32 v[10:11], v[22:23], v[44:45]
	;; [unrolled: 1-line block ×6, first 2 shown]
	s_and_saveexec_b64 s[4:5], s[0:1]
	s_xor_b64 s[0:1], exec, s[4:5]
	s_cbranch_execz .LBB174_42
; %bb.41:
	v_ashrrev_i32_e32 v25, 31, v24
	v_lshlrev_b64 v[16:17], 4, v[24:25]
	s_waitcnt lgkmcnt(0)
	v_mov_b32_e32 v18, s3
	v_add_co_u32_e32 v16, vcc, s2, v16
	v_addc_co_u32_e32 v17, vcc, v18, v17, vcc
	global_store_dwordx4 v[16:17], v[12:15], off
	global_store_dwordx4 v[16:17], v[8:11], off offset:16
	global_store_dwordx4 v[16:17], v[4:7], off offset:32
	;; [unrolled: 1-line block ×3, first 2 shown]
                                        ; implicit-def: $vgpr16_vgpr17
                                        ; implicit-def: $vgpr18_vgpr19
                                        ; implicit-def: $vgpr12_vgpr13
                                        ; implicit-def: $vgpr24
                                        ; implicit-def: $vgpr8_vgpr9
                                        ; implicit-def: $vgpr4_vgpr5
                                        ; implicit-def: $vgpr0_vgpr1
.LBB174_42:
	s_andn2_saveexec_b64 s[0:1], s[0:1]
	s_cbranch_execz .LBB174_12
; %bb.43:
	v_ashrrev_i32_e32 v25, 31, v24
	v_lshlrev_b64 v[20:21], 4, v[24:25]
	s_waitcnt lgkmcnt(0)
	v_mov_b32_e32 v22, s3
	v_add_co_u32_e32 v36, vcc, s2, v20
	v_addc_co_u32_e32 v37, vcc, v22, v21, vcc
	global_load_dwordx4 v[20:23], v[36:37], off
	global_load_dwordx4 v[24:27], v[36:37], off offset:16
	global_load_dwordx4 v[28:31], v[36:37], off offset:32
	;; [unrolled: 1-line block ×3, first 2 shown]
	s_waitcnt vmcnt(3)
	v_fmac_f64_e32 v[12:13], v[16:17], v[20:21]
	v_fmac_f64_e32 v[14:15], v[18:19], v[20:21]
	s_waitcnt vmcnt(2)
	v_fmac_f64_e32 v[8:9], v[16:17], v[24:25]
	v_fmac_f64_e32 v[10:11], v[18:19], v[24:25]
	s_waitcnt vmcnt(1)
	v_fmac_f64_e32 v[4:5], v[16:17], v[28:29]
	v_fmac_f64_e32 v[6:7], v[18:19], v[28:29]
	s_waitcnt vmcnt(0)
	v_fmac_f64_e32 v[0:1], v[16:17], v[32:33]
	v_fmac_f64_e32 v[2:3], v[18:19], v[32:33]
	v_fma_f64 v[12:13], -v[18:19], v[22:23], v[12:13]
	v_fmac_f64_e32 v[14:15], v[16:17], v[22:23]
	v_fma_f64 v[8:9], -v[18:19], v[26:27], v[8:9]
	v_fmac_f64_e32 v[10:11], v[16:17], v[26:27]
	;; [unrolled: 2-line block ×4, first 2 shown]
	global_store_dwordx4 v[36:37], v[12:15], off
	global_store_dwordx4 v[36:37], v[8:11], off offset:16
	global_store_dwordx4 v[36:37], v[4:7], off offset:32
	;; [unrolled: 1-line block ×3, first 2 shown]
	s_endpgm
	.section	.rodata,"a",@progbits
	.p2align	6, 0x0
	.amdhsa_kernel _ZN9rocsparseL18bsrxmvn_4x4_kernelILj128ELj64E21rocsparse_complex_numIdEliS1_IfES2_S2_EEvT3_20rocsparse_direction_NS_24const_host_device_scalarIT1_EES4_PKS4_PKT2_SD_SA_PKT4_PKT5_S8_PT6_21rocsparse_index_base_b
		.amdhsa_group_segment_fixed_size 2048
		.amdhsa_private_segment_fixed_size 0
		.amdhsa_kernarg_size 112
		.amdhsa_user_sgpr_count 8
		.amdhsa_user_sgpr_private_segment_buffer 1
		.amdhsa_user_sgpr_dispatch_ptr 1
		.amdhsa_user_sgpr_queue_ptr 0
		.amdhsa_user_sgpr_kernarg_segment_ptr 1
		.amdhsa_user_sgpr_dispatch_id 0
		.amdhsa_user_sgpr_flat_scratch_init 0
		.amdhsa_user_sgpr_kernarg_preload_length 0
		.amdhsa_user_sgpr_kernarg_preload_offset 0
		.amdhsa_user_sgpr_private_segment_size 0
		.amdhsa_uses_dynamic_stack 0
		.amdhsa_system_sgpr_private_segment_wavefront_offset 0
		.amdhsa_system_sgpr_workgroup_id_x 1
		.amdhsa_system_sgpr_workgroup_id_y 0
		.amdhsa_system_sgpr_workgroup_id_z 0
		.amdhsa_system_sgpr_workgroup_info 0
		.amdhsa_system_vgpr_workitem_id 2
		.amdhsa_next_free_vgpr 128
		.amdhsa_next_free_sgpr 23
		.amdhsa_accum_offset 128
		.amdhsa_reserve_vcc 1
		.amdhsa_reserve_flat_scratch 0
		.amdhsa_float_round_mode_32 0
		.amdhsa_float_round_mode_16_64 0
		.amdhsa_float_denorm_mode_32 3
		.amdhsa_float_denorm_mode_16_64 3
		.amdhsa_dx10_clamp 1
		.amdhsa_ieee_mode 1
		.amdhsa_fp16_overflow 0
		.amdhsa_tg_split 0
		.amdhsa_exception_fp_ieee_invalid_op 0
		.amdhsa_exception_fp_denorm_src 0
		.amdhsa_exception_fp_ieee_div_zero 0
		.amdhsa_exception_fp_ieee_overflow 0
		.amdhsa_exception_fp_ieee_underflow 0
		.amdhsa_exception_fp_ieee_inexact 0
		.amdhsa_exception_int_div_zero 0
	.end_amdhsa_kernel
	.section	.text._ZN9rocsparseL18bsrxmvn_4x4_kernelILj128ELj64E21rocsparse_complex_numIdEliS1_IfES2_S2_EEvT3_20rocsparse_direction_NS_24const_host_device_scalarIT1_EES4_PKS4_PKT2_SD_SA_PKT4_PKT5_S8_PT6_21rocsparse_index_base_b,"axG",@progbits,_ZN9rocsparseL18bsrxmvn_4x4_kernelILj128ELj64E21rocsparse_complex_numIdEliS1_IfES2_S2_EEvT3_20rocsparse_direction_NS_24const_host_device_scalarIT1_EES4_PKS4_PKT2_SD_SA_PKT4_PKT5_S8_PT6_21rocsparse_index_base_b,comdat
.Lfunc_end174:
	.size	_ZN9rocsparseL18bsrxmvn_4x4_kernelILj128ELj64E21rocsparse_complex_numIdEliS1_IfES2_S2_EEvT3_20rocsparse_direction_NS_24const_host_device_scalarIT1_EES4_PKS4_PKT2_SD_SA_PKT4_PKT5_S8_PT6_21rocsparse_index_base_b, .Lfunc_end174-_ZN9rocsparseL18bsrxmvn_4x4_kernelILj128ELj64E21rocsparse_complex_numIdEliS1_IfES2_S2_EEvT3_20rocsparse_direction_NS_24const_host_device_scalarIT1_EES4_PKS4_PKT2_SD_SA_PKT4_PKT5_S8_PT6_21rocsparse_index_base_b
                                        ; -- End function
	.section	.AMDGPU.csdata,"",@progbits
; Kernel info:
; codeLenInByte = 9444
; NumSgprs: 27
; NumVgprs: 128
; NumAgprs: 0
; TotalNumVgprs: 128
; ScratchSize: 0
; MemoryBound: 0
; FloatMode: 240
; IeeeMode: 1
; LDSByteSize: 2048 bytes/workgroup (compile time only)
; SGPRBlocks: 3
; VGPRBlocks: 15
; NumSGPRsForWavesPerEU: 27
; NumVGPRsForWavesPerEU: 128
; AccumOffset: 128
; Occupancy: 4
; WaveLimiterHint : 1
; COMPUTE_PGM_RSRC2:SCRATCH_EN: 0
; COMPUTE_PGM_RSRC2:USER_SGPR: 8
; COMPUTE_PGM_RSRC2:TRAP_HANDLER: 0
; COMPUTE_PGM_RSRC2:TGID_X_EN: 1
; COMPUTE_PGM_RSRC2:TGID_Y_EN: 0
; COMPUTE_PGM_RSRC2:TGID_Z_EN: 0
; COMPUTE_PGM_RSRC2:TIDIG_COMP_CNT: 2
; COMPUTE_PGM_RSRC3_GFX90A:ACCUM_OFFSET: 31
; COMPUTE_PGM_RSRC3_GFX90A:TG_SPLIT: 0
	.section	.text._ZN9rocsparseL18bsrxmvn_4x4_kernelILj128ELj4E21rocsparse_complex_numIdEllS1_IfES2_S2_EEvT3_20rocsparse_direction_NS_24const_host_device_scalarIT1_EES4_PKS4_PKT2_SD_SA_PKT4_PKT5_S8_PT6_21rocsparse_index_base_b,"axG",@progbits,_ZN9rocsparseL18bsrxmvn_4x4_kernelILj128ELj4E21rocsparse_complex_numIdEllS1_IfES2_S2_EEvT3_20rocsparse_direction_NS_24const_host_device_scalarIT1_EES4_PKS4_PKT2_SD_SA_PKT4_PKT5_S8_PT6_21rocsparse_index_base_b,comdat
	.globl	_ZN9rocsparseL18bsrxmvn_4x4_kernelILj128ELj4E21rocsparse_complex_numIdEllS1_IfES2_S2_EEvT3_20rocsparse_direction_NS_24const_host_device_scalarIT1_EES4_PKS4_PKT2_SD_SA_PKT4_PKT5_S8_PT6_21rocsparse_index_base_b ; -- Begin function _ZN9rocsparseL18bsrxmvn_4x4_kernelILj128ELj4E21rocsparse_complex_numIdEllS1_IfES2_S2_EEvT3_20rocsparse_direction_NS_24const_host_device_scalarIT1_EES4_PKS4_PKT2_SD_SA_PKT4_PKT5_S8_PT6_21rocsparse_index_base_b
	.p2align	8
	.type	_ZN9rocsparseL18bsrxmvn_4x4_kernelILj128ELj4E21rocsparse_complex_numIdEllS1_IfES2_S2_EEvT3_20rocsparse_direction_NS_24const_host_device_scalarIT1_EES4_PKS4_PKT2_SD_SA_PKT4_PKT5_S8_PT6_21rocsparse_index_base_b,@function
_ZN9rocsparseL18bsrxmvn_4x4_kernelILj128ELj4E21rocsparse_complex_numIdEllS1_IfES2_S2_EEvT3_20rocsparse_direction_NS_24const_host_device_scalarIT1_EES4_PKS4_PKT2_SD_SA_PKT4_PKT5_S8_PT6_21rocsparse_index_base_b: ; @_ZN9rocsparseL18bsrxmvn_4x4_kernelILj128ELj4E21rocsparse_complex_numIdEllS1_IfES2_S2_EEvT3_20rocsparse_direction_NS_24const_host_device_scalarIT1_EES4_PKS4_PKT2_SD_SA_PKT4_PKT5_S8_PT6_21rocsparse_index_base_b
; %bb.0:
	s_load_dwordx2 s[20:21], s[6:7], 0x70
	s_load_dwordx4 s[16:19], s[6:7], 0x10
	s_load_dwordx2 s[10:11], s[4:5], 0x4
	s_load_dwordx4 s[12:15], s[6:7], 0x58
	s_mov_b64 s[2:3], src_shared_base
	v_bfe_u32 v3, v0, 10, 10
	s_waitcnt lgkmcnt(0)
	s_bitcmp1_b32 s21, 0
	s_cselect_b64 s[0:1], -1, 0
	s_and_b64 vcc, s[0:1], exec
	s_cselect_b32 s2, s3, s17
	s_lshr_b32 s4, s10, 16
	v_and_b32_e32 v2, 0x3ff, v0
	s_mul_i32 s4, s4, s11
	v_mul_u32_u24_e32 v3, s11, v3
	v_mad_u32_u24 v3, s4, v2, v3
	v_bfe_u32 v0, v0, 20, 10
	v_add_lshl_u32 v0, v3, v0, 3
	v_mov_b32_e32 v1, s16
	v_add_u32_e32 v3, 0x400, v0
	v_pk_mov_b32 v[4:5], s[16:17], s[16:17] op_sel:[0,1]
	v_pk_mov_b32 v[6:7], s[12:13], s[12:13] op_sel:[0,1]
	ds_write2st64_b64 v0, v[6:7], v[4:5] offset1:2
	v_cndmask_b32_e64 v4, v1, v3, s[0:1]
	v_mov_b32_e32 v5, s2
	flat_load_dwordx2 v[24:25], v[4:5]
	s_xor_b64 s[4:5], s[0:1], -1
	v_pk_mov_b32 v[26:27], s[18:19], s[18:19] op_sel:[0,1]
	s_cbranch_vccnz .LBB175_2
; %bb.1:
	v_pk_mov_b32 v[4:5], s[16:17], s[16:17] op_sel:[0,1]
	flat_load_dwordx2 v[26:27], v[4:5] offset:8
.LBB175_2:
	s_and_b64 s[10:11], s[0:1], exec
	s_cselect_b32 s2, s3, s13
	v_mov_b32_e32 v1, s12
	v_cndmask_b32_e64 v0, v1, v0, s[0:1]
	v_mov_b32_e32 v1, s2
	flat_load_dwordx2 v[20:21], v[0:1]
	s_andn2_b64 vcc, exec, s[4:5]
	v_pk_mov_b32 v[22:23], s[14:15], s[14:15] op_sel:[0,1]
	s_cbranch_vccnz .LBB175_4
; %bb.3:
	v_pk_mov_b32 v[0:1], s[12:13], s[12:13] op_sel:[0,1]
	flat_load_dwordx2 v[22:23], v[0:1] offset:8
.LBB175_4:
	s_waitcnt vmcnt(0) lgkmcnt(0)
	v_cmp_eq_f64_e32 vcc, 0, v[24:25]
	v_cmp_eq_f64_e64 s[0:1], 0, v[26:27]
	s_and_b64 s[4:5], vcc, s[0:1]
	s_mov_b64 s[0:1], -1
	s_and_saveexec_b64 s[2:3], s[4:5]
; %bb.5:
	v_cmp_neq_f64_e32 vcc, 1.0, v[20:21]
	v_cmp_neq_f64_e64 s[0:1], 0, v[22:23]
	s_or_b64 s[0:1], vcc, s[0:1]
	s_orn2_b64 s[0:1], s[0:1], exec
; %bb.6:
	s_or_b64 exec, exec, s[2:3]
	s_and_saveexec_b64 s[2:3], s[0:1]
	s_cbranch_execz .LBB175_12
; %bb.7:
	s_load_dwordx2 s[2:3], s[6:7], 0x28
	v_lshrrev_b32_e32 v0, 2, v2
	v_lshl_or_b32 v0, s8, 5, v0
	v_mov_b32_e32 v1, 0
	s_mov_b64 s[0:1], 0
	s_waitcnt lgkmcnt(0)
	s_cmp_lg_u64 s[2:3], 0
	s_cbranch_scc0 .LBB175_13
; %bb.8:
	s_load_dwordx2 s[4:5], s[6:7], 0x20
                                        ; implicit-def: $vgpr28_vgpr29
	s_waitcnt lgkmcnt(0)
	v_cmp_gt_i64_e32 vcc, s[4:5], v[0:1]
	s_and_saveexec_b64 s[4:5], vcc
	s_xor_b64 s[4:5], exec, s[4:5]
                                        ; implicit-def: $sgpr16_sgpr17
	s_cbranch_execz .LBB175_10
; %bb.9:
	v_lshlrev_b64 v[4:5], 3, v[0:1]
	v_mov_b32_e32 v3, s3
	v_add_co_u32_e32 v4, vcc, s2, v4
	v_addc_co_u32_e32 v5, vcc, v3, v5, vcc
	global_load_dwordx2 v[4:5], v[4:5], off
	s_mov_b64 s[0:1], exec
	s_mov_b32 s17, 0
	s_waitcnt vmcnt(0)
	v_subrev_co_u32_e32 v28, vcc, s20, v4
	v_subbrev_co_u32_e32 v29, vcc, 0, v5, vcc
.LBB175_10:
	s_or_b64 exec, exec, s[4:5]
.LBB175_11:
	s_and_b64 exec, exec, s[0:1]
	s_cbranch_execnz .LBB175_17
.LBB175_12:
	s_endpgm
.LBB175_13:
                                        ; implicit-def: $vgpr28_vgpr29
                                        ; implicit-def: $sgpr16_sgpr17
	s_cbranch_execz .LBB175_11
; %bb.14:
	s_load_dwordx2 s[2:3], s[6:7], 0x0
                                        ; implicit-def: $vgpr28_vgpr29
	s_waitcnt lgkmcnt(0)
	v_cmp_gt_i64_e32 vcc, s[2:3], v[0:1]
	s_and_saveexec_b64 s[2:3], vcc
                                        ; implicit-def: $sgpr16_sgpr17
; %bb.15:
	s_mov_b32 s17, 0
	s_or_b64 s[0:1], s[0:1], exec
	v_pk_mov_b32 v[28:29], v[0:1], v[0:1] op_sel:[0,1]
; %bb.16:
	s_or_b64 exec, exec, s[2:3]
	s_and_b64 exec, exec, s[0:1]
	s_cbranch_execz .LBB175_12
.LBB175_17:
	s_load_dwordx8 s[8:15], s[6:7], 0x30
	v_lshlrev_b64 v[0:1], 3, v[28:29]
	v_and_b32_e32 v30, 3, v2
	v_mov_b32_e32 v2, s17
	s_waitcnt lgkmcnt(0)
	v_mov_b32_e32 v3, s9
	v_add_co_u32_e32 v4, vcc, s8, v0
	v_addc_co_u32_e32 v5, vcc, v3, v1, vcc
	v_add_co_u32_e32 v3, vcc, 8, v4
	global_load_dwordx2 v[46:47], v[4:5], off
	v_addc_co_u32_e32 v4, vcc, 0, v5, vcc
	v_mov_b32_e32 v5, s11
	v_add_co_u32_e32 v0, vcc, s10, v0
	s_cmp_eq_u64 s[10:11], 0
	v_addc_co_u32_e32 v1, vcc, v5, v1, vcc
	s_cselect_b64 vcc, -1, 0
	v_cndmask_b32_e32 v1, v1, v4, vcc
	v_cndmask_b32_e32 v0, v0, v3, vcc
	global_load_dwordx2 v[0:1], v[0:1], off
	s_load_dword s0, s[6:7], 0x8
	s_load_dwordx2 s[4:5], s[6:7], 0x50
	v_mov_b32_e32 v3, s15
	s_waitcnt lgkmcnt(0)
	s_cmp_eq_u32 s0, 1
	s_waitcnt vmcnt(1)
	v_subrev_co_u32_e32 v4, vcc, s20, v46
	v_subb_co_u32_e32 v5, vcc, v47, v2, vcc
	v_add_co_u32_e32 v32, vcc, v4, v30
	v_addc_co_u32_e32 v33, vcc, 0, v5, vcc
	s_waitcnt vmcnt(0)
	v_subrev_co_u32_e32 v34, vcc, s20, v0
	v_subb_co_u32_e32 v35, vcc, v1, v2, vcc
	v_lshlrev_b64 v[0:1], 7, v[32:33]
	v_add_co_u32_e32 v36, vcc, s14, v0
	v_addc_co_u32_e32 v37, vcc, v3, v1, vcc
	v_cmp_lt_i64_e64 s[0:1], v[32:33], v[34:35]
	s_cbranch_scc1 .LBB175_29
; %bb.18:
	v_pk_mov_b32 v[40:41], 0, 0
	s_mov_b64 s[8:9], 0
	v_pk_mov_b32 v[54:55], v[40:41], v[40:41] op_sel:[0,1]
	v_pk_mov_b32 v[44:45], v[40:41], v[40:41] op_sel:[0,1]
	;; [unrolled: 1-line block ×7, first 2 shown]
	s_and_saveexec_b64 s[10:11], s[0:1]
	s_cbranch_execz .LBB175_28
; %bb.19:
	v_or_b32_e32 v0, 4, v30
	v_mov_b32_e32 v1, s17
	v_subrev_co_u32_e32 v0, vcc, s20, v0
	v_subb_co_u32_e32 v1, vcc, 0, v1, vcc
	v_add_co_u32_e32 v0, vcc, v0, v46
	v_addc_co_u32_e32 v1, vcc, v1, v47, vcc
	v_cmp_gt_i64_e32 vcc, v[0:1], v[34:35]
	v_cndmask_b32_e32 v1, v35, v1, vcc
	v_cndmask_b32_e32 v0, v34, v0, vcc
	v_mov_b32_e32 v4, s17
	v_sub_co_u32_e32 v5, vcc, s20, v30
	v_not_b32_e32 v3, v46
	v_subbrev_co_u32_e32 v4, vcc, 0, v4, vcc
	v_not_b32_e32 v2, v47
	v_add_co_u32_e32 v3, vcc, v5, v3
	v_addc_co_u32_e32 v2, vcc, v4, v2, vcc
	v_add_co_u32_e32 v8, vcc, v3, v0
	v_lshrrev_b32_e32 v0, 2, v8
	v_add_u32_e32 v0, 1, v0
	v_addc_co_u32_e32 v9, vcc, v2, v1, vcc
	v_and_b32_e32 v0, 3, v0
	v_pk_mov_b32 v[18:19], 0, 0
	v_cmp_ne_u32_e32 vcc, 0, v0
	s_mov_b64 s[18:19], 0
	v_pk_mov_b32 v[38:39], v[18:19], v[18:19] op_sel:[0,1]
	v_pk_mov_b32 v[16:17], v[18:19], v[18:19] op_sel:[0,1]
	;; [unrolled: 1-line block ×9, first 2 shown]
	s_and_saveexec_b64 s[14:15], vcc
	s_cbranch_execz .LBB175_23
; %bb.20:
	v_lshlrev_b64 v[2:3], 3, v[32:33]
	v_mov_b32_e32 v1, s13
	v_add_co_u32_e32 v12, vcc, s12, v2
	v_pk_mov_b32 v[40:41], 0, 0
	v_mov_b32_e32 v11, 0
	v_addc_co_u32_e32 v13, vcc, v1, v3, vcc
	v_lshlrev_b32_e32 v10, 3, v0
	s_movk_i32 s16, 0x200
	v_mov_b32_e32 v31, s17
	v_mov_b32_e32 v52, s5
	v_pk_mov_b32 v[50:51], v[32:33], v[32:33] op_sel:[0,1]
	v_pk_mov_b32 v[48:49], v[36:37], v[36:37] op_sel:[0,1]
	;; [unrolled: 1-line block ×9, first 2 shown]
.LBB175_21:                             ; =>This Inner Loop Header: Depth=1
	global_load_dwordx2 v[14:15], v[12:13], off
	global_load_dwordx4 v[4:7], v[48:49], off
	global_load_dwordx4 v[0:3], v[48:49], off offset:32
	global_load_dwordx4 v[58:61], v[48:49], off offset:64
	;; [unrolled: 1-line block ×7, first 2 shown]
	v_add_co_u32_e64 v50, s[2:3], 4, v50
	v_addc_co_u32_e64 v51, s[2:3], 0, v51, s[2:3]
	v_add_co_u32_e64 v12, s[2:3], 32, v12
	v_addc_co_u32_e64 v13, s[2:3], 0, v13, s[2:3]
	v_add_co_u32_e32 v48, vcc, s16, v48
	v_add_co_u32_e64 v10, s[2:3], -8, v10
	v_addc_co_u32_e64 v11, s[2:3], -1, v11, s[2:3]
	v_addc_co_u32_e32 v49, vcc, 0, v49, vcc
	v_cmp_eq_u64_e32 vcc, 0, v[10:11]
	s_or_b64 s[18:19], vcc, s[18:19]
	s_waitcnt vmcnt(8)
	v_subrev_co_u32_e32 v14, vcc, s20, v14
	v_subb_co_u32_e32 v15, vcc, v15, v31, vcc
	s_waitcnt vmcnt(7)
	v_cvt_f64_f32_e32 v[90:91], v4
	v_cvt_f64_f32_e32 v[92:93], v5
	v_lshlrev_b64 v[4:5], 6, v[14:15]
	v_add_co_u32_e32 v14, vcc, s4, v4
	v_addc_co_u32_e32 v15, vcc, v52, v5, vcc
	v_cvt_f64_f32_e32 v[94:95], v6
	v_cvt_f64_f32_e32 v[96:97], v7
	s_waitcnt vmcnt(3)
	v_cvt_f64_f32_e32 v[104:105], v66
	v_cvt_f64_f32_e32 v[106:107], v67
	;; [unrolled: 1-line block ×4, first 2 shown]
	global_load_dwordx4 v[4:7], v[14:15], off
	global_load_dwordx4 v[66:69], v[14:15], off offset:16
	global_load_dwordx4 v[82:85], v[14:15], off offset:32
	;; [unrolled: 1-line block ×3, first 2 shown]
	v_cvt_f64_f32_e32 v[98:99], v0
	v_cvt_f64_f32_e32 v[0:1], v1
	;; [unrolled: 1-line block ×12, first 2 shown]
	s_waitcnt vmcnt(6)
	v_cvt_f64_f32_e32 v[14:15], v70
	v_cvt_f64_f32_e32 v[70:71], v71
	s_waitcnt vmcnt(5)
	v_cvt_f64_f32_e32 v[120:121], v74
	v_cvt_f64_f32_e32 v[74:75], v75
	s_waitcnt vmcnt(4)
	v_cvt_f64_f32_e32 v[124:125], v78
	v_cvt_f64_f32_e32 v[78:79], v79
	v_cvt_f64_f32_e32 v[114:115], v72
	v_cvt_f64_f32_e32 v[72:73], v73
	;; [unrolled: 1-line block ×6, first 2 shown]
	s_waitcnt vmcnt(3)
	v_fmac_f64_e32 v[54:55], v[90:91], v[4:5]
	v_fmac_f64_e32 v[40:41], v[92:93], v[4:5]
	v_fmac_f64_e32 v[56:57], v[98:99], v[4:5]
	v_fmac_f64_e32 v[44:45], v[0:1], v[4:5]
	v_fmac_f64_e32 v[16:17], v[100:101], v[4:5]
	v_fmac_f64_e32 v[42:43], v[58:59], v[4:5]
	v_fmac_f64_e32 v[18:19], v[102:103], v[4:5]
	v_fmac_f64_e32 v[38:39], v[62:63], v[4:5]
	v_fma_f64 v[4:5], -v[92:93], v[6:7], v[54:55]
	v_fmac_f64_e32 v[40:41], v[90:91], v[6:7]
	v_fma_f64 v[0:1], -v[0:1], v[6:7], v[56:57]
	v_fmac_f64_e32 v[44:45], v[98:99], v[6:7]
	v_fma_f64 v[16:17], -v[58:59], v[6:7], v[16:17]
	v_fmac_f64_e32 v[42:43], v[100:101], v[6:7]
	v_fma_f64 v[18:19], -v[62:63], v[6:7], v[18:19]
	v_fmac_f64_e32 v[38:39], v[102:103], v[6:7]
	s_waitcnt vmcnt(2)
	v_fmac_f64_e32 v[4:5], v[94:95], v[66:67]
	v_fmac_f64_e32 v[40:41], v[96:97], v[66:67]
	v_fmac_f64_e32 v[0:1], v[112:113], v[66:67]
	v_fmac_f64_e32 v[44:45], v[2:3], v[66:67]
	v_fmac_f64_e32 v[16:17], v[116:117], v[66:67]
	v_fmac_f64_e32 v[42:43], v[60:61], v[66:67]
	v_fmac_f64_e32 v[18:19], v[118:119], v[66:67]
	v_fmac_f64_e32 v[38:39], v[64:65], v[66:67]
	v_fma_f64 v[4:5], -v[96:97], v[68:69], v[4:5]
	v_fmac_f64_e32 v[40:41], v[94:95], v[68:69]
	v_fma_f64 v[0:1], -v[2:3], v[68:69], v[0:1]
	v_fmac_f64_e32 v[44:45], v[112:113], v[68:69]
	v_fma_f64 v[2:3], -v[60:61], v[68:69], v[16:17]
	v_fmac_f64_e32 v[42:43], v[116:117], v[68:69]
	v_fma_f64 v[6:7], -v[64:65], v[68:69], v[18:19]
	v_fmac_f64_e32 v[38:39], v[118:119], v[68:69]
	;; [unrolled: 17-line block ×4, first 2 shown]
	s_andn2_b64 exec, exec, s[18:19]
	s_cbranch_execnz .LBB175_21
; %bb.22:
	s_or_b64 exec, exec, s[18:19]
.LBB175_23:
	s_or_b64 exec, exec, s[14:15]
	v_cmp_lt_u64_e32 vcc, 11, v[8:9]
	s_and_saveexec_b64 s[2:3], vcc
	s_cbranch_execz .LBB175_27
; %bb.24:
	v_lshlrev_b64 v[0:1], 3, v[50:51]
	v_mov_b32_e32 v2, s13
	v_add_co_u32_e32 v0, vcc, s12, v0
	v_addc_co_u32_e32 v1, vcc, v1, v2, vcc
	v_add_co_u32_e32 v52, vcc, 64, v0
	v_addc_co_u32_e32 v53, vcc, 0, v1, vcc
	s_mov_b64 s[14:15], 0
	v_mov_b32_e32 v31, s17
	v_mov_b32_e32 v62, s5
	s_movk_i32 s16, 0x800
.LBB175_25:                             ; =>This Inner Loop Header: Depth=1
	global_load_dwordx2 v[0:1], v[52:53], off offset:-64
	global_load_dwordx4 v[58:61], v[48:49], off offset:48
	global_load_dwordx4 v[64:67], v[48:49], off offset:32
	;; [unrolled: 1-line block ×3, first 2 shown]
	global_load_dwordx4 v[72:75], v[48:49], off
	s_waitcnt vmcnt(4)
	v_subrev_co_u32_e32 v0, vcc, s20, v0
	v_subb_co_u32_e32 v1, vcc, v1, v31, vcc
	v_lshlrev_b64 v[0:1], 6, v[0:1]
	v_add_co_u32_e32 v78, vcc, s4, v0
	v_addc_co_u32_e32 v79, vcc, v62, v1, vcc
	global_load_dwordx4 v[0:3], v[78:79], off offset:48
	global_load_dwordx4 v[4:7], v[78:79], off offset:32
	;; [unrolled: 1-line block ×3, first 2 shown]
	global_load_dwordx4 v[12:15], v[78:79], off
	s_waitcnt vmcnt(4)
	v_cvt_f64_f32_e32 v[76:77], v72
	v_cvt_f64_f32_e32 v[72:73], v73
	s_waitcnt vmcnt(0)
	v_fmac_f64_e32 v[54:55], v[76:77], v[12:13]
	v_fmac_f64_e32 v[40:41], v[72:73], v[12:13]
	v_fma_f64 v[54:55], -v[72:73], v[14:15], v[54:55]
	v_fmac_f64_e32 v[40:41], v[76:77], v[14:15]
	v_cvt_f64_f32_e32 v[72:73], v74
	v_cvt_f64_f32_e32 v[74:75], v75
	v_fmac_f64_e32 v[54:55], v[72:73], v[8:9]
	v_fmac_f64_e32 v[40:41], v[74:75], v[8:9]
	v_fma_f64 v[54:55], -v[74:75], v[10:11], v[54:55]
	v_fmac_f64_e32 v[40:41], v[72:73], v[10:11]
	v_cvt_f64_f32_e32 v[72:73], v68
	v_cvt_f64_f32_e32 v[68:69], v69
	;; [unrolled: 6-line block ×3, first 2 shown]
	v_fmac_f64_e32 v[40:41], v[70:71], v[0:1]
	v_fmac_f64_e32 v[54:55], v[68:69], v[0:1]
	;; [unrolled: 1-line block ×3, first 2 shown]
	v_cvt_f64_f32_e32 v[68:69], v64
	v_cvt_f64_f32_e32 v[64:65], v65
	v_fmac_f64_e32 v[56:57], v[68:69], v[12:13]
	v_fmac_f64_e32 v[44:45], v[64:65], v[12:13]
	v_fma_f64 v[56:57], -v[64:65], v[14:15], v[56:57]
	v_fmac_f64_e32 v[44:45], v[68:69], v[14:15]
	v_cvt_f64_f32_e32 v[64:65], v66
	v_cvt_f64_f32_e32 v[66:67], v67
	v_fmac_f64_e32 v[56:57], v[64:65], v[8:9]
	v_fmac_f64_e32 v[44:45], v[66:67], v[8:9]
	v_fma_f64 v[56:57], -v[66:67], v[10:11], v[56:57]
	v_fmac_f64_e32 v[44:45], v[64:65], v[10:11]
	;; [unrolled: 6-line block ×3, first 2 shown]
	v_cvt_f64_f32_e32 v[58:59], v60
	v_cvt_f64_f32_e32 v[60:61], v61
	v_fmac_f64_e32 v[56:57], v[58:59], v[0:1]
	v_fmac_f64_e32 v[44:45], v[60:61], v[0:1]
	v_fma_f64 v[54:55], -v[70:71], v[2:3], v[54:55]
	v_fma_f64 v[56:57], -v[60:61], v[2:3], v[56:57]
	v_fmac_f64_e32 v[44:45], v[58:59], v[2:3]
	global_load_dwordx4 v[58:61], v[48:49], off offset:112
	global_load_dwordx4 v[64:67], v[48:49], off offset:96
	;; [unrolled: 1-line block ×4, first 2 shown]
	s_waitcnt vmcnt(0)
	v_cvt_f64_f32_e32 v[76:77], v72
	v_cvt_f64_f32_e32 v[72:73], v73
	v_fmac_f64_e32 v[16:17], v[76:77], v[12:13]
	v_fmac_f64_e32 v[42:43], v[72:73], v[12:13]
	v_fma_f64 v[16:17], -v[72:73], v[14:15], v[16:17]
	v_fmac_f64_e32 v[42:43], v[76:77], v[14:15]
	v_cvt_f64_f32_e32 v[72:73], v74
	v_cvt_f64_f32_e32 v[74:75], v75
	v_fmac_f64_e32 v[16:17], v[72:73], v[8:9]
	v_fmac_f64_e32 v[42:43], v[74:75], v[8:9]
	v_fma_f64 v[16:17], -v[74:75], v[10:11], v[16:17]
	v_fmac_f64_e32 v[42:43], v[72:73], v[10:11]
	v_cvt_f64_f32_e32 v[72:73], v68
	v_cvt_f64_f32_e32 v[68:69], v69
	v_fmac_f64_e32 v[16:17], v[72:73], v[4:5]
	v_fma_f64 v[16:17], -v[68:69], v[6:7], v[16:17]
	v_fmac_f64_e32 v[42:43], v[68:69], v[4:5]
	v_cvt_f64_f32_e32 v[68:69], v70
	v_cvt_f64_f32_e32 v[70:71], v71
	v_fmac_f64_e32 v[16:17], v[68:69], v[0:1]
	v_fma_f64 v[76:77], -v[70:71], v[2:3], v[16:17]
	v_cvt_f64_f32_e32 v[16:17], v64
	v_cvt_f64_f32_e32 v[64:65], v65
	v_fmac_f64_e32 v[18:19], v[16:17], v[12:13]
	v_fmac_f64_e32 v[38:39], v[64:65], v[12:13]
	v_fma_f64 v[18:19], -v[64:65], v[14:15], v[18:19]
	v_fmac_f64_e32 v[38:39], v[16:17], v[14:15]
	v_cvt_f64_f32_e32 v[12:13], v66
	v_cvt_f64_f32_e32 v[14:15], v67
	v_fmac_f64_e32 v[18:19], v[12:13], v[8:9]
	v_fmac_f64_e32 v[38:39], v[14:15], v[8:9]
	v_fma_f64 v[16:17], -v[14:15], v[10:11], v[18:19]
	v_fmac_f64_e32 v[38:39], v[12:13], v[10:11]
	v_cvt_f64_f32_e32 v[8:9], v58
	v_cvt_f64_f32_e32 v[10:11], v59
	v_fmac_f64_e32 v[16:17], v[8:9], v[4:5]
	v_fmac_f64_e32 v[38:39], v[10:11], v[4:5]
	;; [unrolled: 1-line block ×3, first 2 shown]
	v_fma_f64 v[12:13], -v[10:11], v[6:7], v[16:17]
	v_fmac_f64_e32 v[38:39], v[8:9], v[6:7]
	v_cvt_f64_f32_e32 v[4:5], v60
	v_cvt_f64_f32_e32 v[6:7], v61
	v_fmac_f64_e32 v[42:43], v[70:71], v[0:1]
	v_fmac_f64_e32 v[12:13], v[4:5], v[0:1]
	v_fmac_f64_e32 v[38:39], v[6:7], v[0:1]
	global_load_dwordx2 v[0:1], v[52:53], off offset:-32
	v_fmac_f64_e32 v[42:43], v[68:69], v[2:3]
	v_fma_f64 v[18:19], -v[6:7], v[2:3], v[12:13]
	v_fmac_f64_e32 v[38:39], v[4:5], v[2:3]
	global_load_dwordx4 v[2:5], v[48:49], off offset:560
	global_load_dwordx4 v[6:9], v[48:49], off offset:544
	;; [unrolled: 1-line block ×4, first 2 shown]
	s_waitcnt vmcnt(4)
	v_subrev_co_u32_e32 v0, vcc, s20, v0
	v_subb_co_u32_e32 v1, vcc, v1, v31, vcc
	v_lshlrev_b64 v[0:1], 6, v[0:1]
	v_add_co_u32_e32 v0, vcc, s4, v0
	v_addc_co_u32_e32 v1, vcc, v62, v1, vcc
	global_load_dwordx4 v[58:61], v[0:1], off offset:48
	global_load_dwordx4 v[64:67], v[0:1], off offset:32
	;; [unrolled: 1-line block ×3, first 2 shown]
	global_load_dwordx4 v[72:75], v[0:1], off
	s_waitcnt vmcnt(4)
	v_cvt_f64_f32_e32 v[78:79], v14
	v_cvt_f64_f32_e32 v[14:15], v15
	s_waitcnt vmcnt(0)
	v_fmac_f64_e32 v[54:55], v[78:79], v[72:73]
	v_fmac_f64_e32 v[40:41], v[14:15], v[72:73]
	v_fma_f64 v[0:1], -v[14:15], v[74:75], v[54:55]
	v_fmac_f64_e32 v[40:41], v[78:79], v[74:75]
	v_cvt_f64_f32_e32 v[14:15], v16
	v_cvt_f64_f32_e32 v[16:17], v17
	v_fmac_f64_e32 v[0:1], v[14:15], v[68:69]
	v_fmac_f64_e32 v[40:41], v[16:17], v[68:69]
	v_fma_f64 v[0:1], -v[16:17], v[70:71], v[0:1]
	v_fmac_f64_e32 v[40:41], v[14:15], v[70:71]
	v_cvt_f64_f32_e32 v[14:15], v10
	v_cvt_f64_f32_e32 v[10:11], v11
	;; [unrolled: 6-line block ×3, first 2 shown]
	v_fmac_f64_e32 v[40:41], v[12:13], v[58:59]
	v_fmac_f64_e32 v[0:1], v[10:11], v[58:59]
	;; [unrolled: 1-line block ×3, first 2 shown]
	v_cvt_f64_f32_e32 v[10:11], v6
	v_cvt_f64_f32_e32 v[6:7], v7
	v_fmac_f64_e32 v[56:57], v[10:11], v[72:73]
	v_fmac_f64_e32 v[44:45], v[6:7], v[72:73]
	v_fma_f64 v[0:1], -v[12:13], v[60:61], v[0:1]
	v_fma_f64 v[12:13], -v[6:7], v[74:75], v[56:57]
	v_fmac_f64_e32 v[44:45], v[10:11], v[74:75]
	v_cvt_f64_f32_e32 v[6:7], v8
	v_cvt_f64_f32_e32 v[8:9], v9
	v_fmac_f64_e32 v[12:13], v[6:7], v[68:69]
	v_fmac_f64_e32 v[44:45], v[8:9], v[68:69]
	v_fma_f64 v[10:11], -v[8:9], v[70:71], v[12:13]
	v_fmac_f64_e32 v[44:45], v[6:7], v[70:71]
	v_cvt_f64_f32_e32 v[6:7], v2
	v_cvt_f64_f32_e32 v[2:3], v3
	v_fmac_f64_e32 v[10:11], v[6:7], v[64:65]
	v_fmac_f64_e32 v[44:45], v[2:3], v[64:65]
	;; [unrolled: 6-line block ×3, first 2 shown]
	v_fma_f64 v[2:3], -v[4:5], v[60:61], v[8:9]
	v_fmac_f64_e32 v[44:45], v[6:7], v[60:61]
	global_load_dwordx4 v[6:9], v[48:49], off offset:624
	global_load_dwordx4 v[10:13], v[48:49], off offset:608
	;; [unrolled: 1-line block ×4, first 2 shown]
	s_waitcnt vmcnt(0)
	v_cvt_f64_f32_e32 v[4:5], v54
	v_cvt_f64_f32_e32 v[54:55], v55
	v_fmac_f64_e32 v[76:77], v[4:5], v[72:73]
	v_fmac_f64_e32 v[42:43], v[54:55], v[72:73]
	v_fma_f64 v[76:77], -v[54:55], v[74:75], v[76:77]
	v_fmac_f64_e32 v[42:43], v[4:5], v[74:75]
	v_cvt_f64_f32_e32 v[4:5], v56
	v_cvt_f64_f32_e32 v[54:55], v57
	v_fmac_f64_e32 v[76:77], v[4:5], v[68:69]
	v_fmac_f64_e32 v[42:43], v[54:55], v[68:69]
	v_fma_f64 v[56:57], -v[54:55], v[70:71], v[76:77]
	v_fmac_f64_e32 v[42:43], v[4:5], v[70:71]
	;; [unrolled: 6-line block ×3, first 2 shown]
	v_cvt_f64_f32_e32 v[14:15], v16
	v_cvt_f64_f32_e32 v[16:17], v17
	v_fmac_f64_e32 v[42:43], v[16:17], v[58:59]
	v_fmac_f64_e32 v[54:55], v[14:15], v[58:59]
	;; [unrolled: 1-line block ×3, first 2 shown]
	v_cvt_f64_f32_e32 v[14:15], v10
	v_cvt_f64_f32_e32 v[10:11], v11
	v_fmac_f64_e32 v[18:19], v[14:15], v[72:73]
	v_fmac_f64_e32 v[38:39], v[10:11], v[72:73]
	v_fma_f64 v[4:5], -v[16:17], v[60:61], v[54:55]
	v_fma_f64 v[16:17], -v[10:11], v[74:75], v[18:19]
	v_fmac_f64_e32 v[38:39], v[14:15], v[74:75]
	v_cvt_f64_f32_e32 v[10:11], v12
	v_cvt_f64_f32_e32 v[12:13], v13
	v_fmac_f64_e32 v[16:17], v[10:11], v[68:69]
	v_fmac_f64_e32 v[38:39], v[12:13], v[68:69]
	v_fma_f64 v[14:15], -v[12:13], v[70:71], v[16:17]
	v_fmac_f64_e32 v[38:39], v[10:11], v[70:71]
	v_cvt_f64_f32_e32 v[10:11], v6
	v_cvt_f64_f32_e32 v[6:7], v7
	v_fmac_f64_e32 v[14:15], v[10:11], v[64:65]
	v_fmac_f64_e32 v[38:39], v[6:7], v[64:65]
	v_fma_f64 v[12:13], -v[6:7], v[66:67], v[14:15]
	v_fmac_f64_e32 v[38:39], v[10:11], v[66:67]
	v_cvt_f64_f32_e32 v[10:11], v8
	v_cvt_f64_f32_e32 v[8:9], v9
	v_fmac_f64_e32 v[12:13], v[10:11], v[58:59]
	v_fma_f64 v[6:7], -v[8:9], v[60:61], v[12:13]
	v_fmac_f64_e32 v[38:39], v[8:9], v[58:59]
	global_load_dwordx2 v[8:9], v[52:53], off
	v_fmac_f64_e32 v[38:39], v[10:11], v[60:61]
	s_waitcnt vmcnt(0)
	v_subrev_co_u32_e32 v58, vcc, s20, v8
	v_subb_co_u32_e32 v59, vcc, v9, v31, vcc
	v_lshlrev_b64 v[58:59], 6, v[58:59]
	v_add_co_u32_e32 v58, vcc, s4, v58
	global_load_dwordx4 v[8:11], v[48:49], off offset:1072
	global_load_dwordx4 v[12:15], v[48:49], off offset:1056
	;; [unrolled: 1-line block ×4, first 2 shown]
	v_addc_co_u32_e32 v59, vcc, v62, v59, vcc
	global_load_dwordx4 v[64:67], v[58:59], off offset:48
	global_load_dwordx4 v[68:71], v[58:59], off offset:32
	;; [unrolled: 1-line block ×3, first 2 shown]
	global_load_dwordx4 v[76:79], v[58:59], off
	s_waitcnt vmcnt(4)
	v_cvt_f64_f32_e32 v[60:61], v54
	v_cvt_f64_f32_e32 v[54:55], v55
	s_waitcnt vmcnt(0)
	v_fmac_f64_e32 v[0:1], v[60:61], v[76:77]
	v_fmac_f64_e32 v[40:41], v[54:55], v[76:77]
	v_fma_f64 v[0:1], -v[54:55], v[78:79], v[0:1]
	v_fmac_f64_e32 v[40:41], v[60:61], v[78:79]
	v_cvt_f64_f32_e32 v[54:55], v56
	v_cvt_f64_f32_e32 v[56:57], v57
	v_fmac_f64_e32 v[0:1], v[54:55], v[72:73]
	v_fmac_f64_e32 v[40:41], v[56:57], v[72:73]
	v_fma_f64 v[0:1], -v[56:57], v[74:75], v[0:1]
	v_fmac_f64_e32 v[40:41], v[54:55], v[74:75]
	v_cvt_f64_f32_e32 v[54:55], v16
	v_cvt_f64_f32_e32 v[16:17], v17
	v_fmac_f64_e32 v[0:1], v[54:55], v[68:69]
	v_fma_f64 v[0:1], -v[16:17], v[70:71], v[0:1]
	v_fmac_f64_e32 v[40:41], v[16:17], v[68:69]
	v_cvt_f64_f32_e32 v[16:17], v18
	v_cvt_f64_f32_e32 v[18:19], v19
	v_fmac_f64_e32 v[0:1], v[16:17], v[64:65]
	v_fmac_f64_e32 v[40:41], v[54:55], v[70:71]
	v_fma_f64 v[54:55], -v[18:19], v[66:67], v[0:1]
	v_cvt_f64_f32_e32 v[0:1], v12
	v_cvt_f64_f32_e32 v[12:13], v13
	v_fmac_f64_e32 v[2:3], v[0:1], v[76:77]
	v_fmac_f64_e32 v[44:45], v[12:13], v[76:77]
	v_fma_f64 v[2:3], -v[12:13], v[78:79], v[2:3]
	v_fmac_f64_e32 v[44:45], v[0:1], v[78:79]
	v_cvt_f64_f32_e32 v[0:1], v14
	v_cvt_f64_f32_e32 v[12:13], v15
	v_fmac_f64_e32 v[2:3], v[0:1], v[72:73]
	v_fmac_f64_e32 v[44:45], v[12:13], v[72:73]
	v_fma_f64 v[2:3], -v[12:13], v[74:75], v[2:3]
	v_fmac_f64_e32 v[44:45], v[0:1], v[74:75]
	;; [unrolled: 6-line block ×3, first 2 shown]
	v_cvt_f64_f32_e32 v[0:1], v10
	v_cvt_f64_f32_e32 v[8:9], v11
	v_fmac_f64_e32 v[40:41], v[18:19], v[64:65]
	v_fmac_f64_e32 v[2:3], v[0:1], v[64:65]
	;; [unrolled: 1-line block ×4, first 2 shown]
	v_fma_f64 v[56:57], -v[8:9], v[66:67], v[2:3]
	v_fmac_f64_e32 v[44:45], v[0:1], v[66:67]
	global_load_dwordx4 v[0:3], v[48:49], off offset:1136
	global_load_dwordx4 v[8:11], v[48:49], off offset:1120
	;; [unrolled: 1-line block ×4, first 2 shown]
	s_waitcnt vmcnt(0)
	v_cvt_f64_f32_e32 v[58:59], v16
	v_cvt_f64_f32_e32 v[16:17], v17
	v_fmac_f64_e32 v[4:5], v[58:59], v[76:77]
	v_fmac_f64_e32 v[42:43], v[16:17], v[76:77]
	v_fma_f64 v[4:5], -v[16:17], v[78:79], v[4:5]
	v_fmac_f64_e32 v[42:43], v[58:59], v[78:79]
	v_cvt_f64_f32_e32 v[16:17], v18
	v_cvt_f64_f32_e32 v[18:19], v19
	v_fmac_f64_e32 v[4:5], v[16:17], v[72:73]
	v_fmac_f64_e32 v[42:43], v[18:19], v[72:73]
	v_fma_f64 v[4:5], -v[18:19], v[74:75], v[4:5]
	v_fmac_f64_e32 v[42:43], v[16:17], v[74:75]
	v_cvt_f64_f32_e32 v[16:17], v12
	v_cvt_f64_f32_e32 v[12:13], v13
	v_fmac_f64_e32 v[4:5], v[16:17], v[68:69]
	v_fma_f64 v[4:5], -v[12:13], v[70:71], v[4:5]
	v_fmac_f64_e32 v[42:43], v[12:13], v[68:69]
	v_cvt_f64_f32_e32 v[12:13], v14
	v_cvt_f64_f32_e32 v[14:15], v15
	v_fmac_f64_e32 v[4:5], v[12:13], v[64:65]
	v_fma_f64 v[60:61], -v[14:15], v[66:67], v[4:5]
	v_cvt_f64_f32_e32 v[4:5], v8
	v_cvt_f64_f32_e32 v[8:9], v9
	v_fmac_f64_e32 v[6:7], v[4:5], v[76:77]
	v_fmac_f64_e32 v[38:39], v[8:9], v[76:77]
	v_fma_f64 v[6:7], -v[8:9], v[78:79], v[6:7]
	v_fmac_f64_e32 v[38:39], v[4:5], v[78:79]
	v_cvt_f64_f32_e32 v[4:5], v10
	v_cvt_f64_f32_e32 v[8:9], v11
	v_fmac_f64_e32 v[6:7], v[4:5], v[72:73]
	v_fmac_f64_e32 v[38:39], v[8:9], v[72:73]
	v_fma_f64 v[6:7], -v[8:9], v[74:75], v[6:7]
	v_fmac_f64_e32 v[38:39], v[4:5], v[74:75]
	v_cvt_f64_f32_e32 v[4:5], v0
	v_cvt_f64_f32_e32 v[0:1], v1
	v_fmac_f64_e32 v[6:7], v[4:5], v[68:69]
	v_fmac_f64_e32 v[38:39], v[0:1], v[68:69]
	v_fma_f64 v[6:7], -v[0:1], v[70:71], v[6:7]
	v_fmac_f64_e32 v[38:39], v[4:5], v[70:71]
	v_cvt_f64_f32_e32 v[0:1], v2
	v_cvt_f64_f32_e32 v[2:3], v3
	v_fmac_f64_e32 v[38:39], v[2:3], v[64:65]
	v_fmac_f64_e32 v[6:7], v[0:1], v[64:65]
	v_fmac_f64_e32 v[38:39], v[0:1], v[66:67]
	global_load_dwordx2 v[0:1], v[52:53], off offset:32
	v_fmac_f64_e32 v[42:43], v[16:17], v[70:71]
	v_fmac_f64_e32 v[42:43], v[14:15], v[64:65]
	;; [unrolled: 1-line block ×3, first 2 shown]
	v_fma_f64 v[58:59], -v[2:3], v[66:67], v[6:7]
	global_load_dwordx4 v[16:19], v[48:49], off offset:1584
	global_load_dwordx4 v[64:67], v[48:49], off offset:1568
	;; [unrolled: 1-line block ×4, first 2 shown]
	s_waitcnt vmcnt(4)
	v_subrev_co_u32_e32 v0, vcc, s20, v0
	v_subb_co_u32_e32 v1, vcc, v1, v31, vcc
	v_lshlrev_b64 v[0:1], 6, v[0:1]
	v_add_co_u32_e32 v78, vcc, s4, v0
	v_addc_co_u32_e32 v79, vcc, v62, v1, vcc
	global_load_dwordx4 v[0:3], v[78:79], off offset:48
	global_load_dwordx4 v[4:7], v[78:79], off offset:32
	;; [unrolled: 1-line block ×3, first 2 shown]
	global_load_dwordx4 v[12:15], v[78:79], off
	s_waitcnt vmcnt(4)
	v_cvt_f64_f32_e32 v[76:77], v72
	v_cvt_f64_f32_e32 v[72:73], v73
	s_waitcnt vmcnt(0)
	v_fmac_f64_e32 v[54:55], v[76:77], v[12:13]
	v_fmac_f64_e32 v[40:41], v[72:73], v[12:13]
	v_fma_f64 v[54:55], -v[72:73], v[14:15], v[54:55]
	v_fmac_f64_e32 v[40:41], v[76:77], v[14:15]
	v_cvt_f64_f32_e32 v[72:73], v74
	v_cvt_f64_f32_e32 v[74:75], v75
	v_fmac_f64_e32 v[54:55], v[72:73], v[8:9]
	v_fmac_f64_e32 v[40:41], v[74:75], v[8:9]
	v_fma_f64 v[54:55], -v[74:75], v[10:11], v[54:55]
	v_fmac_f64_e32 v[40:41], v[72:73], v[10:11]
	v_cvt_f64_f32_e32 v[72:73], v68
	v_cvt_f64_f32_e32 v[68:69], v69
	;; [unrolled: 6-line block ×3, first 2 shown]
	v_fmac_f64_e32 v[40:41], v[70:71], v[0:1]
	v_fmac_f64_e32 v[54:55], v[68:69], v[0:1]
	;; [unrolled: 1-line block ×3, first 2 shown]
	v_cvt_f64_f32_e32 v[68:69], v64
	v_cvt_f64_f32_e32 v[64:65], v65
	v_fmac_f64_e32 v[56:57], v[68:69], v[12:13]
	v_fmac_f64_e32 v[44:45], v[64:65], v[12:13]
	v_fma_f64 v[56:57], -v[64:65], v[14:15], v[56:57]
	v_fmac_f64_e32 v[44:45], v[68:69], v[14:15]
	v_cvt_f64_f32_e32 v[64:65], v66
	v_cvt_f64_f32_e32 v[66:67], v67
	v_fmac_f64_e32 v[56:57], v[64:65], v[8:9]
	v_fmac_f64_e32 v[44:45], v[66:67], v[8:9]
	v_fma_f64 v[56:57], -v[66:67], v[10:11], v[56:57]
	v_fmac_f64_e32 v[44:45], v[64:65], v[10:11]
	;; [unrolled: 6-line block ×3, first 2 shown]
	v_cvt_f64_f32_e32 v[16:17], v18
	v_cvt_f64_f32_e32 v[18:19], v19
	v_fmac_f64_e32 v[56:57], v[16:17], v[0:1]
	v_fmac_f64_e32 v[44:45], v[18:19], v[0:1]
	v_fma_f64 v[54:55], -v[70:71], v[2:3], v[54:55]
	v_fma_f64 v[56:57], -v[18:19], v[2:3], v[56:57]
	v_fmac_f64_e32 v[44:45], v[16:17], v[2:3]
	global_load_dwordx4 v[64:67], v[48:49], off offset:1648
	global_load_dwordx4 v[68:71], v[48:49], off offset:1632
	;; [unrolled: 1-line block ×4, first 2 shown]
	v_add_co_u32_e32 v48, vcc, s16, v48
	v_addc_co_u32_e32 v49, vcc, 0, v49, vcc
	v_add_co_u32_e32 v50, vcc, 16, v50
	v_addc_co_u32_e32 v51, vcc, 0, v51, vcc
	;; [unrolled: 2-line block ×3, first 2 shown]
	v_cmp_ge_i64_e32 vcc, v[50:51], v[34:35]
	s_or_b64 s[14:15], vcc, s[14:15]
	s_waitcnt vmcnt(0)
	v_cvt_f64_f32_e32 v[76:77], v72
	v_cvt_f64_f32_e32 v[72:73], v73
	v_fmac_f64_e32 v[60:61], v[76:77], v[12:13]
	v_fmac_f64_e32 v[42:43], v[72:73], v[12:13]
	v_fma_f64 v[60:61], -v[72:73], v[14:15], v[60:61]
	v_fmac_f64_e32 v[42:43], v[76:77], v[14:15]
	v_cvt_f64_f32_e32 v[72:73], v74
	v_cvt_f64_f32_e32 v[74:75], v75
	v_fmac_f64_e32 v[60:61], v[72:73], v[8:9]
	v_fmac_f64_e32 v[42:43], v[74:75], v[8:9]
	v_fma_f64 v[60:61], -v[74:75], v[10:11], v[60:61]
	v_fmac_f64_e32 v[42:43], v[72:73], v[10:11]
	;; [unrolled: 6-line block ×3, first 2 shown]
	v_cvt_f64_f32_e32 v[72:73], v18
	v_cvt_f64_f32_e32 v[18:19], v19
	v_fmac_f64_e32 v[60:61], v[72:73], v[0:1]
	v_fma_f64 v[16:17], -v[18:19], v[2:3], v[60:61]
	v_fmac_f64_e32 v[42:43], v[18:19], v[0:1]
	v_cvt_f64_f32_e32 v[18:19], v68
	v_cvt_f64_f32_e32 v[60:61], v69
	v_fmac_f64_e32 v[58:59], v[18:19], v[12:13]
	v_fmac_f64_e32 v[38:39], v[60:61], v[12:13]
	v_fma_f64 v[58:59], -v[60:61], v[14:15], v[58:59]
	v_fmac_f64_e32 v[38:39], v[18:19], v[14:15]
	v_cvt_f64_f32_e32 v[12:13], v70
	v_cvt_f64_f32_e32 v[14:15], v71
	v_fmac_f64_e32 v[58:59], v[12:13], v[8:9]
	;; [unrolled: 6-line block ×4, first 2 shown]
	v_fmac_f64_e32 v[38:39], v[6:7], v[0:1]
	v_fmac_f64_e32 v[42:43], v[72:73], v[2:3]
	v_fma_f64 v[18:19], -v[6:7], v[2:3], v[12:13]
	v_fmac_f64_e32 v[38:39], v[4:5], v[2:3]
	s_andn2_b64 exec, exec, s[14:15]
	s_cbranch_execnz .LBB175_25
; %bb.26:
	s_or_b64 exec, exec, s[14:15]
.LBB175_27:
	s_or_b64 exec, exec, s[2:3]
.LBB175_28:
	s_or_b64 exec, exec, s[10:11]
	s_andn2_b64 vcc, exec, s[8:9]
	s_cbranch_vccz .LBB175_30
	s_branch .LBB175_41
.LBB175_29:
                                        ; implicit-def: $vgpr40_vgpr41
                                        ; implicit-def: $vgpr54_vgpr55
                                        ; implicit-def: $vgpr44_vgpr45
                                        ; implicit-def: $vgpr56_vgpr57
                                        ; implicit-def: $vgpr42_vgpr43
                                        ; implicit-def: $vgpr16_vgpr17
                                        ; implicit-def: $vgpr38_vgpr39
                                        ; implicit-def: $vgpr18_vgpr19
.LBB175_30:
	v_pk_mov_b32 v[40:41], 0, 0
	v_pk_mov_b32 v[54:55], v[40:41], v[40:41] op_sel:[0,1]
	v_pk_mov_b32 v[44:45], v[40:41], v[40:41] op_sel:[0,1]
	;; [unrolled: 1-line block ×7, first 2 shown]
	s_and_saveexec_b64 s[2:3], s[0:1]
	s_cbranch_execz .LBB175_40
; %bb.31:
	v_or_b32_e32 v0, 4, v30
	v_mov_b32_e32 v1, s17
	v_subrev_co_u32_e32 v0, vcc, s20, v0
	v_subb_co_u32_e32 v1, vcc, 0, v1, vcc
	v_add_co_u32_e32 v0, vcc, v0, v46
	v_addc_co_u32_e32 v1, vcc, v1, v47, vcc
	v_cmp_gt_i64_e32 vcc, v[0:1], v[34:35]
	v_cndmask_b32_e32 v1, v35, v1, vcc
	v_cndmask_b32_e32 v0, v34, v0, vcc
	v_mov_b32_e32 v4, s17
	v_sub_co_u32_e32 v5, vcc, s20, v30
	v_not_b32_e32 v3, v46
	v_subbrev_co_u32_e32 v4, vcc, 0, v4, vcc
	v_not_b32_e32 v2, v47
	v_add_co_u32_e32 v3, vcc, v5, v3
	v_addc_co_u32_e32 v2, vcc, v4, v2, vcc
	v_add_co_u32_e32 v46, vcc, v3, v0
	v_lshrrev_b32_e32 v0, 2, v46
	v_add_u32_e32 v0, 1, v0
	v_addc_co_u32_e32 v47, vcc, v2, v1, vcc
	v_and_b32_e32 v0, 3, v0
	v_pk_mov_b32 v[18:19], 0, 0
	v_cmp_ne_u32_e32 vcc, 0, v0
	s_mov_b64 s[10:11], 0
	v_pk_mov_b32 v[38:39], v[18:19], v[18:19] op_sel:[0,1]
	v_pk_mov_b32 v[16:17], v[18:19], v[18:19] op_sel:[0,1]
	;; [unrolled: 1-line block ×7, first 2 shown]
	s_and_saveexec_b64 s[8:9], vcc
	s_cbranch_execz .LBB175_35
; %bb.32:
	v_lshlrev_b64 v[2:3], 3, v[32:33]
	v_mov_b32_e32 v1, s13
	v_add_co_u32_e32 v50, vcc, s12, v2
	v_pk_mov_b32 v[40:41], 0, 0
	v_mov_b32_e32 v49, 0
	v_addc_co_u32_e32 v51, vcc, v1, v3, vcc
	v_lshlrev_b32_e32 v48, 3, v0
	s_movk_i32 s14, 0x200
	v_mov_b32_e32 v31, s17
	v_mov_b32_e32 v58, s5
	v_pk_mov_b32 v[54:55], v[40:41], v[40:41] op_sel:[0,1]
	v_pk_mov_b32 v[44:45], v[40:41], v[40:41] op_sel:[0,1]
	;; [unrolled: 1-line block ×7, first 2 shown]
.LBB175_33:                             ; =>This Inner Loop Header: Depth=1
	global_load_dwordx2 v[52:53], v[50:51], off
	global_load_dwordx4 v[12:15], v[36:37], off
	global_load_dwordx4 v[8:11], v[36:37], off offset:16
	global_load_dwordx4 v[4:7], v[36:37], off offset:32
	;; [unrolled: 1-line block ×7, first 2 shown]
	v_add_co_u32_e64 v32, s[0:1], 4, v32
	v_addc_co_u32_e64 v33, s[0:1], 0, v33, s[0:1]
	v_add_co_u32_e64 v50, s[0:1], 32, v50
	v_addc_co_u32_e64 v51, s[0:1], 0, v51, s[0:1]
	v_add_co_u32_e32 v36, vcc, s14, v36
	v_add_co_u32_e64 v48, s[0:1], -8, v48
	v_addc_co_u32_e64 v49, s[0:1], -1, v49, s[0:1]
	v_addc_co_u32_e32 v37, vcc, 0, v37, vcc
	v_cmp_eq_u64_e32 vcc, 0, v[48:49]
	s_or_b64 s[10:11], vcc, s[10:11]
	s_waitcnt vmcnt(8)
	v_subrev_co_u32_e32 v52, vcc, s20, v52
	v_subb_co_u32_e32 v53, vcc, v53, v31, vcc
	s_waitcnt vmcnt(5)
	v_cvt_f64_f32_e32 v[96:97], v4
	v_cvt_f64_f32_e32 v[98:99], v5
	v_lshlrev_b64 v[4:5], 6, v[52:53]
	v_add_co_u32_e32 v52, vcc, s4, v4
	v_addc_co_u32_e32 v53, vcc, v58, v5, vcc
	v_cvt_f64_f32_e32 v[80:81], v12
	v_cvt_f64_f32_e32 v[82:83], v13
	;; [unrolled: 1-line block ×10, first 2 shown]
	global_load_dwordx4 v[4:7], v[52:53], off
	global_load_dwordx4 v[8:11], v[52:53], off offset:16
	global_load_dwordx4 v[12:15], v[52:53], off offset:32
	;; [unrolled: 1-line block ×3, first 2 shown]
	s_waitcnt vmcnt(8)
	v_cvt_f64_f32_e32 v[104:105], v0
	v_cvt_f64_f32_e32 v[0:1], v1
	v_cvt_f64_f32_e32 v[106:107], v2
	v_cvt_f64_f32_e32 v[2:3], v3
	s_waitcnt vmcnt(7)
	v_cvt_f64_f32_e32 v[52:53], v60
	v_cvt_f64_f32_e32 v[60:61], v61
	v_cvt_f64_f32_e32 v[108:109], v62
	v_cvt_f64_f32_e32 v[62:63], v63
	;; [unrolled: 5-line block ×5, first 2 shown]
	s_waitcnt vmcnt(3)
	v_fmac_f64_e32 v[54:55], v[80:81], v[4:5]
	v_fmac_f64_e32 v[40:41], v[82:83], v[4:5]
	v_fmac_f64_e32 v[56:57], v[84:85], v[4:5]
	v_fmac_f64_e32 v[44:45], v[86:87], v[4:5]
	v_fmac_f64_e32 v[16:17], v[88:89], v[4:5]
	v_fmac_f64_e32 v[42:43], v[90:91], v[4:5]
	v_fmac_f64_e32 v[18:19], v[92:93], v[4:5]
	v_fmac_f64_e32 v[38:39], v[94:95], v[4:5]
	v_fma_f64 v[4:5], -v[82:83], v[6:7], v[54:55]
	v_fmac_f64_e32 v[40:41], v[80:81], v[6:7]
	v_fma_f64 v[54:55], -v[86:87], v[6:7], v[56:57]
	v_fmac_f64_e32 v[44:45], v[84:85], v[6:7]
	v_fma_f64 v[16:17], -v[90:91], v[6:7], v[16:17]
	v_fmac_f64_e32 v[42:43], v[88:89], v[6:7]
	v_fma_f64 v[18:19], -v[94:95], v[6:7], v[18:19]
	v_fmac_f64_e32 v[38:39], v[92:93], v[6:7]
	s_waitcnt vmcnt(2)
	v_fmac_f64_e32 v[4:5], v[96:97], v[8:9]
	v_fmac_f64_e32 v[40:41], v[98:99], v[8:9]
	v_fmac_f64_e32 v[54:55], v[100:101], v[8:9]
	v_fmac_f64_e32 v[44:45], v[102:103], v[8:9]
	v_fmac_f64_e32 v[16:17], v[104:105], v[8:9]
	v_fmac_f64_e32 v[42:43], v[0:1], v[8:9]
	v_fmac_f64_e32 v[18:19], v[106:107], v[8:9]
	v_fmac_f64_e32 v[38:39], v[2:3], v[8:9]
	v_fma_f64 v[4:5], -v[98:99], v[10:11], v[4:5]
	v_fmac_f64_e32 v[40:41], v[96:97], v[10:11]
	v_fma_f64 v[6:7], -v[102:103], v[10:11], v[54:55]
	v_fmac_f64_e32 v[44:45], v[100:101], v[10:11]
	v_fma_f64 v[0:1], -v[0:1], v[10:11], v[16:17]
	v_fmac_f64_e32 v[42:43], v[104:105], v[10:11]
	v_fma_f64 v[2:3], -v[2:3], v[10:11], v[18:19]
	v_fmac_f64_e32 v[38:39], v[106:107], v[10:11]
	;; [unrolled: 17-line block ×4, first 2 shown]
	s_andn2_b64 exec, exec, s[10:11]
	s_cbranch_execnz .LBB175_33
; %bb.34:
	s_or_b64 exec, exec, s[10:11]
.LBB175_35:
	s_or_b64 exec, exec, s[8:9]
	v_cmp_lt_u64_e32 vcc, 11, v[46:47]
	s_and_saveexec_b64 s[0:1], vcc
	s_cbranch_execz .LBB175_39
; %bb.36:
	v_lshlrev_b64 v[0:1], 3, v[32:33]
	v_mov_b32_e32 v2, s13
	v_add_co_u32_e32 v0, vcc, s12, v0
	v_addc_co_u32_e32 v1, vcc, v1, v2, vcc
	v_add_co_u32_e32 v12, vcc, 64, v0
	v_addc_co_u32_e32 v13, vcc, 0, v1, vcc
	s_mov_b64 s[8:9], 0
	v_mov_b32_e32 v31, s17
	v_mov_b32_e32 v48, s5
	s_movk_i32 s5, 0x800
.LBB175_37:                             ; =>This Inner Loop Header: Depth=1
	global_load_dwordx2 v[0:1], v[12:13], off offset:-64
	global_load_dwordx4 v[8:11], v[36:37], off offset:48
	global_load_dwordx4 v[50:53], v[36:37], off offset:32
	;; [unrolled: 1-line block ×3, first 2 shown]
	global_load_dwordx4 v[62:65], v[36:37], off
	s_waitcnt vmcnt(4)
	v_subrev_co_u32_e32 v0, vcc, s20, v0
	v_subb_co_u32_e32 v1, vcc, v1, v31, vcc
	v_lshlrev_b64 v[0:1], 6, v[0:1]
	s_waitcnt vmcnt(0)
	v_cvt_f64_f32_e32 v[14:15], v62
	v_add_co_u32_e32 v62, vcc, s4, v0
	v_cvt_f64_f32_e32 v[46:47], v63
	v_addc_co_u32_e32 v63, vcc, v48, v1, vcc
	global_load_dwordx4 v[0:3], v[62:63], off offset:48
	global_load_dwordx4 v[4:7], v[62:63], off offset:32
	;; [unrolled: 1-line block ×3, first 2 shown]
	global_load_dwordx4 v[70:73], v[62:63], off
	s_waitcnt vmcnt(0)
	v_fmac_f64_e32 v[54:55], v[14:15], v[70:71]
	v_fma_f64 v[54:55], -v[46:47], v[72:73], v[54:55]
	v_fmac_f64_e32 v[40:41], v[46:47], v[70:71]
	v_cvt_f64_f32_e32 v[46:47], v65
	v_fmac_f64_e32 v[40:41], v[14:15], v[72:73]
	v_cvt_f64_f32_e32 v[14:15], v64
	v_fmac_f64_e32 v[44:45], v[46:47], v[70:71]
	v_fmac_f64_e32 v[56:57], v[14:15], v[70:71]
	;; [unrolled: 1-line block ×3, first 2 shown]
	v_cvt_f64_f32_e32 v[14:15], v58
	v_fma_f64 v[56:57], -v[46:47], v[72:73], v[56:57]
	v_cvt_f64_f32_e32 v[46:47], v59
	v_fmac_f64_e32 v[16:17], v[14:15], v[70:71]
	v_fma_f64 v[16:17], -v[46:47], v[72:73], v[16:17]
	v_fmac_f64_e32 v[42:43], v[46:47], v[70:71]
	v_cvt_f64_f32_e32 v[46:47], v61
	v_fmac_f64_e32 v[42:43], v[14:15], v[72:73]
	v_cvt_f64_f32_e32 v[14:15], v60
	v_fmac_f64_e32 v[38:39], v[46:47], v[70:71]
	v_fmac_f64_e32 v[18:19], v[14:15], v[70:71]
	;; [unrolled: 1-line block ×3, first 2 shown]
	v_cvt_f64_f32_e32 v[14:15], v50
	v_fma_f64 v[18:19], -v[46:47], v[72:73], v[18:19]
	v_cvt_f64_f32_e32 v[46:47], v51
	v_fmac_f64_e32 v[54:55], v[14:15], v[66:67]
	v_fma_f64 v[58:59], -v[46:47], v[68:69], v[54:55]
	v_fmac_f64_e32 v[40:41], v[46:47], v[66:67]
	v_cvt_f64_f32_e32 v[46:47], v53
	v_fmac_f64_e32 v[40:41], v[14:15], v[68:69]
	v_cvt_f64_f32_e32 v[14:15], v52
	v_fmac_f64_e32 v[44:45], v[46:47], v[66:67]
	v_fmac_f64_e32 v[56:57], v[14:15], v[66:67]
	;; [unrolled: 1-line block ×3, first 2 shown]
	v_cvt_f64_f32_e32 v[14:15], v8
	v_cvt_f64_f32_e32 v[8:9], v9
	v_fmac_f64_e32 v[16:17], v[14:15], v[66:67]
	v_fma_f64 v[60:61], -v[46:47], v[68:69], v[56:57]
	v_fma_f64 v[46:47], -v[8:9], v[68:69], v[16:17]
	v_fmac_f64_e32 v[42:43], v[8:9], v[66:67]
	v_cvt_f64_f32_e32 v[8:9], v10
	v_cvt_f64_f32_e32 v[10:11], v11
	v_fmac_f64_e32 v[18:19], v[8:9], v[66:67]
	v_fmac_f64_e32 v[38:39], v[10:11], v[66:67]
	;; [unrolled: 1-line block ×3, first 2 shown]
	v_fma_f64 v[18:19], -v[10:11], v[68:69], v[18:19]
	v_fmac_f64_e32 v[38:39], v[8:9], v[68:69]
	global_load_dwordx4 v[8:11], v[36:37], off offset:112
	global_load_dwordx4 v[14:17], v[36:37], off offset:96
	;; [unrolled: 1-line block ×4, first 2 shown]
	s_waitcnt vmcnt(0)
	v_cvt_f64_f32_e32 v[62:63], v54
	v_cvt_f64_f32_e32 v[54:55], v55
	v_fmac_f64_e32 v[58:59], v[62:63], v[4:5]
	v_fma_f64 v[58:59], -v[54:55], v[6:7], v[58:59]
	v_fmac_f64_e32 v[40:41], v[54:55], v[4:5]
	v_cvt_f64_f32_e32 v[54:55], v56
	v_cvt_f64_f32_e32 v[56:57], v57
	v_fmac_f64_e32 v[44:45], v[56:57], v[4:5]
	v_fmac_f64_e32 v[60:61], v[54:55], v[4:5]
	;; [unrolled: 1-line block ×3, first 2 shown]
	v_cvt_f64_f32_e32 v[54:55], v50
	v_cvt_f64_f32_e32 v[50:51], v51
	v_fmac_f64_e32 v[46:47], v[54:55], v[4:5]
	v_fma_f64 v[46:47], -v[50:51], v[6:7], v[46:47]
	v_fmac_f64_e32 v[42:43], v[50:51], v[4:5]
	v_cvt_f64_f32_e32 v[50:51], v52
	v_cvt_f64_f32_e32 v[52:53], v53
	v_fmac_f64_e32 v[18:19], v[50:51], v[4:5]
	v_fmac_f64_e32 v[38:39], v[52:53], v[4:5]
	v_fmac_f64_e32 v[40:41], v[62:63], v[6:7]
	v_fma_f64 v[60:61], -v[56:57], v[6:7], v[60:61]
	v_fmac_f64_e32 v[42:43], v[54:55], v[6:7]
	v_fma_f64 v[18:19], -v[52:53], v[6:7], v[18:19]
	v_fmac_f64_e32 v[38:39], v[50:51], v[6:7]
	v_cvt_f64_f32_e32 v[4:5], v14
	v_cvt_f64_f32_e32 v[6:7], v15
	v_fmac_f64_e32 v[58:59], v[4:5], v[0:1]
	v_fmac_f64_e32 v[40:41], v[6:7], v[0:1]
	v_fma_f64 v[66:67], -v[6:7], v[2:3], v[58:59]
	v_fmac_f64_e32 v[40:41], v[4:5], v[2:3]
	v_cvt_f64_f32_e32 v[4:5], v16
	v_cvt_f64_f32_e32 v[6:7], v17
	v_fmac_f64_e32 v[60:61], v[4:5], v[0:1]
	v_fmac_f64_e32 v[44:45], v[6:7], v[0:1]
	v_fma_f64 v[68:69], -v[6:7], v[2:3], v[60:61]
	v_fmac_f64_e32 v[44:45], v[4:5], v[2:3]
	v_cvt_f64_f32_e32 v[4:5], v8
	v_cvt_f64_f32_e32 v[6:7], v9
	v_fmac_f64_e32 v[46:47], v[4:5], v[0:1]
	v_fmac_f64_e32 v[42:43], v[6:7], v[0:1]
	v_fma_f64 v[46:47], -v[6:7], v[2:3], v[46:47]
	v_fmac_f64_e32 v[42:43], v[4:5], v[2:3]
	v_cvt_f64_f32_e32 v[4:5], v10
	v_cvt_f64_f32_e32 v[6:7], v11
	v_fmac_f64_e32 v[18:19], v[4:5], v[0:1]
	v_fmac_f64_e32 v[38:39], v[6:7], v[0:1]
	global_load_dwordx2 v[0:1], v[12:13], off offset:-32
	v_fma_f64 v[18:19], -v[6:7], v[2:3], v[18:19]
	v_fmac_f64_e32 v[38:39], v[4:5], v[2:3]
	s_waitcnt vmcnt(0)
	v_subrev_co_u32_e32 v50, vcc, s20, v0
	v_subb_co_u32_e32 v51, vcc, v1, v31, vcc
	v_lshlrev_b64 v[50:51], 6, v[50:51]
	v_add_co_u32_e32 v72, vcc, s4, v50
	global_load_dwordx4 v[0:3], v[36:37], off offset:560
	global_load_dwordx4 v[4:7], v[36:37], off offset:544
	global_load_dwordx4 v[8:11], v[36:37], off offset:528
	global_load_dwordx4 v[14:17], v[36:37], off offset:512
	v_addc_co_u32_e32 v73, vcc, v48, v51, vcc
	global_load_dwordx4 v[50:53], v[72:73], off offset:48
	global_load_dwordx4 v[54:57], v[72:73], off offset:32
	;; [unrolled: 1-line block ×3, first 2 shown]
	global_load_dwordx4 v[62:65], v[72:73], off
	s_waitcnt vmcnt(4)
	v_cvt_f64_f32_e32 v[70:71], v14
	v_cvt_f64_f32_e32 v[14:15], v15
	s_waitcnt vmcnt(0)
	v_fmac_f64_e32 v[66:67], v[70:71], v[62:63]
	v_fma_f64 v[66:67], -v[14:15], v[64:65], v[66:67]
	v_fmac_f64_e32 v[40:41], v[14:15], v[62:63]
	v_cvt_f64_f32_e32 v[14:15], v16
	v_cvt_f64_f32_e32 v[16:17], v17
	v_fmac_f64_e32 v[44:45], v[16:17], v[62:63]
	v_fmac_f64_e32 v[68:69], v[14:15], v[62:63]
	v_fmac_f64_e32 v[44:45], v[14:15], v[64:65]
	v_cvt_f64_f32_e32 v[14:15], v8
	v_cvt_f64_f32_e32 v[8:9], v9
	v_fmac_f64_e32 v[46:47], v[14:15], v[62:63]
	v_fma_f64 v[68:69], -v[16:17], v[64:65], v[68:69]
	v_fma_f64 v[16:17], -v[8:9], v[64:65], v[46:47]
	v_fmac_f64_e32 v[42:43], v[8:9], v[62:63]
	v_cvt_f64_f32_e32 v[8:9], v10
	v_cvt_f64_f32_e32 v[10:11], v11
	v_fmac_f64_e32 v[38:39], v[10:11], v[62:63]
	v_fmac_f64_e32 v[18:19], v[8:9], v[62:63]
	;; [unrolled: 1-line block ×3, first 2 shown]
	v_cvt_f64_f32_e32 v[8:9], v4
	v_fmac_f64_e32 v[40:41], v[70:71], v[64:65]
	v_cvt_f64_f32_e32 v[4:5], v5
	v_fmac_f64_e32 v[66:67], v[8:9], v[58:59]
	v_fmac_f64_e32 v[42:43], v[14:15], v[64:65]
	v_fma_f64 v[14:15], -v[10:11], v[64:65], v[18:19]
	v_fma_f64 v[18:19], -v[4:5], v[60:61], v[66:67]
	v_fmac_f64_e32 v[40:41], v[4:5], v[58:59]
	v_cvt_f64_f32_e32 v[4:5], v6
	v_cvt_f64_f32_e32 v[6:7], v7
	v_fmac_f64_e32 v[44:45], v[6:7], v[58:59]
	v_fmac_f64_e32 v[68:69], v[4:5], v[58:59]
	;; [unrolled: 1-line block ×3, first 2 shown]
	v_cvt_f64_f32_e32 v[4:5], v0
	v_cvt_f64_f32_e32 v[0:1], v1
	v_fmac_f64_e32 v[16:17], v[4:5], v[58:59]
	v_fma_f64 v[62:63], -v[0:1], v[60:61], v[16:17]
	v_fmac_f64_e32 v[42:43], v[0:1], v[58:59]
	v_cvt_f64_f32_e32 v[0:1], v2
	v_cvt_f64_f32_e32 v[2:3], v3
	v_fmac_f64_e32 v[14:15], v[0:1], v[58:59]
	v_fmac_f64_e32 v[38:39], v[2:3], v[58:59]
	;; [unrolled: 1-line block ×3, first 2 shown]
	v_fma_f64 v[46:47], -v[6:7], v[60:61], v[68:69]
	v_fmac_f64_e32 v[42:43], v[4:5], v[60:61]
	v_fma_f64 v[64:65], -v[2:3], v[60:61], v[14:15]
	v_fmac_f64_e32 v[38:39], v[0:1], v[60:61]
	global_load_dwordx4 v[4:7], v[36:37], off offset:624
	global_load_dwordx4 v[0:3], v[36:37], off offset:608
	;; [unrolled: 1-line block ×4, first 2 shown]
	s_waitcnt vmcnt(0)
	v_cvt_f64_f32_e32 v[58:59], v14
	v_cvt_f64_f32_e32 v[14:15], v15
	v_fmac_f64_e32 v[18:19], v[58:59], v[54:55]
	v_fma_f64 v[18:19], -v[14:15], v[56:57], v[18:19]
	v_fmac_f64_e32 v[40:41], v[14:15], v[54:55]
	v_cvt_f64_f32_e32 v[14:15], v16
	v_cvt_f64_f32_e32 v[16:17], v17
	v_fmac_f64_e32 v[44:45], v[16:17], v[54:55]
	v_fmac_f64_e32 v[46:47], v[14:15], v[54:55]
	;; [unrolled: 1-line block ×3, first 2 shown]
	v_cvt_f64_f32_e32 v[14:15], v8
	v_cvt_f64_f32_e32 v[8:9], v9
	v_fmac_f64_e32 v[62:63], v[14:15], v[54:55]
	v_fma_f64 v[46:47], -v[16:17], v[56:57], v[46:47]
	v_fma_f64 v[16:17], -v[8:9], v[56:57], v[62:63]
	v_fmac_f64_e32 v[42:43], v[8:9], v[54:55]
	v_cvt_f64_f32_e32 v[8:9], v10
	v_cvt_f64_f32_e32 v[10:11], v11
	v_fmac_f64_e32 v[38:39], v[10:11], v[54:55]
	v_fmac_f64_e32 v[64:65], v[8:9], v[54:55]
	;; [unrolled: 1-line block ×3, first 2 shown]
	v_cvt_f64_f32_e32 v[8:9], v0
	v_fmac_f64_e32 v[40:41], v[58:59], v[56:57]
	v_fmac_f64_e32 v[42:43], v[14:15], v[56:57]
	v_fma_f64 v[14:15], -v[10:11], v[56:57], v[64:65]
	v_cvt_f64_f32_e32 v[10:11], v1
	v_fmac_f64_e32 v[18:19], v[8:9], v[50:51]
	v_fma_f64 v[0:1], -v[10:11], v[52:53], v[18:19]
	v_fmac_f64_e32 v[40:41], v[10:11], v[50:51]
	v_cvt_f64_f32_e32 v[10:11], v3
	v_fmac_f64_e32 v[40:41], v[8:9], v[52:53]
	v_cvt_f64_f32_e32 v[8:9], v2
	v_fmac_f64_e32 v[44:45], v[10:11], v[50:51]
	v_fmac_f64_e32 v[46:47], v[8:9], v[50:51]
	;; [unrolled: 1-line block ×3, first 2 shown]
	v_cvt_f64_f32_e32 v[8:9], v4
	v_fma_f64 v[2:3], -v[10:11], v[52:53], v[46:47]
	v_cvt_f64_f32_e32 v[10:11], v5
	v_fmac_f64_e32 v[16:17], v[8:9], v[50:51]
	v_fma_f64 v[4:5], -v[10:11], v[52:53], v[16:17]
	v_fmac_f64_e32 v[42:43], v[10:11], v[50:51]
	v_cvt_f64_f32_e32 v[10:11], v7
	v_fmac_f64_e32 v[42:43], v[8:9], v[52:53]
	v_cvt_f64_f32_e32 v[8:9], v6
	v_fmac_f64_e32 v[38:39], v[10:11], v[50:51]
	v_fmac_f64_e32 v[14:15], v[8:9], v[50:51]
	;; [unrolled: 1-line block ×3, first 2 shown]
	global_load_dwordx2 v[8:9], v[12:13], off
	v_fma_f64 v[6:7], -v[10:11], v[52:53], v[14:15]
	s_waitcnt vmcnt(0)
	v_subrev_co_u32_e32 v18, vcc, s20, v8
	v_subb_co_u32_e32 v19, vcc, v9, v31, vcc
	v_lshlrev_b64 v[18:19], 6, v[18:19]
	v_add_co_u32_e32 v18, vcc, s4, v18
	global_load_dwordx4 v[8:11], v[36:37], off offset:1072
	global_load_dwordx4 v[14:17], v[36:37], off offset:1056
	;; [unrolled: 1-line block ×4, first 2 shown]
	v_addc_co_u32_e32 v19, vcc, v48, v19, vcc
	global_load_dwordx4 v[58:61], v[18:19], off offset:48
	global_load_dwordx4 v[62:65], v[18:19], off offset:32
	;; [unrolled: 1-line block ×3, first 2 shown]
	global_load_dwordx4 v[70:73], v[18:19], off
	s_waitcnt vmcnt(4)
	v_cvt_f64_f32_e32 v[46:47], v54
	v_cvt_f64_f32_e32 v[54:55], v55
	;; [unrolled: 1-line block ×3, first 2 shown]
	s_waitcnt vmcnt(0)
	v_fmac_f64_e32 v[40:41], v[54:55], v[70:71]
	v_fmac_f64_e32 v[0:1], v[46:47], v[70:71]
	;; [unrolled: 1-line block ×3, first 2 shown]
	v_cvt_f64_f32_e32 v[46:47], v57
	v_fmac_f64_e32 v[44:45], v[46:47], v[70:71]
	v_fmac_f64_e32 v[2:3], v[18:19], v[70:71]
	;; [unrolled: 1-line block ×3, first 2 shown]
	v_cvt_f64_f32_e32 v[18:19], v50
	v_fma_f64 v[2:3], -v[46:47], v[72:73], v[2:3]
	v_cvt_f64_f32_e32 v[46:47], v51
	v_fmac_f64_e32 v[4:5], v[18:19], v[70:71]
	v_fma_f64 v[4:5], -v[46:47], v[72:73], v[4:5]
	v_fmac_f64_e32 v[42:43], v[46:47], v[70:71]
	v_cvt_f64_f32_e32 v[46:47], v53
	v_fmac_f64_e32 v[42:43], v[18:19], v[72:73]
	v_cvt_f64_f32_e32 v[18:19], v52
	v_fmac_f64_e32 v[38:39], v[46:47], v[70:71]
	v_fma_f64 v[0:1], -v[54:55], v[72:73], v[0:1]
	v_fmac_f64_e32 v[6:7], v[18:19], v[70:71]
	v_fmac_f64_e32 v[38:39], v[18:19], v[72:73]
	v_cvt_f64_f32_e32 v[18:19], v14
	v_cvt_f64_f32_e32 v[14:15], v15
	v_fmac_f64_e32 v[0:1], v[18:19], v[66:67]
	v_fma_f64 v[6:7], -v[46:47], v[72:73], v[6:7]
	v_fma_f64 v[46:47], -v[14:15], v[68:69], v[0:1]
	v_fmac_f64_e32 v[40:41], v[14:15], v[66:67]
	v_cvt_f64_f32_e32 v[0:1], v16
	v_cvt_f64_f32_e32 v[14:15], v17
	v_fmac_f64_e32 v[2:3], v[0:1], v[66:67]
	v_fmac_f64_e32 v[44:45], v[14:15], v[66:67]
	;; [unrolled: 1-line block ×3, first 2 shown]
	v_fma_f64 v[18:19], -v[14:15], v[68:69], v[2:3]
	v_fmac_f64_e32 v[44:45], v[0:1], v[68:69]
	v_cvt_f64_f32_e32 v[0:1], v8
	v_cvt_f64_f32_e32 v[2:3], v9
	v_fmac_f64_e32 v[4:5], v[0:1], v[66:67]
	v_fmac_f64_e32 v[42:43], v[2:3], v[66:67]
	v_fma_f64 v[50:51], -v[2:3], v[68:69], v[4:5]
	v_fmac_f64_e32 v[42:43], v[0:1], v[68:69]
	v_cvt_f64_f32_e32 v[0:1], v10
	v_cvt_f64_f32_e32 v[2:3], v11
	v_fmac_f64_e32 v[6:7], v[0:1], v[66:67]
	v_fmac_f64_e32 v[38:39], v[2:3], v[66:67]
	v_fma_f64 v[52:53], -v[2:3], v[68:69], v[6:7]
	v_fmac_f64_e32 v[38:39], v[0:1], v[68:69]
	global_load_dwordx4 v[0:3], v[36:37], off offset:1136
	global_load_dwordx4 v[4:7], v[36:37], off offset:1120
	;; [unrolled: 1-line block ×4, first 2 shown]
	s_waitcnt vmcnt(0)
	v_cvt_f64_f32_e32 v[54:55], v14
	v_cvt_f64_f32_e32 v[14:15], v15
	v_fmac_f64_e32 v[46:47], v[54:55], v[62:63]
	v_fma_f64 v[46:47], -v[14:15], v[64:65], v[46:47]
	v_fmac_f64_e32 v[40:41], v[14:15], v[62:63]
	v_cvt_f64_f32_e32 v[14:15], v16
	v_cvt_f64_f32_e32 v[16:17], v17
	v_fmac_f64_e32 v[44:45], v[16:17], v[62:63]
	v_fmac_f64_e32 v[18:19], v[14:15], v[62:63]
	;; [unrolled: 1-line block ×3, first 2 shown]
	v_cvt_f64_f32_e32 v[14:15], v8
	v_cvt_f64_f32_e32 v[8:9], v9
	v_fmac_f64_e32 v[50:51], v[14:15], v[62:63]
	v_fma_f64 v[18:19], -v[16:17], v[64:65], v[18:19]
	v_fma_f64 v[16:17], -v[8:9], v[64:65], v[50:51]
	v_fmac_f64_e32 v[42:43], v[8:9], v[62:63]
	v_cvt_f64_f32_e32 v[8:9], v10
	v_cvt_f64_f32_e32 v[10:11], v11
	v_fmac_f64_e32 v[38:39], v[10:11], v[62:63]
	v_fmac_f64_e32 v[52:53], v[8:9], v[62:63]
	;; [unrolled: 1-line block ×3, first 2 shown]
	v_cvt_f64_f32_e32 v[8:9], v4
	v_fmac_f64_e32 v[40:41], v[54:55], v[64:65]
	v_cvt_f64_f32_e32 v[4:5], v5
	v_fmac_f64_e32 v[46:47], v[8:9], v[58:59]
	v_fma_f64 v[46:47], -v[4:5], v[60:61], v[46:47]
	v_fmac_f64_e32 v[40:41], v[4:5], v[58:59]
	v_cvt_f64_f32_e32 v[4:5], v6
	v_cvt_f64_f32_e32 v[6:7], v7
	v_fmac_f64_e32 v[44:45], v[6:7], v[58:59]
	v_fmac_f64_e32 v[18:19], v[4:5], v[58:59]
	;; [unrolled: 1-line block ×3, first 2 shown]
	v_cvt_f64_f32_e32 v[4:5], v0
	v_fmac_f64_e32 v[42:43], v[14:15], v[64:65]
	v_cvt_f64_f32_e32 v[0:1], v1
	v_fmac_f64_e32 v[16:17], v[4:5], v[58:59]
	v_fma_f64 v[16:17], -v[0:1], v[60:61], v[16:17]
	v_fmac_f64_e32 v[42:43], v[0:1], v[58:59]
	v_cvt_f64_f32_e32 v[0:1], v2
	v_cvt_f64_f32_e32 v[2:3], v3
	v_fma_f64 v[14:15], -v[10:11], v[64:65], v[52:53]
	v_fmac_f64_e32 v[38:39], v[2:3], v[58:59]
	v_fmac_f64_e32 v[14:15], v[0:1], v[58:59]
	;; [unrolled: 1-line block ×3, first 2 shown]
	global_load_dwordx2 v[0:1], v[12:13], off offset:32
	v_fmac_f64_e32 v[40:41], v[8:9], v[60:61]
	v_fma_f64 v[18:19], -v[6:7], v[60:61], v[18:19]
	v_fmac_f64_e32 v[42:43], v[4:5], v[60:61]
	v_fma_f64 v[14:15], -v[2:3], v[60:61], v[14:15]
	global_load_dwordx4 v[8:11], v[36:37], off offset:1584
	global_load_dwordx4 v[50:53], v[36:37], off offset:1568
	;; [unrolled: 1-line block ×4, first 2 shown]
	s_waitcnt vmcnt(4)
	v_subrev_co_u32_e32 v0, vcc, s20, v0
	v_subb_co_u32_e32 v1, vcc, v1, v31, vcc
	v_lshlrev_b64 v[0:1], 6, v[0:1]
	v_add_co_u32_e32 v72, vcc, s4, v0
	v_addc_co_u32_e32 v73, vcc, v48, v1, vcc
	global_load_dwordx4 v[0:3], v[72:73], off offset:48
	global_load_dwordx4 v[4:7], v[72:73], off offset:32
	;; [unrolled: 1-line block ×3, first 2 shown]
	global_load_dwordx4 v[66:69], v[72:73], off
	s_waitcnt vmcnt(4)
	v_cvt_f64_f32_e32 v[70:71], v58
	v_cvt_f64_f32_e32 v[58:59], v59
	s_waitcnt vmcnt(0)
	v_fmac_f64_e32 v[46:47], v[70:71], v[66:67]
	v_fma_f64 v[46:47], -v[58:59], v[68:69], v[46:47]
	v_fmac_f64_e32 v[40:41], v[58:59], v[66:67]
	v_cvt_f64_f32_e32 v[58:59], v60
	v_cvt_f64_f32_e32 v[60:61], v61
	v_fmac_f64_e32 v[44:45], v[60:61], v[66:67]
	v_fmac_f64_e32 v[18:19], v[58:59], v[66:67]
	;; [unrolled: 1-line block ×3, first 2 shown]
	v_cvt_f64_f32_e32 v[58:59], v54
	v_cvt_f64_f32_e32 v[54:55], v55
	v_fmac_f64_e32 v[16:17], v[58:59], v[66:67]
	v_fma_f64 v[16:17], -v[54:55], v[68:69], v[16:17]
	v_fmac_f64_e32 v[42:43], v[54:55], v[66:67]
	v_cvt_f64_f32_e32 v[54:55], v56
	v_cvt_f64_f32_e32 v[56:57], v57
	v_fmac_f64_e32 v[38:39], v[56:57], v[66:67]
	v_fmac_f64_e32 v[14:15], v[54:55], v[66:67]
	;; [unrolled: 1-line block ×3, first 2 shown]
	v_cvt_f64_f32_e32 v[54:55], v50
	v_fmac_f64_e32 v[40:41], v[70:71], v[68:69]
	v_cvt_f64_f32_e32 v[50:51], v51
	v_fmac_f64_e32 v[46:47], v[54:55], v[62:63]
	v_fma_f64 v[46:47], -v[50:51], v[64:65], v[46:47]
	v_fmac_f64_e32 v[40:41], v[50:51], v[62:63]
	v_cvt_f64_f32_e32 v[50:51], v52
	v_cvt_f64_f32_e32 v[52:53], v53
	v_fma_f64 v[18:19], -v[60:61], v[68:69], v[18:19]
	v_fmac_f64_e32 v[44:45], v[52:53], v[62:63]
	v_fmac_f64_e32 v[18:19], v[50:51], v[62:63]
	;; [unrolled: 1-line block ×3, first 2 shown]
	v_cvt_f64_f32_e32 v[50:51], v8
	v_fmac_f64_e32 v[42:43], v[58:59], v[68:69]
	v_cvt_f64_f32_e32 v[8:9], v9
	v_fmac_f64_e32 v[16:17], v[50:51], v[62:63]
	v_fma_f64 v[14:15], -v[56:57], v[68:69], v[14:15]
	v_fma_f64 v[58:59], -v[8:9], v[64:65], v[16:17]
	v_fmac_f64_e32 v[42:43], v[8:9], v[62:63]
	v_cvt_f64_f32_e32 v[8:9], v10
	v_cvt_f64_f32_e32 v[10:11], v11
	v_fmac_f64_e32 v[14:15], v[8:9], v[62:63]
	v_fmac_f64_e32 v[38:39], v[10:11], v[62:63]
	;; [unrolled: 1-line block ×3, first 2 shown]
	v_fma_f64 v[18:19], -v[52:53], v[64:65], v[18:19]
	v_fmac_f64_e32 v[42:43], v[50:51], v[64:65]
	v_fma_f64 v[60:61], -v[10:11], v[64:65], v[14:15]
	v_fmac_f64_e32 v[38:39], v[8:9], v[64:65]
	global_load_dwordx4 v[8:11], v[36:37], off offset:1648
	global_load_dwordx4 v[14:17], v[36:37], off offset:1632
	global_load_dwordx4 v[50:53], v[36:37], off offset:1616
	global_load_dwordx4 v[54:57], v[36:37], off offset:1600
	v_add_co_u32_e32 v36, vcc, s5, v36
	v_addc_co_u32_e32 v37, vcc, 0, v37, vcc
	v_add_co_u32_e32 v32, vcc, 16, v32
	v_addc_co_u32_e32 v33, vcc, 0, v33, vcc
	;; [unrolled: 2-line block ×3, first 2 shown]
	v_cmp_ge_i64_e32 vcc, v[32:33], v[34:35]
	s_or_b64 s[8:9], vcc, s[8:9]
	s_waitcnt vmcnt(0)
	v_cvt_f64_f32_e32 v[62:63], v54
	v_cvt_f64_f32_e32 v[54:55], v55
	v_fmac_f64_e32 v[46:47], v[62:63], v[4:5]
	v_fma_f64 v[46:47], -v[54:55], v[6:7], v[46:47]
	v_fmac_f64_e32 v[40:41], v[54:55], v[4:5]
	v_cvt_f64_f32_e32 v[54:55], v56
	v_cvt_f64_f32_e32 v[56:57], v57
	v_fmac_f64_e32 v[44:45], v[56:57], v[4:5]
	v_fmac_f64_e32 v[18:19], v[54:55], v[4:5]
	;; [unrolled: 1-line block ×3, first 2 shown]
	v_cvt_f64_f32_e32 v[54:55], v50
	v_cvt_f64_f32_e32 v[50:51], v51
	v_fmac_f64_e32 v[58:59], v[54:55], v[4:5]
	v_fma_f64 v[58:59], -v[50:51], v[6:7], v[58:59]
	v_fmac_f64_e32 v[42:43], v[50:51], v[4:5]
	v_cvt_f64_f32_e32 v[50:51], v52
	v_cvt_f64_f32_e32 v[52:53], v53
	v_fmac_f64_e32 v[60:61], v[50:51], v[4:5]
	v_fmac_f64_e32 v[38:39], v[52:53], v[4:5]
	;; [unrolled: 1-line block ×3, first 2 shown]
	v_fma_f64 v[18:19], -v[56:57], v[6:7], v[18:19]
	v_fmac_f64_e32 v[42:43], v[54:55], v[6:7]
	v_fma_f64 v[60:61], -v[52:53], v[6:7], v[60:61]
	v_fmac_f64_e32 v[38:39], v[50:51], v[6:7]
	v_cvt_f64_f32_e32 v[4:5], v14
	v_cvt_f64_f32_e32 v[6:7], v15
	v_fmac_f64_e32 v[46:47], v[4:5], v[0:1]
	v_fmac_f64_e32 v[40:41], v[6:7], v[0:1]
	v_fma_f64 v[54:55], -v[6:7], v[2:3], v[46:47]
	v_fmac_f64_e32 v[40:41], v[4:5], v[2:3]
	v_cvt_f64_f32_e32 v[4:5], v16
	v_cvt_f64_f32_e32 v[6:7], v17
	v_fmac_f64_e32 v[18:19], v[4:5], v[0:1]
	;; [unrolled: 6-line block ×4, first 2 shown]
	v_fmac_f64_e32 v[38:39], v[6:7], v[0:1]
	v_fma_f64 v[18:19], -v[6:7], v[2:3], v[60:61]
	v_fmac_f64_e32 v[38:39], v[4:5], v[2:3]
	s_andn2_b64 exec, exec, s[8:9]
	s_cbranch_execnz .LBB175_37
; %bb.38:
	s_or_b64 exec, exec, s[8:9]
.LBB175_39:
	s_or_b64 exec, exec, s[0:1]
.LBB175_40:
	s_or_b64 exec, exec, s[2:3]
.LBB175_41:
	v_mov_b32_dpp v4, v40 row_shr:1 row_mask:0xf bank_mask:0xf
	v_mov_b32_dpp v5, v41 row_shr:1 row_mask:0xf bank_mask:0xf
	;; [unrolled: 1-line block ×6, first 2 shown]
	v_add_f64 v[4:5], v[40:41], v[4:5]
	v_mov_b32_dpp v8, v56 row_shr:1 row_mask:0xf bank_mask:0xf
	v_mov_b32_dpp v9, v57 row_shr:1 row_mask:0xf bank_mask:0xf
	;; [unrolled: 1-line block ×6, first 2 shown]
	v_add_f64 v[34:35], v[42:43], v[34:35]
	v_mov_b32_dpp v40, v18 row_shr:1 row_mask:0xf bank_mask:0xf
	v_mov_b32_dpp v41, v19 row_shr:1 row_mask:0xf bank_mask:0xf
	v_mov_b32_dpp v42, v38 row_shr:1 row_mask:0xf bank_mask:0xf
	v_mov_b32_dpp v43, v39 row_shr:1 row_mask:0xf bank_mask:0xf
	v_add_f64 v[0:1], v[54:55], v[0:1]
	v_add_f64 v[8:9], v[56:57], v[8:9]
	;; [unrolled: 1-line block ×6, first 2 shown]
	v_mov_b32_dpp v2, v0 row_shr:2 row_mask:0xf bank_mask:0xf
	v_mov_b32_dpp v3, v1 row_shr:2 row_mask:0xf bank_mask:0xf
	;; [unrolled: 1-line block ×16, first 2 shown]
	v_cmp_eq_u32_e32 vcc, 3, v30
	s_and_b64 exec, exec, vcc
	s_cbranch_execz .LBB175_12
; %bb.42:
	s_load_dwordx2 s[2:3], s[6:7], 0x68
	v_add_f64 v[30:31], v[0:1], v[2:3]
	v_add_f64 v[0:1], v[4:5], v[6:7]
	;; [unrolled: 1-line block ×8, first 2 shown]
	v_cmp_eq_f64_e32 vcc, 0, v[20:21]
	v_cmp_eq_f64_e64 s[0:1], 0, v[22:23]
	v_mul_f64 v[12:13], v[0:1], -v[26:27]
	v_mul_f64 v[14:15], v[24:25], v[0:1]
	v_mul_f64 v[8:9], v[2:3], -v[26:27]
	v_mul_f64 v[10:11], v[24:25], v[2:3]
	;; [unrolled: 2-line block ×4, first 2 shown]
	s_and_b64 s[0:1], vcc, s[0:1]
	v_fmac_f64_e32 v[12:13], v[24:25], v[30:31]
	v_fmac_f64_e32 v[14:15], v[26:27], v[30:31]
	v_lshlrev_b64 v[16:17], 6, v[28:29]
	v_fmac_f64_e32 v[8:9], v[24:25], v[44:45]
	v_fmac_f64_e32 v[10:11], v[26:27], v[44:45]
	;; [unrolled: 1-line block ×6, first 2 shown]
	s_and_saveexec_b64 s[4:5], s[0:1]
	s_xor_b64 s[0:1], exec, s[4:5]
	s_cbranch_execz .LBB175_44
; %bb.43:
	s_waitcnt lgkmcnt(0)
	v_mov_b32_e32 v18, s3
	v_add_co_u32_e32 v16, vcc, s2, v16
	v_addc_co_u32_e32 v17, vcc, v18, v17, vcc
	global_store_dwordx4 v[16:17], v[12:15], off
	global_store_dwordx4 v[16:17], v[8:11], off offset:16
	global_store_dwordx4 v[16:17], v[4:7], off offset:32
	;; [unrolled: 1-line block ×3, first 2 shown]
                                        ; implicit-def: $vgpr20_vgpr21
                                        ; implicit-def: $vgpr22_vgpr23
                                        ; implicit-def: $vgpr12_vgpr13
                                        ; implicit-def: $vgpr16_vgpr17
                                        ; implicit-def: $vgpr8_vgpr9
                                        ; implicit-def: $vgpr4_vgpr5
                                        ; implicit-def: $vgpr0_vgpr1
.LBB175_44:
	s_andn2_saveexec_b64 s[0:1], s[0:1]
	s_cbranch_execz .LBB175_12
; %bb.45:
	s_waitcnt lgkmcnt(0)
	v_mov_b32_e32 v18, s3
	v_add_co_u32_e32 v36, vcc, s2, v16
	v_addc_co_u32_e32 v37, vcc, v18, v17, vcc
	global_load_dwordx4 v[16:19], v[36:37], off
	global_load_dwordx4 v[24:27], v[36:37], off offset:16
	global_load_dwordx4 v[28:31], v[36:37], off offset:32
	;; [unrolled: 1-line block ×3, first 2 shown]
	s_waitcnt vmcnt(3)
	v_fmac_f64_e32 v[12:13], v[20:21], v[16:17]
	v_fmac_f64_e32 v[14:15], v[22:23], v[16:17]
	s_waitcnt vmcnt(2)
	v_fmac_f64_e32 v[8:9], v[20:21], v[24:25]
	v_fmac_f64_e32 v[10:11], v[22:23], v[24:25]
	;; [unrolled: 3-line block ×4, first 2 shown]
	v_fma_f64 v[12:13], -v[22:23], v[18:19], v[12:13]
	v_fmac_f64_e32 v[14:15], v[20:21], v[18:19]
	v_fma_f64 v[8:9], -v[22:23], v[26:27], v[8:9]
	v_fmac_f64_e32 v[10:11], v[20:21], v[26:27]
	;; [unrolled: 2-line block ×4, first 2 shown]
	global_store_dwordx4 v[36:37], v[12:15], off
	global_store_dwordx4 v[36:37], v[8:11], off offset:16
	global_store_dwordx4 v[36:37], v[4:7], off offset:32
	;; [unrolled: 1-line block ×3, first 2 shown]
	s_endpgm
	.section	.rodata,"a",@progbits
	.p2align	6, 0x0
	.amdhsa_kernel _ZN9rocsparseL18bsrxmvn_4x4_kernelILj128ELj4E21rocsparse_complex_numIdEllS1_IfES2_S2_EEvT3_20rocsparse_direction_NS_24const_host_device_scalarIT1_EES4_PKS4_PKT2_SD_SA_PKT4_PKT5_S8_PT6_21rocsparse_index_base_b
		.amdhsa_group_segment_fixed_size 2048
		.amdhsa_private_segment_fixed_size 0
		.amdhsa_kernarg_size 120
		.amdhsa_user_sgpr_count 8
		.amdhsa_user_sgpr_private_segment_buffer 1
		.amdhsa_user_sgpr_dispatch_ptr 1
		.amdhsa_user_sgpr_queue_ptr 0
		.amdhsa_user_sgpr_kernarg_segment_ptr 1
		.amdhsa_user_sgpr_dispatch_id 0
		.amdhsa_user_sgpr_flat_scratch_init 0
		.amdhsa_user_sgpr_kernarg_preload_length 0
		.amdhsa_user_sgpr_kernarg_preload_offset 0
		.amdhsa_user_sgpr_private_segment_size 0
		.amdhsa_uses_dynamic_stack 0
		.amdhsa_system_sgpr_private_segment_wavefront_offset 0
		.amdhsa_system_sgpr_workgroup_id_x 1
		.amdhsa_system_sgpr_workgroup_id_y 0
		.amdhsa_system_sgpr_workgroup_id_z 0
		.amdhsa_system_sgpr_workgroup_info 0
		.amdhsa_system_vgpr_workitem_id 2
		.amdhsa_next_free_vgpr 128
		.amdhsa_next_free_sgpr 22
		.amdhsa_accum_offset 128
		.amdhsa_reserve_vcc 1
		.amdhsa_reserve_flat_scratch 0
		.amdhsa_float_round_mode_32 0
		.amdhsa_float_round_mode_16_64 0
		.amdhsa_float_denorm_mode_32 3
		.amdhsa_float_denorm_mode_16_64 3
		.amdhsa_dx10_clamp 1
		.amdhsa_ieee_mode 1
		.amdhsa_fp16_overflow 0
		.amdhsa_tg_split 0
		.amdhsa_exception_fp_ieee_invalid_op 0
		.amdhsa_exception_fp_denorm_src 0
		.amdhsa_exception_fp_ieee_div_zero 0
		.amdhsa_exception_fp_ieee_overflow 0
		.amdhsa_exception_fp_ieee_underflow 0
		.amdhsa_exception_fp_ieee_inexact 0
		.amdhsa_exception_int_div_zero 0
	.end_amdhsa_kernel
	.section	.text._ZN9rocsparseL18bsrxmvn_4x4_kernelILj128ELj4E21rocsparse_complex_numIdEllS1_IfES2_S2_EEvT3_20rocsparse_direction_NS_24const_host_device_scalarIT1_EES4_PKS4_PKT2_SD_SA_PKT4_PKT5_S8_PT6_21rocsparse_index_base_b,"axG",@progbits,_ZN9rocsparseL18bsrxmvn_4x4_kernelILj128ELj4E21rocsparse_complex_numIdEllS1_IfES2_S2_EEvT3_20rocsparse_direction_NS_24const_host_device_scalarIT1_EES4_PKS4_PKT2_SD_SA_PKT4_PKT5_S8_PT6_21rocsparse_index_base_b,comdat
.Lfunc_end175:
	.size	_ZN9rocsparseL18bsrxmvn_4x4_kernelILj128ELj4E21rocsparse_complex_numIdEllS1_IfES2_S2_EEvT3_20rocsparse_direction_NS_24const_host_device_scalarIT1_EES4_PKS4_PKT2_SD_SA_PKT4_PKT5_S8_PT6_21rocsparse_index_base_b, .Lfunc_end175-_ZN9rocsparseL18bsrxmvn_4x4_kernelILj128ELj4E21rocsparse_complex_numIdEllS1_IfES2_S2_EEvT3_20rocsparse_direction_NS_24const_host_device_scalarIT1_EES4_PKS4_PKT2_SD_SA_PKT4_PKT5_S8_PT6_21rocsparse_index_base_b
                                        ; -- End function
	.section	.AMDGPU.csdata,"",@progbits
; Kernel info:
; codeLenInByte = 8540
; NumSgprs: 26
; NumVgprs: 128
; NumAgprs: 0
; TotalNumVgprs: 128
; ScratchSize: 0
; MemoryBound: 0
; FloatMode: 240
; IeeeMode: 1
; LDSByteSize: 2048 bytes/workgroup (compile time only)
; SGPRBlocks: 3
; VGPRBlocks: 15
; NumSGPRsForWavesPerEU: 26
; NumVGPRsForWavesPerEU: 128
; AccumOffset: 128
; Occupancy: 4
; WaveLimiterHint : 1
; COMPUTE_PGM_RSRC2:SCRATCH_EN: 0
; COMPUTE_PGM_RSRC2:USER_SGPR: 8
; COMPUTE_PGM_RSRC2:TRAP_HANDLER: 0
; COMPUTE_PGM_RSRC2:TGID_X_EN: 1
; COMPUTE_PGM_RSRC2:TGID_Y_EN: 0
; COMPUTE_PGM_RSRC2:TGID_Z_EN: 0
; COMPUTE_PGM_RSRC2:TIDIG_COMP_CNT: 2
; COMPUTE_PGM_RSRC3_GFX90A:ACCUM_OFFSET: 31
; COMPUTE_PGM_RSRC3_GFX90A:TG_SPLIT: 0
	.section	.text._ZN9rocsparseL18bsrxmvn_4x4_kernelILj128ELj8E21rocsparse_complex_numIdEllS1_IfES2_S2_EEvT3_20rocsparse_direction_NS_24const_host_device_scalarIT1_EES4_PKS4_PKT2_SD_SA_PKT4_PKT5_S8_PT6_21rocsparse_index_base_b,"axG",@progbits,_ZN9rocsparseL18bsrxmvn_4x4_kernelILj128ELj8E21rocsparse_complex_numIdEllS1_IfES2_S2_EEvT3_20rocsparse_direction_NS_24const_host_device_scalarIT1_EES4_PKS4_PKT2_SD_SA_PKT4_PKT5_S8_PT6_21rocsparse_index_base_b,comdat
	.globl	_ZN9rocsparseL18bsrxmvn_4x4_kernelILj128ELj8E21rocsparse_complex_numIdEllS1_IfES2_S2_EEvT3_20rocsparse_direction_NS_24const_host_device_scalarIT1_EES4_PKS4_PKT2_SD_SA_PKT4_PKT5_S8_PT6_21rocsparse_index_base_b ; -- Begin function _ZN9rocsparseL18bsrxmvn_4x4_kernelILj128ELj8E21rocsparse_complex_numIdEllS1_IfES2_S2_EEvT3_20rocsparse_direction_NS_24const_host_device_scalarIT1_EES4_PKS4_PKT2_SD_SA_PKT4_PKT5_S8_PT6_21rocsparse_index_base_b
	.p2align	8
	.type	_ZN9rocsparseL18bsrxmvn_4x4_kernelILj128ELj8E21rocsparse_complex_numIdEllS1_IfES2_S2_EEvT3_20rocsparse_direction_NS_24const_host_device_scalarIT1_EES4_PKS4_PKT2_SD_SA_PKT4_PKT5_S8_PT6_21rocsparse_index_base_b,@function
_ZN9rocsparseL18bsrxmvn_4x4_kernelILj128ELj8E21rocsparse_complex_numIdEllS1_IfES2_S2_EEvT3_20rocsparse_direction_NS_24const_host_device_scalarIT1_EES4_PKS4_PKT2_SD_SA_PKT4_PKT5_S8_PT6_21rocsparse_index_base_b: ; @_ZN9rocsparseL18bsrxmvn_4x4_kernelILj128ELj8E21rocsparse_complex_numIdEllS1_IfES2_S2_EEvT3_20rocsparse_direction_NS_24const_host_device_scalarIT1_EES4_PKS4_PKT2_SD_SA_PKT4_PKT5_S8_PT6_21rocsparse_index_base_b
; %bb.0:
	s_load_dwordx2 s[20:21], s[6:7], 0x70
	s_load_dwordx4 s[16:19], s[6:7], 0x10
	s_load_dwordx2 s[10:11], s[4:5], 0x4
	s_load_dwordx4 s[12:15], s[6:7], 0x58
	s_mov_b64 s[2:3], src_shared_base
	v_bfe_u32 v3, v0, 10, 10
	s_waitcnt lgkmcnt(0)
	s_bitcmp1_b32 s21, 0
	s_cselect_b64 s[0:1], -1, 0
	s_and_b64 vcc, s[0:1], exec
	s_cselect_b32 s2, s3, s17
	s_lshr_b32 s4, s10, 16
	v_and_b32_e32 v2, 0x3ff, v0
	s_mul_i32 s4, s4, s11
	v_mul_u32_u24_e32 v3, s11, v3
	v_mad_u32_u24 v3, s4, v2, v3
	v_bfe_u32 v0, v0, 20, 10
	v_add_lshl_u32 v0, v3, v0, 3
	v_mov_b32_e32 v1, s16
	v_add_u32_e32 v3, 0x400, v0
	v_pk_mov_b32 v[4:5], s[16:17], s[16:17] op_sel:[0,1]
	v_pk_mov_b32 v[6:7], s[12:13], s[12:13] op_sel:[0,1]
	ds_write2st64_b64 v0, v[6:7], v[4:5] offset1:2
	v_cndmask_b32_e64 v4, v1, v3, s[0:1]
	v_mov_b32_e32 v5, s2
	flat_load_dwordx2 v[24:25], v[4:5]
	s_xor_b64 s[4:5], s[0:1], -1
	v_pk_mov_b32 v[26:27], s[18:19], s[18:19] op_sel:[0,1]
	s_cbranch_vccnz .LBB176_2
; %bb.1:
	v_pk_mov_b32 v[4:5], s[16:17], s[16:17] op_sel:[0,1]
	flat_load_dwordx2 v[26:27], v[4:5] offset:8
.LBB176_2:
	s_and_b64 s[10:11], s[0:1], exec
	s_cselect_b32 s2, s3, s13
	v_mov_b32_e32 v1, s12
	v_cndmask_b32_e64 v0, v1, v0, s[0:1]
	v_mov_b32_e32 v1, s2
	flat_load_dwordx2 v[20:21], v[0:1]
	s_andn2_b64 vcc, exec, s[4:5]
	v_pk_mov_b32 v[22:23], s[14:15], s[14:15] op_sel:[0,1]
	s_cbranch_vccnz .LBB176_4
; %bb.3:
	v_pk_mov_b32 v[0:1], s[12:13], s[12:13] op_sel:[0,1]
	flat_load_dwordx2 v[22:23], v[0:1] offset:8
.LBB176_4:
	s_waitcnt vmcnt(0) lgkmcnt(0)
	v_cmp_eq_f64_e32 vcc, 0, v[24:25]
	v_cmp_eq_f64_e64 s[0:1], 0, v[26:27]
	s_and_b64 s[4:5], vcc, s[0:1]
	s_mov_b64 s[0:1], -1
	s_and_saveexec_b64 s[2:3], s[4:5]
; %bb.5:
	v_cmp_neq_f64_e32 vcc, 1.0, v[20:21]
	v_cmp_neq_f64_e64 s[0:1], 0, v[22:23]
	s_or_b64 s[0:1], vcc, s[0:1]
	s_orn2_b64 s[0:1], s[0:1], exec
; %bb.6:
	s_or_b64 exec, exec, s[2:3]
	s_and_saveexec_b64 s[2:3], s[0:1]
	s_cbranch_execz .LBB176_12
; %bb.7:
	s_load_dwordx2 s[2:3], s[6:7], 0x28
	v_lshrrev_b32_e32 v0, 3, v2
	v_lshl_or_b32 v0, s8, 4, v0
	v_mov_b32_e32 v1, 0
	s_mov_b64 s[0:1], 0
	s_waitcnt lgkmcnt(0)
	s_cmp_lg_u64 s[2:3], 0
	s_cbranch_scc0 .LBB176_13
; %bb.8:
	s_load_dwordx2 s[4:5], s[6:7], 0x20
                                        ; implicit-def: $vgpr28_vgpr29
	s_waitcnt lgkmcnt(0)
	v_cmp_gt_i64_e32 vcc, s[4:5], v[0:1]
	s_and_saveexec_b64 s[4:5], vcc
	s_xor_b64 s[4:5], exec, s[4:5]
                                        ; implicit-def: $sgpr16_sgpr17
	s_cbranch_execz .LBB176_10
; %bb.9:
	v_lshlrev_b64 v[4:5], 3, v[0:1]
	v_mov_b32_e32 v3, s3
	v_add_co_u32_e32 v4, vcc, s2, v4
	v_addc_co_u32_e32 v5, vcc, v3, v5, vcc
	global_load_dwordx2 v[4:5], v[4:5], off
	s_mov_b64 s[0:1], exec
	s_mov_b32 s17, 0
	s_waitcnt vmcnt(0)
	v_subrev_co_u32_e32 v28, vcc, s20, v4
	v_subbrev_co_u32_e32 v29, vcc, 0, v5, vcc
.LBB176_10:
	s_or_b64 exec, exec, s[4:5]
.LBB176_11:
	s_and_b64 exec, exec, s[0:1]
	s_cbranch_execnz .LBB176_17
.LBB176_12:
	s_endpgm
.LBB176_13:
                                        ; implicit-def: $vgpr28_vgpr29
                                        ; implicit-def: $sgpr16_sgpr17
	s_cbranch_execz .LBB176_11
; %bb.14:
	s_load_dwordx2 s[2:3], s[6:7], 0x0
                                        ; implicit-def: $vgpr28_vgpr29
	s_waitcnt lgkmcnt(0)
	v_cmp_gt_i64_e32 vcc, s[2:3], v[0:1]
	s_and_saveexec_b64 s[2:3], vcc
                                        ; implicit-def: $sgpr16_sgpr17
; %bb.15:
	s_mov_b32 s17, 0
	s_or_b64 s[0:1], s[0:1], exec
	v_pk_mov_b32 v[28:29], v[0:1], v[0:1] op_sel:[0,1]
; %bb.16:
	s_or_b64 exec, exec, s[2:3]
	s_and_b64 exec, exec, s[0:1]
	s_cbranch_execz .LBB176_12
.LBB176_17:
	s_load_dwordx8 s[8:15], s[6:7], 0x30
	v_lshlrev_b64 v[0:1], 3, v[28:29]
	v_and_b32_e32 v30, 7, v2
	v_mov_b32_e32 v2, s17
	s_waitcnt lgkmcnt(0)
	v_mov_b32_e32 v3, s9
	v_add_co_u32_e32 v4, vcc, s8, v0
	v_addc_co_u32_e32 v5, vcc, v3, v1, vcc
	v_add_co_u32_e32 v3, vcc, 8, v4
	global_load_dwordx2 v[46:47], v[4:5], off
	v_addc_co_u32_e32 v4, vcc, 0, v5, vcc
	v_mov_b32_e32 v5, s11
	v_add_co_u32_e32 v0, vcc, s10, v0
	s_cmp_eq_u64 s[10:11], 0
	v_addc_co_u32_e32 v1, vcc, v5, v1, vcc
	s_cselect_b64 vcc, -1, 0
	v_cndmask_b32_e32 v1, v1, v4, vcc
	v_cndmask_b32_e32 v0, v0, v3, vcc
	global_load_dwordx2 v[0:1], v[0:1], off
	s_load_dword s0, s[6:7], 0x8
	s_load_dwordx2 s[4:5], s[6:7], 0x50
	v_mov_b32_e32 v3, s15
	s_waitcnt lgkmcnt(0)
	s_cmp_eq_u32 s0, 1
	s_waitcnt vmcnt(1)
	v_subrev_co_u32_e32 v4, vcc, s20, v46
	v_subb_co_u32_e32 v5, vcc, v47, v2, vcc
	v_add_co_u32_e32 v32, vcc, v4, v30
	v_addc_co_u32_e32 v33, vcc, 0, v5, vcc
	s_waitcnt vmcnt(0)
	v_subrev_co_u32_e32 v34, vcc, s20, v0
	v_subb_co_u32_e32 v35, vcc, v1, v2, vcc
	v_lshlrev_b64 v[0:1], 7, v[32:33]
	v_add_co_u32_e32 v36, vcc, s14, v0
	v_addc_co_u32_e32 v37, vcc, v3, v1, vcc
	v_cmp_lt_i64_e64 s[0:1], v[32:33], v[34:35]
	s_cbranch_scc1 .LBB176_29
; %bb.18:
	v_pk_mov_b32 v[42:43], 0, 0
	s_mov_b64 s[8:9], 0
	v_pk_mov_b32 v[54:55], v[42:43], v[42:43] op_sel:[0,1]
	v_pk_mov_b32 v[44:45], v[42:43], v[42:43] op_sel:[0,1]
	v_pk_mov_b32 v[56:57], v[42:43], v[42:43] op_sel:[0,1]
	v_pk_mov_b32 v[40:41], v[42:43], v[42:43] op_sel:[0,1]
	v_pk_mov_b32 v[16:17], v[42:43], v[42:43] op_sel:[0,1]
	v_pk_mov_b32 v[38:39], v[42:43], v[42:43] op_sel:[0,1]
	v_pk_mov_b32 v[18:19], v[42:43], v[42:43] op_sel:[0,1]
	s_and_saveexec_b64 s[10:11], s[0:1]
	s_cbranch_execz .LBB176_28
; %bb.19:
	v_or_b32_e32 v0, 8, v30
	v_mov_b32_e32 v1, s17
	v_subrev_co_u32_e32 v0, vcc, s20, v0
	v_subb_co_u32_e32 v1, vcc, 0, v1, vcc
	v_add_co_u32_e32 v0, vcc, v0, v46
	v_addc_co_u32_e32 v1, vcc, v1, v47, vcc
	v_cmp_gt_i64_e32 vcc, v[0:1], v[34:35]
	v_cndmask_b32_e32 v1, v35, v1, vcc
	v_cndmask_b32_e32 v0, v34, v0, vcc
	v_mov_b32_e32 v4, s17
	v_sub_co_u32_e32 v5, vcc, s20, v30
	v_not_b32_e32 v3, v46
	v_subbrev_co_u32_e32 v4, vcc, 0, v4, vcc
	v_not_b32_e32 v2, v47
	v_add_co_u32_e32 v3, vcc, v5, v3
	v_addc_co_u32_e32 v2, vcc, v4, v2, vcc
	v_add_co_u32_e32 v8, vcc, v3, v0
	v_lshrrev_b32_e32 v0, 3, v8
	v_add_u32_e32 v0, 1, v0
	v_addc_co_u32_e32 v9, vcc, v2, v1, vcc
	v_and_b32_e32 v0, 3, v0
	v_pk_mov_b32 v[18:19], 0, 0
	v_cmp_ne_u32_e32 vcc, 0, v0
	s_mov_b64 s[18:19], 0
	v_pk_mov_b32 v[38:39], v[18:19], v[18:19] op_sel:[0,1]
	v_pk_mov_b32 v[16:17], v[18:19], v[18:19] op_sel:[0,1]
	;; [unrolled: 1-line block ×9, first 2 shown]
	s_and_saveexec_b64 s[14:15], vcc
	s_cbranch_execz .LBB176_23
; %bb.20:
	v_lshlrev_b64 v[2:3], 3, v[32:33]
	v_mov_b32_e32 v1, s13
	v_add_co_u32_e32 v12, vcc, s12, v2
	v_pk_mov_b32 v[42:43], 0, 0
	v_mov_b32_e32 v11, 0
	v_addc_co_u32_e32 v13, vcc, v1, v3, vcc
	v_lshlrev_b32_e32 v10, 3, v0
	s_movk_i32 s16, 0x400
	v_mov_b32_e32 v31, s17
	v_mov_b32_e32 v52, s5
	v_pk_mov_b32 v[50:51], v[32:33], v[32:33] op_sel:[0,1]
	v_pk_mov_b32 v[48:49], v[36:37], v[36:37] op_sel:[0,1]
	;; [unrolled: 1-line block ×9, first 2 shown]
.LBB176_21:                             ; =>This Inner Loop Header: Depth=1
	global_load_dwordx2 v[14:15], v[12:13], off
	global_load_dwordx4 v[4:7], v[48:49], off
	global_load_dwordx4 v[0:3], v[48:49], off offset:32
	global_load_dwordx4 v[58:61], v[48:49], off offset:64
	;; [unrolled: 1-line block ×7, first 2 shown]
	v_add_co_u32_e64 v50, s[2:3], 8, v50
	v_addc_co_u32_e64 v51, s[2:3], 0, v51, s[2:3]
	v_add_co_u32_e64 v12, s[2:3], 64, v12
	v_addc_co_u32_e64 v13, s[2:3], 0, v13, s[2:3]
	v_add_co_u32_e32 v48, vcc, s16, v48
	v_add_co_u32_e64 v10, s[2:3], -8, v10
	v_addc_co_u32_e64 v11, s[2:3], -1, v11, s[2:3]
	v_addc_co_u32_e32 v49, vcc, 0, v49, vcc
	v_cmp_eq_u64_e32 vcc, 0, v[10:11]
	s_or_b64 s[18:19], vcc, s[18:19]
	s_waitcnt vmcnt(8)
	v_subrev_co_u32_e32 v14, vcc, s20, v14
	v_subb_co_u32_e32 v15, vcc, v15, v31, vcc
	s_waitcnt vmcnt(7)
	v_cvt_f64_f32_e32 v[90:91], v4
	v_cvt_f64_f32_e32 v[92:93], v5
	v_lshlrev_b64 v[4:5], 6, v[14:15]
	v_add_co_u32_e32 v14, vcc, s4, v4
	v_addc_co_u32_e32 v15, vcc, v52, v5, vcc
	v_cvt_f64_f32_e32 v[94:95], v6
	v_cvt_f64_f32_e32 v[96:97], v7
	s_waitcnt vmcnt(3)
	v_cvt_f64_f32_e32 v[104:105], v66
	v_cvt_f64_f32_e32 v[106:107], v67
	;; [unrolled: 1-line block ×4, first 2 shown]
	global_load_dwordx4 v[4:7], v[14:15], off
	global_load_dwordx4 v[66:69], v[14:15], off offset:16
	global_load_dwordx4 v[82:85], v[14:15], off offset:32
	;; [unrolled: 1-line block ×3, first 2 shown]
	v_cvt_f64_f32_e32 v[98:99], v0
	v_cvt_f64_f32_e32 v[0:1], v1
	;; [unrolled: 1-line block ×12, first 2 shown]
	s_waitcnt vmcnt(6)
	v_cvt_f64_f32_e32 v[14:15], v70
	v_cvt_f64_f32_e32 v[70:71], v71
	s_waitcnt vmcnt(5)
	v_cvt_f64_f32_e32 v[120:121], v74
	v_cvt_f64_f32_e32 v[74:75], v75
	;; [unrolled: 3-line block ×3, first 2 shown]
	v_cvt_f64_f32_e32 v[114:115], v72
	v_cvt_f64_f32_e32 v[72:73], v73
	;; [unrolled: 1-line block ×6, first 2 shown]
	s_waitcnt vmcnt(3)
	v_fmac_f64_e32 v[54:55], v[90:91], v[4:5]
	v_fmac_f64_e32 v[42:43], v[92:93], v[4:5]
	v_fmac_f64_e32 v[56:57], v[98:99], v[4:5]
	v_fmac_f64_e32 v[44:45], v[0:1], v[4:5]
	v_fmac_f64_e32 v[16:17], v[100:101], v[4:5]
	v_fmac_f64_e32 v[40:41], v[58:59], v[4:5]
	v_fmac_f64_e32 v[18:19], v[102:103], v[4:5]
	v_fmac_f64_e32 v[38:39], v[62:63], v[4:5]
	v_fma_f64 v[4:5], -v[92:93], v[6:7], v[54:55]
	v_fmac_f64_e32 v[42:43], v[90:91], v[6:7]
	v_fma_f64 v[0:1], -v[0:1], v[6:7], v[56:57]
	v_fmac_f64_e32 v[44:45], v[98:99], v[6:7]
	v_fma_f64 v[16:17], -v[58:59], v[6:7], v[16:17]
	v_fmac_f64_e32 v[40:41], v[100:101], v[6:7]
	v_fma_f64 v[18:19], -v[62:63], v[6:7], v[18:19]
	v_fmac_f64_e32 v[38:39], v[102:103], v[6:7]
	s_waitcnt vmcnt(2)
	v_fmac_f64_e32 v[4:5], v[94:95], v[66:67]
	v_fmac_f64_e32 v[42:43], v[96:97], v[66:67]
	v_fmac_f64_e32 v[0:1], v[112:113], v[66:67]
	v_fmac_f64_e32 v[44:45], v[2:3], v[66:67]
	v_fmac_f64_e32 v[16:17], v[116:117], v[66:67]
	v_fmac_f64_e32 v[40:41], v[60:61], v[66:67]
	v_fmac_f64_e32 v[18:19], v[118:119], v[66:67]
	v_fmac_f64_e32 v[38:39], v[64:65], v[66:67]
	v_fma_f64 v[4:5], -v[96:97], v[68:69], v[4:5]
	v_fmac_f64_e32 v[42:43], v[94:95], v[68:69]
	v_fma_f64 v[0:1], -v[2:3], v[68:69], v[0:1]
	v_fmac_f64_e32 v[44:45], v[112:113], v[68:69]
	v_fma_f64 v[2:3], -v[60:61], v[68:69], v[16:17]
	v_fmac_f64_e32 v[40:41], v[116:117], v[68:69]
	v_fma_f64 v[6:7], -v[64:65], v[68:69], v[18:19]
	v_fmac_f64_e32 v[38:39], v[118:119], v[68:69]
	;; [unrolled: 17-line block ×4, first 2 shown]
	s_andn2_b64 exec, exec, s[18:19]
	s_cbranch_execnz .LBB176_21
; %bb.22:
	s_or_b64 exec, exec, s[18:19]
.LBB176_23:
	s_or_b64 exec, exec, s[14:15]
	v_cmp_lt_u64_e32 vcc, 23, v[8:9]
	s_and_saveexec_b64 s[2:3], vcc
	s_cbranch_execz .LBB176_27
; %bb.24:
	v_lshlrev_b64 v[0:1], 3, v[50:51]
	v_mov_b32_e32 v2, s13
	v_add_co_u32_e32 v0, vcc, s12, v0
	v_addc_co_u32_e32 v1, vcc, v1, v2, vcc
	v_add_co_u32_e32 v52, vcc, 0x80, v0
	v_addc_co_u32_e32 v53, vcc, 0, v1, vcc
	s_mov_b64 s[14:15], 0
	v_mov_b32_e32 v31, s17
	v_mov_b32_e32 v62, s5
	s_movk_i32 s16, 0x1000
.LBB176_25:                             ; =>This Inner Loop Header: Depth=1
	global_load_dwordx2 v[0:1], v[52:53], off offset:-128
	global_load_dwordx4 v[58:61], v[48:49], off offset:48
	global_load_dwordx4 v[64:67], v[48:49], off offset:32
	;; [unrolled: 1-line block ×3, first 2 shown]
	global_load_dwordx4 v[72:75], v[48:49], off
	s_waitcnt vmcnt(4)
	v_subrev_co_u32_e32 v0, vcc, s20, v0
	v_subb_co_u32_e32 v1, vcc, v1, v31, vcc
	v_lshlrev_b64 v[0:1], 6, v[0:1]
	v_add_co_u32_e32 v78, vcc, s4, v0
	v_addc_co_u32_e32 v79, vcc, v62, v1, vcc
	global_load_dwordx4 v[0:3], v[78:79], off offset:48
	global_load_dwordx4 v[4:7], v[78:79], off offset:32
	;; [unrolled: 1-line block ×3, first 2 shown]
	global_load_dwordx4 v[12:15], v[78:79], off
	s_waitcnt vmcnt(4)
	v_cvt_f64_f32_e32 v[76:77], v72
	v_cvt_f64_f32_e32 v[72:73], v73
	s_waitcnt vmcnt(0)
	v_fmac_f64_e32 v[54:55], v[76:77], v[12:13]
	v_fmac_f64_e32 v[42:43], v[72:73], v[12:13]
	v_fma_f64 v[54:55], -v[72:73], v[14:15], v[54:55]
	v_fmac_f64_e32 v[42:43], v[76:77], v[14:15]
	v_cvt_f64_f32_e32 v[72:73], v74
	v_cvt_f64_f32_e32 v[74:75], v75
	v_fmac_f64_e32 v[54:55], v[72:73], v[8:9]
	v_fmac_f64_e32 v[42:43], v[74:75], v[8:9]
	v_fma_f64 v[54:55], -v[74:75], v[10:11], v[54:55]
	v_fmac_f64_e32 v[42:43], v[72:73], v[10:11]
	v_cvt_f64_f32_e32 v[72:73], v68
	v_cvt_f64_f32_e32 v[68:69], v69
	;; [unrolled: 6-line block ×3, first 2 shown]
	v_fmac_f64_e32 v[42:43], v[70:71], v[0:1]
	v_fmac_f64_e32 v[54:55], v[68:69], v[0:1]
	;; [unrolled: 1-line block ×3, first 2 shown]
	v_cvt_f64_f32_e32 v[68:69], v64
	v_cvt_f64_f32_e32 v[64:65], v65
	v_fmac_f64_e32 v[56:57], v[68:69], v[12:13]
	v_fmac_f64_e32 v[44:45], v[64:65], v[12:13]
	v_fma_f64 v[56:57], -v[64:65], v[14:15], v[56:57]
	v_fmac_f64_e32 v[44:45], v[68:69], v[14:15]
	v_cvt_f64_f32_e32 v[64:65], v66
	v_cvt_f64_f32_e32 v[66:67], v67
	v_fmac_f64_e32 v[56:57], v[64:65], v[8:9]
	v_fmac_f64_e32 v[44:45], v[66:67], v[8:9]
	v_fma_f64 v[56:57], -v[66:67], v[10:11], v[56:57]
	v_fmac_f64_e32 v[44:45], v[64:65], v[10:11]
	;; [unrolled: 6-line block ×3, first 2 shown]
	v_cvt_f64_f32_e32 v[58:59], v60
	v_cvt_f64_f32_e32 v[60:61], v61
	v_fmac_f64_e32 v[56:57], v[58:59], v[0:1]
	v_fmac_f64_e32 v[44:45], v[60:61], v[0:1]
	v_fma_f64 v[54:55], -v[70:71], v[2:3], v[54:55]
	v_fma_f64 v[56:57], -v[60:61], v[2:3], v[56:57]
	v_fmac_f64_e32 v[44:45], v[58:59], v[2:3]
	global_load_dwordx4 v[58:61], v[48:49], off offset:112
	global_load_dwordx4 v[64:67], v[48:49], off offset:96
	;; [unrolled: 1-line block ×4, first 2 shown]
	s_waitcnt vmcnt(0)
	v_cvt_f64_f32_e32 v[76:77], v72
	v_cvt_f64_f32_e32 v[72:73], v73
	v_fmac_f64_e32 v[16:17], v[76:77], v[12:13]
	v_fmac_f64_e32 v[40:41], v[72:73], v[12:13]
	v_fma_f64 v[16:17], -v[72:73], v[14:15], v[16:17]
	v_fmac_f64_e32 v[40:41], v[76:77], v[14:15]
	v_cvt_f64_f32_e32 v[72:73], v74
	v_cvt_f64_f32_e32 v[74:75], v75
	v_fmac_f64_e32 v[16:17], v[72:73], v[8:9]
	v_fmac_f64_e32 v[40:41], v[74:75], v[8:9]
	v_fma_f64 v[16:17], -v[74:75], v[10:11], v[16:17]
	v_fmac_f64_e32 v[40:41], v[72:73], v[10:11]
	v_cvt_f64_f32_e32 v[72:73], v68
	v_cvt_f64_f32_e32 v[68:69], v69
	v_fmac_f64_e32 v[16:17], v[72:73], v[4:5]
	v_fma_f64 v[16:17], -v[68:69], v[6:7], v[16:17]
	v_fmac_f64_e32 v[40:41], v[68:69], v[4:5]
	v_cvt_f64_f32_e32 v[68:69], v70
	v_cvt_f64_f32_e32 v[70:71], v71
	v_fmac_f64_e32 v[16:17], v[68:69], v[0:1]
	v_fma_f64 v[76:77], -v[70:71], v[2:3], v[16:17]
	v_cvt_f64_f32_e32 v[16:17], v64
	v_cvt_f64_f32_e32 v[64:65], v65
	v_fmac_f64_e32 v[18:19], v[16:17], v[12:13]
	v_fmac_f64_e32 v[38:39], v[64:65], v[12:13]
	v_fma_f64 v[18:19], -v[64:65], v[14:15], v[18:19]
	v_fmac_f64_e32 v[38:39], v[16:17], v[14:15]
	v_cvt_f64_f32_e32 v[12:13], v66
	v_cvt_f64_f32_e32 v[14:15], v67
	v_fmac_f64_e32 v[18:19], v[12:13], v[8:9]
	v_fmac_f64_e32 v[38:39], v[14:15], v[8:9]
	v_fma_f64 v[16:17], -v[14:15], v[10:11], v[18:19]
	v_fmac_f64_e32 v[38:39], v[12:13], v[10:11]
	v_cvt_f64_f32_e32 v[8:9], v58
	v_cvt_f64_f32_e32 v[10:11], v59
	v_fmac_f64_e32 v[16:17], v[8:9], v[4:5]
	v_fmac_f64_e32 v[38:39], v[10:11], v[4:5]
	v_fmac_f64_e32 v[40:41], v[72:73], v[6:7]
	v_fma_f64 v[12:13], -v[10:11], v[6:7], v[16:17]
	v_fmac_f64_e32 v[38:39], v[8:9], v[6:7]
	v_cvt_f64_f32_e32 v[4:5], v60
	v_cvt_f64_f32_e32 v[6:7], v61
	v_fmac_f64_e32 v[40:41], v[70:71], v[0:1]
	v_fmac_f64_e32 v[12:13], v[4:5], v[0:1]
	;; [unrolled: 1-line block ×3, first 2 shown]
	global_load_dwordx2 v[0:1], v[52:53], off offset:-64
	v_fmac_f64_e32 v[40:41], v[68:69], v[2:3]
	v_fma_f64 v[18:19], -v[6:7], v[2:3], v[12:13]
	v_fmac_f64_e32 v[38:39], v[4:5], v[2:3]
	global_load_dwordx4 v[2:5], v[48:49], off offset:1072
	global_load_dwordx4 v[6:9], v[48:49], off offset:1056
	;; [unrolled: 1-line block ×4, first 2 shown]
	s_waitcnt vmcnt(4)
	v_subrev_co_u32_e32 v0, vcc, s20, v0
	v_subb_co_u32_e32 v1, vcc, v1, v31, vcc
	v_lshlrev_b64 v[0:1], 6, v[0:1]
	v_add_co_u32_e32 v0, vcc, s4, v0
	v_addc_co_u32_e32 v1, vcc, v62, v1, vcc
	global_load_dwordx4 v[58:61], v[0:1], off offset:48
	global_load_dwordx4 v[64:67], v[0:1], off offset:32
	;; [unrolled: 1-line block ×3, first 2 shown]
	global_load_dwordx4 v[72:75], v[0:1], off
	s_waitcnt vmcnt(4)
	v_cvt_f64_f32_e32 v[78:79], v14
	v_cvt_f64_f32_e32 v[14:15], v15
	s_waitcnt vmcnt(0)
	v_fmac_f64_e32 v[54:55], v[78:79], v[72:73]
	v_fmac_f64_e32 v[42:43], v[14:15], v[72:73]
	v_fma_f64 v[0:1], -v[14:15], v[74:75], v[54:55]
	v_fmac_f64_e32 v[42:43], v[78:79], v[74:75]
	v_cvt_f64_f32_e32 v[14:15], v16
	v_cvt_f64_f32_e32 v[16:17], v17
	v_fmac_f64_e32 v[0:1], v[14:15], v[68:69]
	v_fmac_f64_e32 v[42:43], v[16:17], v[68:69]
	v_fma_f64 v[0:1], -v[16:17], v[70:71], v[0:1]
	v_fmac_f64_e32 v[42:43], v[14:15], v[70:71]
	v_cvt_f64_f32_e32 v[14:15], v10
	v_cvt_f64_f32_e32 v[10:11], v11
	;; [unrolled: 6-line block ×3, first 2 shown]
	v_fmac_f64_e32 v[42:43], v[12:13], v[58:59]
	v_fmac_f64_e32 v[0:1], v[10:11], v[58:59]
	;; [unrolled: 1-line block ×3, first 2 shown]
	v_cvt_f64_f32_e32 v[10:11], v6
	v_cvt_f64_f32_e32 v[6:7], v7
	v_fmac_f64_e32 v[56:57], v[10:11], v[72:73]
	v_fmac_f64_e32 v[44:45], v[6:7], v[72:73]
	v_fma_f64 v[0:1], -v[12:13], v[60:61], v[0:1]
	v_fma_f64 v[12:13], -v[6:7], v[74:75], v[56:57]
	v_fmac_f64_e32 v[44:45], v[10:11], v[74:75]
	v_cvt_f64_f32_e32 v[6:7], v8
	v_cvt_f64_f32_e32 v[8:9], v9
	v_fmac_f64_e32 v[12:13], v[6:7], v[68:69]
	v_fmac_f64_e32 v[44:45], v[8:9], v[68:69]
	v_fma_f64 v[10:11], -v[8:9], v[70:71], v[12:13]
	v_fmac_f64_e32 v[44:45], v[6:7], v[70:71]
	v_cvt_f64_f32_e32 v[6:7], v2
	v_cvt_f64_f32_e32 v[2:3], v3
	v_fmac_f64_e32 v[10:11], v[6:7], v[64:65]
	v_fmac_f64_e32 v[44:45], v[2:3], v[64:65]
	;; [unrolled: 6-line block ×3, first 2 shown]
	v_fma_f64 v[2:3], -v[4:5], v[60:61], v[8:9]
	v_fmac_f64_e32 v[44:45], v[6:7], v[60:61]
	global_load_dwordx4 v[6:9], v[48:49], off offset:1136
	global_load_dwordx4 v[10:13], v[48:49], off offset:1120
	;; [unrolled: 1-line block ×4, first 2 shown]
	s_waitcnt vmcnt(0)
	v_cvt_f64_f32_e32 v[4:5], v54
	v_cvt_f64_f32_e32 v[54:55], v55
	v_fmac_f64_e32 v[76:77], v[4:5], v[72:73]
	v_fmac_f64_e32 v[40:41], v[54:55], v[72:73]
	v_fma_f64 v[76:77], -v[54:55], v[74:75], v[76:77]
	v_fmac_f64_e32 v[40:41], v[4:5], v[74:75]
	v_cvt_f64_f32_e32 v[4:5], v56
	v_cvt_f64_f32_e32 v[54:55], v57
	v_fmac_f64_e32 v[76:77], v[4:5], v[68:69]
	v_fmac_f64_e32 v[40:41], v[54:55], v[68:69]
	v_fma_f64 v[56:57], -v[54:55], v[70:71], v[76:77]
	v_fmac_f64_e32 v[40:41], v[4:5], v[70:71]
	;; [unrolled: 6-line block ×3, first 2 shown]
	v_cvt_f64_f32_e32 v[14:15], v16
	v_cvt_f64_f32_e32 v[16:17], v17
	v_fmac_f64_e32 v[40:41], v[16:17], v[58:59]
	v_fmac_f64_e32 v[54:55], v[14:15], v[58:59]
	;; [unrolled: 1-line block ×3, first 2 shown]
	v_cvt_f64_f32_e32 v[14:15], v10
	v_cvt_f64_f32_e32 v[10:11], v11
	v_fmac_f64_e32 v[18:19], v[14:15], v[72:73]
	v_fmac_f64_e32 v[38:39], v[10:11], v[72:73]
	v_fma_f64 v[4:5], -v[16:17], v[60:61], v[54:55]
	v_fma_f64 v[16:17], -v[10:11], v[74:75], v[18:19]
	v_fmac_f64_e32 v[38:39], v[14:15], v[74:75]
	v_cvt_f64_f32_e32 v[10:11], v12
	v_cvt_f64_f32_e32 v[12:13], v13
	v_fmac_f64_e32 v[16:17], v[10:11], v[68:69]
	v_fmac_f64_e32 v[38:39], v[12:13], v[68:69]
	v_fma_f64 v[14:15], -v[12:13], v[70:71], v[16:17]
	v_fmac_f64_e32 v[38:39], v[10:11], v[70:71]
	v_cvt_f64_f32_e32 v[10:11], v6
	v_cvt_f64_f32_e32 v[6:7], v7
	v_fmac_f64_e32 v[14:15], v[10:11], v[64:65]
	v_fmac_f64_e32 v[38:39], v[6:7], v[64:65]
	v_fma_f64 v[12:13], -v[6:7], v[66:67], v[14:15]
	v_fmac_f64_e32 v[38:39], v[10:11], v[66:67]
	v_cvt_f64_f32_e32 v[10:11], v8
	v_cvt_f64_f32_e32 v[8:9], v9
	v_fmac_f64_e32 v[12:13], v[10:11], v[58:59]
	v_fma_f64 v[6:7], -v[8:9], v[60:61], v[12:13]
	v_fmac_f64_e32 v[38:39], v[8:9], v[58:59]
	global_load_dwordx2 v[8:9], v[52:53], off
	v_fmac_f64_e32 v[38:39], v[10:11], v[60:61]
	s_waitcnt vmcnt(0)
	v_subrev_co_u32_e32 v58, vcc, s20, v8
	v_subb_co_u32_e32 v59, vcc, v9, v31, vcc
	v_lshlrev_b64 v[58:59], 6, v[58:59]
	v_add_co_u32_e32 v58, vcc, s4, v58
	global_load_dwordx4 v[8:11], v[48:49], off offset:2096
	global_load_dwordx4 v[12:15], v[48:49], off offset:2080
	;; [unrolled: 1-line block ×4, first 2 shown]
	v_addc_co_u32_e32 v59, vcc, v62, v59, vcc
	global_load_dwordx4 v[64:67], v[58:59], off offset:48
	global_load_dwordx4 v[68:71], v[58:59], off offset:32
	global_load_dwordx4 v[72:75], v[58:59], off offset:16
	global_load_dwordx4 v[76:79], v[58:59], off
	s_waitcnt vmcnt(4)
	v_cvt_f64_f32_e32 v[60:61], v54
	v_cvt_f64_f32_e32 v[54:55], v55
	s_waitcnt vmcnt(0)
	v_fmac_f64_e32 v[0:1], v[60:61], v[76:77]
	v_fmac_f64_e32 v[42:43], v[54:55], v[76:77]
	v_fma_f64 v[0:1], -v[54:55], v[78:79], v[0:1]
	v_fmac_f64_e32 v[42:43], v[60:61], v[78:79]
	v_cvt_f64_f32_e32 v[54:55], v56
	v_cvt_f64_f32_e32 v[56:57], v57
	v_fmac_f64_e32 v[0:1], v[54:55], v[72:73]
	v_fmac_f64_e32 v[42:43], v[56:57], v[72:73]
	v_fma_f64 v[0:1], -v[56:57], v[74:75], v[0:1]
	v_fmac_f64_e32 v[42:43], v[54:55], v[74:75]
	v_cvt_f64_f32_e32 v[54:55], v16
	v_cvt_f64_f32_e32 v[16:17], v17
	v_fmac_f64_e32 v[0:1], v[54:55], v[68:69]
	v_fma_f64 v[0:1], -v[16:17], v[70:71], v[0:1]
	v_fmac_f64_e32 v[42:43], v[16:17], v[68:69]
	v_cvt_f64_f32_e32 v[16:17], v18
	v_cvt_f64_f32_e32 v[18:19], v19
	v_fmac_f64_e32 v[0:1], v[16:17], v[64:65]
	v_fmac_f64_e32 v[42:43], v[54:55], v[70:71]
	v_fma_f64 v[54:55], -v[18:19], v[66:67], v[0:1]
	v_cvt_f64_f32_e32 v[0:1], v12
	v_cvt_f64_f32_e32 v[12:13], v13
	v_fmac_f64_e32 v[2:3], v[0:1], v[76:77]
	v_fmac_f64_e32 v[44:45], v[12:13], v[76:77]
	v_fma_f64 v[2:3], -v[12:13], v[78:79], v[2:3]
	v_fmac_f64_e32 v[44:45], v[0:1], v[78:79]
	v_cvt_f64_f32_e32 v[0:1], v14
	v_cvt_f64_f32_e32 v[12:13], v15
	v_fmac_f64_e32 v[2:3], v[0:1], v[72:73]
	v_fmac_f64_e32 v[44:45], v[12:13], v[72:73]
	v_fma_f64 v[2:3], -v[12:13], v[74:75], v[2:3]
	v_fmac_f64_e32 v[44:45], v[0:1], v[74:75]
	;; [unrolled: 6-line block ×3, first 2 shown]
	v_cvt_f64_f32_e32 v[0:1], v10
	v_cvt_f64_f32_e32 v[8:9], v11
	v_fmac_f64_e32 v[42:43], v[18:19], v[64:65]
	v_fmac_f64_e32 v[2:3], v[0:1], v[64:65]
	;; [unrolled: 1-line block ×4, first 2 shown]
	v_fma_f64 v[56:57], -v[8:9], v[66:67], v[2:3]
	v_fmac_f64_e32 v[44:45], v[0:1], v[66:67]
	global_load_dwordx4 v[0:3], v[48:49], off offset:2160
	global_load_dwordx4 v[8:11], v[48:49], off offset:2144
	;; [unrolled: 1-line block ×4, first 2 shown]
	s_waitcnt vmcnt(0)
	v_cvt_f64_f32_e32 v[58:59], v16
	v_cvt_f64_f32_e32 v[16:17], v17
	v_fmac_f64_e32 v[4:5], v[58:59], v[76:77]
	v_fmac_f64_e32 v[40:41], v[16:17], v[76:77]
	v_fma_f64 v[4:5], -v[16:17], v[78:79], v[4:5]
	v_fmac_f64_e32 v[40:41], v[58:59], v[78:79]
	v_cvt_f64_f32_e32 v[16:17], v18
	v_cvt_f64_f32_e32 v[18:19], v19
	v_fmac_f64_e32 v[4:5], v[16:17], v[72:73]
	v_fmac_f64_e32 v[40:41], v[18:19], v[72:73]
	v_fma_f64 v[4:5], -v[18:19], v[74:75], v[4:5]
	v_fmac_f64_e32 v[40:41], v[16:17], v[74:75]
	v_cvt_f64_f32_e32 v[16:17], v12
	v_cvt_f64_f32_e32 v[12:13], v13
	v_fmac_f64_e32 v[4:5], v[16:17], v[68:69]
	v_fma_f64 v[4:5], -v[12:13], v[70:71], v[4:5]
	v_fmac_f64_e32 v[40:41], v[12:13], v[68:69]
	v_cvt_f64_f32_e32 v[12:13], v14
	v_cvt_f64_f32_e32 v[14:15], v15
	v_fmac_f64_e32 v[4:5], v[12:13], v[64:65]
	v_fma_f64 v[60:61], -v[14:15], v[66:67], v[4:5]
	v_cvt_f64_f32_e32 v[4:5], v8
	v_cvt_f64_f32_e32 v[8:9], v9
	v_fmac_f64_e32 v[6:7], v[4:5], v[76:77]
	v_fmac_f64_e32 v[38:39], v[8:9], v[76:77]
	v_fma_f64 v[6:7], -v[8:9], v[78:79], v[6:7]
	v_fmac_f64_e32 v[38:39], v[4:5], v[78:79]
	v_cvt_f64_f32_e32 v[4:5], v10
	v_cvt_f64_f32_e32 v[8:9], v11
	v_fmac_f64_e32 v[6:7], v[4:5], v[72:73]
	v_fmac_f64_e32 v[38:39], v[8:9], v[72:73]
	v_fma_f64 v[6:7], -v[8:9], v[74:75], v[6:7]
	v_fmac_f64_e32 v[38:39], v[4:5], v[74:75]
	;; [unrolled: 6-line block ×3, first 2 shown]
	v_cvt_f64_f32_e32 v[0:1], v2
	v_cvt_f64_f32_e32 v[2:3], v3
	v_fmac_f64_e32 v[38:39], v[2:3], v[64:65]
	v_fmac_f64_e32 v[6:7], v[0:1], v[64:65]
	;; [unrolled: 1-line block ×3, first 2 shown]
	global_load_dwordx2 v[0:1], v[52:53], off offset:64
	v_fmac_f64_e32 v[40:41], v[16:17], v[70:71]
	v_fmac_f64_e32 v[40:41], v[14:15], v[64:65]
	;; [unrolled: 1-line block ×3, first 2 shown]
	v_fma_f64 v[58:59], -v[2:3], v[66:67], v[6:7]
	global_load_dwordx4 v[16:19], v[48:49], off offset:3120
	global_load_dwordx4 v[64:67], v[48:49], off offset:3104
	;; [unrolled: 1-line block ×4, first 2 shown]
	s_waitcnt vmcnt(4)
	v_subrev_co_u32_e32 v0, vcc, s20, v0
	v_subb_co_u32_e32 v1, vcc, v1, v31, vcc
	v_lshlrev_b64 v[0:1], 6, v[0:1]
	v_add_co_u32_e32 v78, vcc, s4, v0
	v_addc_co_u32_e32 v79, vcc, v62, v1, vcc
	global_load_dwordx4 v[0:3], v[78:79], off offset:48
	global_load_dwordx4 v[4:7], v[78:79], off offset:32
	;; [unrolled: 1-line block ×3, first 2 shown]
	global_load_dwordx4 v[12:15], v[78:79], off
	s_waitcnt vmcnt(4)
	v_cvt_f64_f32_e32 v[76:77], v72
	v_cvt_f64_f32_e32 v[72:73], v73
	s_waitcnt vmcnt(0)
	v_fmac_f64_e32 v[54:55], v[76:77], v[12:13]
	v_fmac_f64_e32 v[42:43], v[72:73], v[12:13]
	v_fma_f64 v[54:55], -v[72:73], v[14:15], v[54:55]
	v_fmac_f64_e32 v[42:43], v[76:77], v[14:15]
	v_cvt_f64_f32_e32 v[72:73], v74
	v_cvt_f64_f32_e32 v[74:75], v75
	v_fmac_f64_e32 v[54:55], v[72:73], v[8:9]
	v_fmac_f64_e32 v[42:43], v[74:75], v[8:9]
	v_fma_f64 v[54:55], -v[74:75], v[10:11], v[54:55]
	v_fmac_f64_e32 v[42:43], v[72:73], v[10:11]
	v_cvt_f64_f32_e32 v[72:73], v68
	v_cvt_f64_f32_e32 v[68:69], v69
	;; [unrolled: 6-line block ×3, first 2 shown]
	v_fmac_f64_e32 v[42:43], v[70:71], v[0:1]
	v_fmac_f64_e32 v[54:55], v[68:69], v[0:1]
	;; [unrolled: 1-line block ×3, first 2 shown]
	v_cvt_f64_f32_e32 v[68:69], v64
	v_cvt_f64_f32_e32 v[64:65], v65
	v_fmac_f64_e32 v[56:57], v[68:69], v[12:13]
	v_fmac_f64_e32 v[44:45], v[64:65], v[12:13]
	v_fma_f64 v[56:57], -v[64:65], v[14:15], v[56:57]
	v_fmac_f64_e32 v[44:45], v[68:69], v[14:15]
	v_cvt_f64_f32_e32 v[64:65], v66
	v_cvt_f64_f32_e32 v[66:67], v67
	v_fmac_f64_e32 v[56:57], v[64:65], v[8:9]
	v_fmac_f64_e32 v[44:45], v[66:67], v[8:9]
	v_fma_f64 v[56:57], -v[66:67], v[10:11], v[56:57]
	v_fmac_f64_e32 v[44:45], v[64:65], v[10:11]
	;; [unrolled: 6-line block ×3, first 2 shown]
	v_cvt_f64_f32_e32 v[16:17], v18
	v_cvt_f64_f32_e32 v[18:19], v19
	v_fmac_f64_e32 v[56:57], v[16:17], v[0:1]
	v_fmac_f64_e32 v[44:45], v[18:19], v[0:1]
	v_fma_f64 v[54:55], -v[70:71], v[2:3], v[54:55]
	v_fma_f64 v[56:57], -v[18:19], v[2:3], v[56:57]
	v_fmac_f64_e32 v[44:45], v[16:17], v[2:3]
	global_load_dwordx4 v[64:67], v[48:49], off offset:3184
	global_load_dwordx4 v[68:71], v[48:49], off offset:3168
	;; [unrolled: 1-line block ×4, first 2 shown]
	v_add_co_u32_e32 v48, vcc, s16, v48
	v_addc_co_u32_e32 v49, vcc, 0, v49, vcc
	v_add_co_u32_e32 v50, vcc, 32, v50
	v_addc_co_u32_e32 v51, vcc, 0, v51, vcc
	;; [unrolled: 2-line block ×3, first 2 shown]
	v_cmp_ge_i64_e32 vcc, v[50:51], v[34:35]
	s_or_b64 s[14:15], vcc, s[14:15]
	s_waitcnt vmcnt(0)
	v_cvt_f64_f32_e32 v[76:77], v72
	v_cvt_f64_f32_e32 v[72:73], v73
	v_fmac_f64_e32 v[60:61], v[76:77], v[12:13]
	v_fmac_f64_e32 v[40:41], v[72:73], v[12:13]
	v_fma_f64 v[60:61], -v[72:73], v[14:15], v[60:61]
	v_fmac_f64_e32 v[40:41], v[76:77], v[14:15]
	v_cvt_f64_f32_e32 v[72:73], v74
	v_cvt_f64_f32_e32 v[74:75], v75
	v_fmac_f64_e32 v[60:61], v[72:73], v[8:9]
	v_fmac_f64_e32 v[40:41], v[74:75], v[8:9]
	v_fma_f64 v[60:61], -v[74:75], v[10:11], v[60:61]
	v_fmac_f64_e32 v[40:41], v[72:73], v[10:11]
	;; [unrolled: 6-line block ×3, first 2 shown]
	v_cvt_f64_f32_e32 v[72:73], v18
	v_cvt_f64_f32_e32 v[18:19], v19
	v_fmac_f64_e32 v[60:61], v[72:73], v[0:1]
	v_fma_f64 v[16:17], -v[18:19], v[2:3], v[60:61]
	v_fmac_f64_e32 v[40:41], v[18:19], v[0:1]
	v_cvt_f64_f32_e32 v[18:19], v68
	v_cvt_f64_f32_e32 v[60:61], v69
	v_fmac_f64_e32 v[58:59], v[18:19], v[12:13]
	v_fmac_f64_e32 v[38:39], v[60:61], v[12:13]
	v_fma_f64 v[58:59], -v[60:61], v[14:15], v[58:59]
	v_fmac_f64_e32 v[38:39], v[18:19], v[14:15]
	v_cvt_f64_f32_e32 v[12:13], v70
	v_cvt_f64_f32_e32 v[14:15], v71
	v_fmac_f64_e32 v[58:59], v[12:13], v[8:9]
	;; [unrolled: 6-line block ×4, first 2 shown]
	v_fmac_f64_e32 v[38:39], v[6:7], v[0:1]
	v_fmac_f64_e32 v[40:41], v[72:73], v[2:3]
	v_fma_f64 v[18:19], -v[6:7], v[2:3], v[12:13]
	v_fmac_f64_e32 v[38:39], v[4:5], v[2:3]
	s_andn2_b64 exec, exec, s[14:15]
	s_cbranch_execnz .LBB176_25
; %bb.26:
	s_or_b64 exec, exec, s[14:15]
.LBB176_27:
	s_or_b64 exec, exec, s[2:3]
.LBB176_28:
	s_or_b64 exec, exec, s[10:11]
	s_andn2_b64 vcc, exec, s[8:9]
	s_cbranch_vccz .LBB176_30
	s_branch .LBB176_41
.LBB176_29:
                                        ; implicit-def: $vgpr42_vgpr43
                                        ; implicit-def: $vgpr54_vgpr55
                                        ; implicit-def: $vgpr44_vgpr45
                                        ; implicit-def: $vgpr56_vgpr57
                                        ; implicit-def: $vgpr40_vgpr41
                                        ; implicit-def: $vgpr16_vgpr17
                                        ; implicit-def: $vgpr38_vgpr39
                                        ; implicit-def: $vgpr18_vgpr19
.LBB176_30:
	v_pk_mov_b32 v[42:43], 0, 0
	v_pk_mov_b32 v[54:55], v[42:43], v[42:43] op_sel:[0,1]
	v_pk_mov_b32 v[44:45], v[42:43], v[42:43] op_sel:[0,1]
	;; [unrolled: 1-line block ×7, first 2 shown]
	s_and_saveexec_b64 s[2:3], s[0:1]
	s_cbranch_execz .LBB176_40
; %bb.31:
	v_or_b32_e32 v0, 8, v30
	v_mov_b32_e32 v1, s17
	v_subrev_co_u32_e32 v0, vcc, s20, v0
	v_subb_co_u32_e32 v1, vcc, 0, v1, vcc
	v_add_co_u32_e32 v0, vcc, v0, v46
	v_addc_co_u32_e32 v1, vcc, v1, v47, vcc
	v_cmp_gt_i64_e32 vcc, v[0:1], v[34:35]
	v_cndmask_b32_e32 v1, v35, v1, vcc
	v_cndmask_b32_e32 v0, v34, v0, vcc
	v_mov_b32_e32 v4, s17
	v_sub_co_u32_e32 v5, vcc, s20, v30
	v_not_b32_e32 v3, v46
	v_subbrev_co_u32_e32 v4, vcc, 0, v4, vcc
	v_not_b32_e32 v2, v47
	v_add_co_u32_e32 v3, vcc, v5, v3
	v_addc_co_u32_e32 v2, vcc, v4, v2, vcc
	v_add_co_u32_e32 v46, vcc, v3, v0
	v_lshrrev_b32_e32 v0, 3, v46
	v_add_u32_e32 v0, 1, v0
	v_addc_co_u32_e32 v47, vcc, v2, v1, vcc
	v_and_b32_e32 v0, 3, v0
	v_pk_mov_b32 v[18:19], 0, 0
	v_cmp_ne_u32_e32 vcc, 0, v0
	s_mov_b64 s[10:11], 0
	v_pk_mov_b32 v[38:39], v[18:19], v[18:19] op_sel:[0,1]
	v_pk_mov_b32 v[16:17], v[18:19], v[18:19] op_sel:[0,1]
	;; [unrolled: 1-line block ×7, first 2 shown]
	s_and_saveexec_b64 s[8:9], vcc
	s_cbranch_execz .LBB176_35
; %bb.32:
	v_lshlrev_b64 v[2:3], 3, v[32:33]
	v_mov_b32_e32 v1, s13
	v_add_co_u32_e32 v50, vcc, s12, v2
	v_pk_mov_b32 v[42:43], 0, 0
	v_mov_b32_e32 v49, 0
	v_addc_co_u32_e32 v51, vcc, v1, v3, vcc
	v_lshlrev_b32_e32 v48, 3, v0
	s_movk_i32 s14, 0x400
	v_mov_b32_e32 v31, s17
	v_mov_b32_e32 v58, s5
	v_pk_mov_b32 v[54:55], v[42:43], v[42:43] op_sel:[0,1]
	v_pk_mov_b32 v[44:45], v[42:43], v[42:43] op_sel:[0,1]
	;; [unrolled: 1-line block ×7, first 2 shown]
.LBB176_33:                             ; =>This Inner Loop Header: Depth=1
	global_load_dwordx2 v[52:53], v[50:51], off
	global_load_dwordx4 v[12:15], v[36:37], off
	global_load_dwordx4 v[8:11], v[36:37], off offset:16
	global_load_dwordx4 v[4:7], v[36:37], off offset:32
	;; [unrolled: 1-line block ×7, first 2 shown]
	v_add_co_u32_e64 v32, s[0:1], 8, v32
	v_addc_co_u32_e64 v33, s[0:1], 0, v33, s[0:1]
	v_add_co_u32_e64 v50, s[0:1], 64, v50
	v_addc_co_u32_e64 v51, s[0:1], 0, v51, s[0:1]
	v_add_co_u32_e32 v36, vcc, s14, v36
	v_add_co_u32_e64 v48, s[0:1], -8, v48
	v_addc_co_u32_e64 v49, s[0:1], -1, v49, s[0:1]
	v_addc_co_u32_e32 v37, vcc, 0, v37, vcc
	v_cmp_eq_u64_e32 vcc, 0, v[48:49]
	s_or_b64 s[10:11], vcc, s[10:11]
	s_waitcnt vmcnt(8)
	v_subrev_co_u32_e32 v52, vcc, s20, v52
	v_subb_co_u32_e32 v53, vcc, v53, v31, vcc
	s_waitcnt vmcnt(5)
	v_cvt_f64_f32_e32 v[96:97], v4
	v_cvt_f64_f32_e32 v[98:99], v5
	v_lshlrev_b64 v[4:5], 6, v[52:53]
	v_add_co_u32_e32 v52, vcc, s4, v4
	v_addc_co_u32_e32 v53, vcc, v58, v5, vcc
	v_cvt_f64_f32_e32 v[80:81], v12
	v_cvt_f64_f32_e32 v[82:83], v13
	;; [unrolled: 1-line block ×10, first 2 shown]
	global_load_dwordx4 v[4:7], v[52:53], off
	global_load_dwordx4 v[8:11], v[52:53], off offset:16
	global_load_dwordx4 v[12:15], v[52:53], off offset:32
	;; [unrolled: 1-line block ×3, first 2 shown]
	s_waitcnt vmcnt(8)
	v_cvt_f64_f32_e32 v[104:105], v0
	v_cvt_f64_f32_e32 v[0:1], v1
	v_cvt_f64_f32_e32 v[106:107], v2
	v_cvt_f64_f32_e32 v[2:3], v3
	s_waitcnt vmcnt(7)
	v_cvt_f64_f32_e32 v[52:53], v60
	v_cvt_f64_f32_e32 v[60:61], v61
	v_cvt_f64_f32_e32 v[108:109], v62
	v_cvt_f64_f32_e32 v[62:63], v63
	;; [unrolled: 5-line block ×5, first 2 shown]
	s_waitcnt vmcnt(3)
	v_fmac_f64_e32 v[54:55], v[80:81], v[4:5]
	v_fmac_f64_e32 v[42:43], v[82:83], v[4:5]
	v_fmac_f64_e32 v[56:57], v[84:85], v[4:5]
	v_fmac_f64_e32 v[44:45], v[86:87], v[4:5]
	v_fmac_f64_e32 v[16:17], v[88:89], v[4:5]
	v_fmac_f64_e32 v[40:41], v[90:91], v[4:5]
	v_fmac_f64_e32 v[18:19], v[92:93], v[4:5]
	v_fmac_f64_e32 v[38:39], v[94:95], v[4:5]
	v_fma_f64 v[4:5], -v[82:83], v[6:7], v[54:55]
	v_fmac_f64_e32 v[42:43], v[80:81], v[6:7]
	v_fma_f64 v[54:55], -v[86:87], v[6:7], v[56:57]
	v_fmac_f64_e32 v[44:45], v[84:85], v[6:7]
	v_fma_f64 v[16:17], -v[90:91], v[6:7], v[16:17]
	v_fmac_f64_e32 v[40:41], v[88:89], v[6:7]
	v_fma_f64 v[18:19], -v[94:95], v[6:7], v[18:19]
	v_fmac_f64_e32 v[38:39], v[92:93], v[6:7]
	s_waitcnt vmcnt(2)
	v_fmac_f64_e32 v[4:5], v[96:97], v[8:9]
	v_fmac_f64_e32 v[42:43], v[98:99], v[8:9]
	v_fmac_f64_e32 v[54:55], v[100:101], v[8:9]
	v_fmac_f64_e32 v[44:45], v[102:103], v[8:9]
	v_fmac_f64_e32 v[16:17], v[104:105], v[8:9]
	v_fmac_f64_e32 v[40:41], v[0:1], v[8:9]
	v_fmac_f64_e32 v[18:19], v[106:107], v[8:9]
	v_fmac_f64_e32 v[38:39], v[2:3], v[8:9]
	v_fma_f64 v[4:5], -v[98:99], v[10:11], v[4:5]
	v_fmac_f64_e32 v[42:43], v[96:97], v[10:11]
	v_fma_f64 v[6:7], -v[102:103], v[10:11], v[54:55]
	v_fmac_f64_e32 v[44:45], v[100:101], v[10:11]
	v_fma_f64 v[0:1], -v[0:1], v[10:11], v[16:17]
	v_fmac_f64_e32 v[40:41], v[104:105], v[10:11]
	v_fma_f64 v[2:3], -v[2:3], v[10:11], v[18:19]
	v_fmac_f64_e32 v[38:39], v[106:107], v[10:11]
	s_waitcnt vmcnt(1)
	v_fmac_f64_e32 v[4:5], v[52:53], v[12:13]
	v_fmac_f64_e32 v[42:43], v[60:61], v[12:13]
	v_fmac_f64_e32 v[6:7], v[108:109], v[12:13]
	v_fmac_f64_e32 v[44:45], v[62:63], v[12:13]
	v_fmac_f64_e32 v[0:1], v[110:111], v[12:13]
	v_fmac_f64_e32 v[40:41], v[64:65], v[12:13]
	v_fmac_f64_e32 v[2:3], v[112:113], v[12:13]
	v_fmac_f64_e32 v[38:39], v[66:67], v[12:13]
	v_fma_f64 v[4:5], -v[60:61], v[14:15], v[4:5]
	v_fmac_f64_e32 v[42:43], v[52:53], v[14:15]
	v_fma_f64 v[6:7], -v[62:63], v[14:15], v[6:7]
	v_fmac_f64_e32 v[44:45], v[108:109], v[14:15]
	v_fma_f64 v[0:1], -v[64:65], v[14:15], v[0:1]
	v_fmac_f64_e32 v[40:41], v[110:111], v[14:15]
	v_fma_f64 v[2:3], -v[66:67], v[14:15], v[2:3]
	v_fmac_f64_e32 v[38:39], v[112:113], v[14:15]
	s_waitcnt vmcnt(0)
	v_fmac_f64_e32 v[4:5], v[114:115], v[76:77]
	v_fmac_f64_e32 v[42:43], v[68:69], v[76:77]
	v_fmac_f64_e32 v[6:7], v[116:117], v[76:77]
	v_fmac_f64_e32 v[44:45], v[70:71], v[76:77]
	v_fmac_f64_e32 v[0:1], v[118:119], v[76:77]
	v_fmac_f64_e32 v[40:41], v[72:73], v[76:77]
	v_fmac_f64_e32 v[2:3], v[120:121], v[76:77]
	v_fmac_f64_e32 v[38:39], v[74:75], v[76:77]
	v_fma_f64 v[54:55], -v[68:69], v[78:79], v[4:5]
	v_fmac_f64_e32 v[42:43], v[114:115], v[78:79]
	v_fma_f64 v[56:57], -v[70:71], v[78:79], v[6:7]
	v_fmac_f64_e32 v[44:45], v[116:117], v[78:79]
	v_fma_f64 v[16:17], -v[72:73], v[78:79], v[0:1]
	v_fmac_f64_e32 v[40:41], v[118:119], v[78:79]
	v_fma_f64 v[18:19], -v[74:75], v[78:79], v[2:3]
	v_fmac_f64_e32 v[38:39], v[120:121], v[78:79]
	s_andn2_b64 exec, exec, s[10:11]
	s_cbranch_execnz .LBB176_33
; %bb.34:
	s_or_b64 exec, exec, s[10:11]
.LBB176_35:
	s_or_b64 exec, exec, s[8:9]
	v_cmp_lt_u64_e32 vcc, 23, v[46:47]
	s_and_saveexec_b64 s[0:1], vcc
	s_cbranch_execz .LBB176_39
; %bb.36:
	v_lshlrev_b64 v[0:1], 3, v[32:33]
	v_mov_b32_e32 v2, s13
	v_add_co_u32_e32 v0, vcc, s12, v0
	v_addc_co_u32_e32 v1, vcc, v1, v2, vcc
	v_add_co_u32_e32 v12, vcc, 0x80, v0
	v_addc_co_u32_e32 v13, vcc, 0, v1, vcc
	s_mov_b64 s[8:9], 0
	v_mov_b32_e32 v31, s17
	v_mov_b32_e32 v48, s5
	s_movk_i32 s5, 0x1000
.LBB176_37:                             ; =>This Inner Loop Header: Depth=1
	global_load_dwordx2 v[0:1], v[12:13], off offset:-128
	global_load_dwordx4 v[8:11], v[36:37], off offset:48
	global_load_dwordx4 v[50:53], v[36:37], off offset:32
	;; [unrolled: 1-line block ×3, first 2 shown]
	global_load_dwordx4 v[62:65], v[36:37], off
	s_waitcnt vmcnt(4)
	v_subrev_co_u32_e32 v0, vcc, s20, v0
	v_subb_co_u32_e32 v1, vcc, v1, v31, vcc
	v_lshlrev_b64 v[0:1], 6, v[0:1]
	s_waitcnt vmcnt(0)
	v_cvt_f64_f32_e32 v[14:15], v62
	v_add_co_u32_e32 v62, vcc, s4, v0
	v_cvt_f64_f32_e32 v[46:47], v63
	v_addc_co_u32_e32 v63, vcc, v48, v1, vcc
	global_load_dwordx4 v[0:3], v[62:63], off offset:48
	global_load_dwordx4 v[4:7], v[62:63], off offset:32
	;; [unrolled: 1-line block ×3, first 2 shown]
	global_load_dwordx4 v[70:73], v[62:63], off
	s_waitcnt vmcnt(0)
	v_fmac_f64_e32 v[54:55], v[14:15], v[70:71]
	v_fma_f64 v[54:55], -v[46:47], v[72:73], v[54:55]
	v_fmac_f64_e32 v[42:43], v[46:47], v[70:71]
	v_cvt_f64_f32_e32 v[46:47], v65
	v_fmac_f64_e32 v[42:43], v[14:15], v[72:73]
	v_cvt_f64_f32_e32 v[14:15], v64
	v_fmac_f64_e32 v[44:45], v[46:47], v[70:71]
	v_fmac_f64_e32 v[56:57], v[14:15], v[70:71]
	;; [unrolled: 1-line block ×3, first 2 shown]
	v_cvt_f64_f32_e32 v[14:15], v58
	v_fma_f64 v[56:57], -v[46:47], v[72:73], v[56:57]
	v_cvt_f64_f32_e32 v[46:47], v59
	v_fmac_f64_e32 v[16:17], v[14:15], v[70:71]
	v_fma_f64 v[16:17], -v[46:47], v[72:73], v[16:17]
	v_fmac_f64_e32 v[40:41], v[46:47], v[70:71]
	v_cvt_f64_f32_e32 v[46:47], v61
	v_fmac_f64_e32 v[40:41], v[14:15], v[72:73]
	v_cvt_f64_f32_e32 v[14:15], v60
	v_fmac_f64_e32 v[38:39], v[46:47], v[70:71]
	v_fmac_f64_e32 v[18:19], v[14:15], v[70:71]
	;; [unrolled: 1-line block ×3, first 2 shown]
	v_cvt_f64_f32_e32 v[14:15], v50
	v_fma_f64 v[18:19], -v[46:47], v[72:73], v[18:19]
	v_cvt_f64_f32_e32 v[46:47], v51
	v_fmac_f64_e32 v[54:55], v[14:15], v[66:67]
	v_fma_f64 v[58:59], -v[46:47], v[68:69], v[54:55]
	v_fmac_f64_e32 v[42:43], v[46:47], v[66:67]
	v_cvt_f64_f32_e32 v[46:47], v53
	v_fmac_f64_e32 v[42:43], v[14:15], v[68:69]
	v_cvt_f64_f32_e32 v[14:15], v52
	v_fmac_f64_e32 v[44:45], v[46:47], v[66:67]
	v_fmac_f64_e32 v[56:57], v[14:15], v[66:67]
	;; [unrolled: 1-line block ×3, first 2 shown]
	v_cvt_f64_f32_e32 v[14:15], v8
	v_cvt_f64_f32_e32 v[8:9], v9
	v_fmac_f64_e32 v[16:17], v[14:15], v[66:67]
	v_fma_f64 v[60:61], -v[46:47], v[68:69], v[56:57]
	v_fma_f64 v[46:47], -v[8:9], v[68:69], v[16:17]
	v_fmac_f64_e32 v[40:41], v[8:9], v[66:67]
	v_cvt_f64_f32_e32 v[8:9], v10
	v_cvt_f64_f32_e32 v[10:11], v11
	v_fmac_f64_e32 v[18:19], v[8:9], v[66:67]
	v_fmac_f64_e32 v[38:39], v[10:11], v[66:67]
	;; [unrolled: 1-line block ×3, first 2 shown]
	v_fma_f64 v[18:19], -v[10:11], v[68:69], v[18:19]
	v_fmac_f64_e32 v[38:39], v[8:9], v[68:69]
	global_load_dwordx4 v[8:11], v[36:37], off offset:112
	global_load_dwordx4 v[14:17], v[36:37], off offset:96
	;; [unrolled: 1-line block ×4, first 2 shown]
	s_waitcnt vmcnt(0)
	v_cvt_f64_f32_e32 v[62:63], v54
	v_cvt_f64_f32_e32 v[54:55], v55
	v_fmac_f64_e32 v[58:59], v[62:63], v[4:5]
	v_fma_f64 v[58:59], -v[54:55], v[6:7], v[58:59]
	v_fmac_f64_e32 v[42:43], v[54:55], v[4:5]
	v_cvt_f64_f32_e32 v[54:55], v56
	v_cvt_f64_f32_e32 v[56:57], v57
	v_fmac_f64_e32 v[44:45], v[56:57], v[4:5]
	v_fmac_f64_e32 v[60:61], v[54:55], v[4:5]
	;; [unrolled: 1-line block ×3, first 2 shown]
	v_cvt_f64_f32_e32 v[54:55], v50
	v_cvt_f64_f32_e32 v[50:51], v51
	v_fmac_f64_e32 v[46:47], v[54:55], v[4:5]
	v_fma_f64 v[46:47], -v[50:51], v[6:7], v[46:47]
	v_fmac_f64_e32 v[40:41], v[50:51], v[4:5]
	v_cvt_f64_f32_e32 v[50:51], v52
	v_cvt_f64_f32_e32 v[52:53], v53
	v_fmac_f64_e32 v[18:19], v[50:51], v[4:5]
	v_fmac_f64_e32 v[38:39], v[52:53], v[4:5]
	v_fmac_f64_e32 v[42:43], v[62:63], v[6:7]
	v_fma_f64 v[60:61], -v[56:57], v[6:7], v[60:61]
	v_fmac_f64_e32 v[40:41], v[54:55], v[6:7]
	v_fma_f64 v[18:19], -v[52:53], v[6:7], v[18:19]
	v_fmac_f64_e32 v[38:39], v[50:51], v[6:7]
	v_cvt_f64_f32_e32 v[4:5], v14
	v_cvt_f64_f32_e32 v[6:7], v15
	v_fmac_f64_e32 v[58:59], v[4:5], v[0:1]
	v_fmac_f64_e32 v[42:43], v[6:7], v[0:1]
	v_fma_f64 v[66:67], -v[6:7], v[2:3], v[58:59]
	v_fmac_f64_e32 v[42:43], v[4:5], v[2:3]
	v_cvt_f64_f32_e32 v[4:5], v16
	v_cvt_f64_f32_e32 v[6:7], v17
	v_fmac_f64_e32 v[60:61], v[4:5], v[0:1]
	;; [unrolled: 6-line block ×4, first 2 shown]
	v_fmac_f64_e32 v[38:39], v[6:7], v[0:1]
	global_load_dwordx2 v[0:1], v[12:13], off offset:-64
	v_fma_f64 v[18:19], -v[6:7], v[2:3], v[18:19]
	v_fmac_f64_e32 v[38:39], v[4:5], v[2:3]
	s_waitcnt vmcnt(0)
	v_subrev_co_u32_e32 v50, vcc, s20, v0
	v_subb_co_u32_e32 v51, vcc, v1, v31, vcc
	v_lshlrev_b64 v[50:51], 6, v[50:51]
	v_add_co_u32_e32 v72, vcc, s4, v50
	global_load_dwordx4 v[0:3], v[36:37], off offset:1072
	global_load_dwordx4 v[4:7], v[36:37], off offset:1056
	;; [unrolled: 1-line block ×4, first 2 shown]
	v_addc_co_u32_e32 v73, vcc, v48, v51, vcc
	global_load_dwordx4 v[50:53], v[72:73], off offset:48
	global_load_dwordx4 v[54:57], v[72:73], off offset:32
	;; [unrolled: 1-line block ×3, first 2 shown]
	global_load_dwordx4 v[62:65], v[72:73], off
	s_waitcnt vmcnt(4)
	v_cvt_f64_f32_e32 v[70:71], v14
	v_cvt_f64_f32_e32 v[14:15], v15
	s_waitcnt vmcnt(0)
	v_fmac_f64_e32 v[66:67], v[70:71], v[62:63]
	v_fma_f64 v[66:67], -v[14:15], v[64:65], v[66:67]
	v_fmac_f64_e32 v[42:43], v[14:15], v[62:63]
	v_cvt_f64_f32_e32 v[14:15], v16
	v_cvt_f64_f32_e32 v[16:17], v17
	v_fmac_f64_e32 v[44:45], v[16:17], v[62:63]
	v_fmac_f64_e32 v[68:69], v[14:15], v[62:63]
	;; [unrolled: 1-line block ×3, first 2 shown]
	v_cvt_f64_f32_e32 v[14:15], v8
	v_cvt_f64_f32_e32 v[8:9], v9
	v_fmac_f64_e32 v[46:47], v[14:15], v[62:63]
	v_fma_f64 v[68:69], -v[16:17], v[64:65], v[68:69]
	v_fma_f64 v[16:17], -v[8:9], v[64:65], v[46:47]
	v_fmac_f64_e32 v[40:41], v[8:9], v[62:63]
	v_cvt_f64_f32_e32 v[8:9], v10
	v_cvt_f64_f32_e32 v[10:11], v11
	v_fmac_f64_e32 v[38:39], v[10:11], v[62:63]
	v_fmac_f64_e32 v[18:19], v[8:9], v[62:63]
	;; [unrolled: 1-line block ×3, first 2 shown]
	v_cvt_f64_f32_e32 v[8:9], v4
	v_fmac_f64_e32 v[42:43], v[70:71], v[64:65]
	v_cvt_f64_f32_e32 v[4:5], v5
	v_fmac_f64_e32 v[66:67], v[8:9], v[58:59]
	v_fmac_f64_e32 v[40:41], v[14:15], v[64:65]
	v_fma_f64 v[14:15], -v[10:11], v[64:65], v[18:19]
	v_fma_f64 v[18:19], -v[4:5], v[60:61], v[66:67]
	v_fmac_f64_e32 v[42:43], v[4:5], v[58:59]
	v_cvt_f64_f32_e32 v[4:5], v6
	v_cvt_f64_f32_e32 v[6:7], v7
	v_fmac_f64_e32 v[44:45], v[6:7], v[58:59]
	v_fmac_f64_e32 v[68:69], v[4:5], v[58:59]
	;; [unrolled: 1-line block ×3, first 2 shown]
	v_cvt_f64_f32_e32 v[4:5], v0
	v_cvt_f64_f32_e32 v[0:1], v1
	v_fmac_f64_e32 v[16:17], v[4:5], v[58:59]
	v_fma_f64 v[62:63], -v[0:1], v[60:61], v[16:17]
	v_fmac_f64_e32 v[40:41], v[0:1], v[58:59]
	v_cvt_f64_f32_e32 v[0:1], v2
	v_cvt_f64_f32_e32 v[2:3], v3
	v_fmac_f64_e32 v[14:15], v[0:1], v[58:59]
	v_fmac_f64_e32 v[38:39], v[2:3], v[58:59]
	;; [unrolled: 1-line block ×3, first 2 shown]
	v_fma_f64 v[46:47], -v[6:7], v[60:61], v[68:69]
	v_fmac_f64_e32 v[40:41], v[4:5], v[60:61]
	v_fma_f64 v[64:65], -v[2:3], v[60:61], v[14:15]
	v_fmac_f64_e32 v[38:39], v[0:1], v[60:61]
	global_load_dwordx4 v[4:7], v[36:37], off offset:1136
	global_load_dwordx4 v[0:3], v[36:37], off offset:1120
	;; [unrolled: 1-line block ×4, first 2 shown]
	s_waitcnt vmcnt(0)
	v_cvt_f64_f32_e32 v[58:59], v14
	v_cvt_f64_f32_e32 v[14:15], v15
	v_fmac_f64_e32 v[18:19], v[58:59], v[54:55]
	v_fma_f64 v[18:19], -v[14:15], v[56:57], v[18:19]
	v_fmac_f64_e32 v[42:43], v[14:15], v[54:55]
	v_cvt_f64_f32_e32 v[14:15], v16
	v_cvt_f64_f32_e32 v[16:17], v17
	v_fmac_f64_e32 v[44:45], v[16:17], v[54:55]
	v_fmac_f64_e32 v[46:47], v[14:15], v[54:55]
	;; [unrolled: 1-line block ×3, first 2 shown]
	v_cvt_f64_f32_e32 v[14:15], v8
	v_cvt_f64_f32_e32 v[8:9], v9
	v_fmac_f64_e32 v[62:63], v[14:15], v[54:55]
	v_fma_f64 v[46:47], -v[16:17], v[56:57], v[46:47]
	v_fma_f64 v[16:17], -v[8:9], v[56:57], v[62:63]
	v_fmac_f64_e32 v[40:41], v[8:9], v[54:55]
	v_cvt_f64_f32_e32 v[8:9], v10
	v_cvt_f64_f32_e32 v[10:11], v11
	v_fmac_f64_e32 v[38:39], v[10:11], v[54:55]
	v_fmac_f64_e32 v[64:65], v[8:9], v[54:55]
	;; [unrolled: 1-line block ×3, first 2 shown]
	v_cvt_f64_f32_e32 v[8:9], v0
	v_fmac_f64_e32 v[42:43], v[58:59], v[56:57]
	v_fmac_f64_e32 v[40:41], v[14:15], v[56:57]
	v_fma_f64 v[14:15], -v[10:11], v[56:57], v[64:65]
	v_cvt_f64_f32_e32 v[10:11], v1
	v_fmac_f64_e32 v[18:19], v[8:9], v[50:51]
	v_fma_f64 v[0:1], -v[10:11], v[52:53], v[18:19]
	v_fmac_f64_e32 v[42:43], v[10:11], v[50:51]
	v_cvt_f64_f32_e32 v[10:11], v3
	v_fmac_f64_e32 v[42:43], v[8:9], v[52:53]
	v_cvt_f64_f32_e32 v[8:9], v2
	v_fmac_f64_e32 v[44:45], v[10:11], v[50:51]
	v_fmac_f64_e32 v[46:47], v[8:9], v[50:51]
	;; [unrolled: 1-line block ×3, first 2 shown]
	v_cvt_f64_f32_e32 v[8:9], v4
	v_fma_f64 v[2:3], -v[10:11], v[52:53], v[46:47]
	v_cvt_f64_f32_e32 v[10:11], v5
	v_fmac_f64_e32 v[16:17], v[8:9], v[50:51]
	v_fma_f64 v[4:5], -v[10:11], v[52:53], v[16:17]
	v_fmac_f64_e32 v[40:41], v[10:11], v[50:51]
	v_cvt_f64_f32_e32 v[10:11], v7
	v_fmac_f64_e32 v[40:41], v[8:9], v[52:53]
	v_cvt_f64_f32_e32 v[8:9], v6
	v_fmac_f64_e32 v[38:39], v[10:11], v[50:51]
	v_fmac_f64_e32 v[14:15], v[8:9], v[50:51]
	;; [unrolled: 1-line block ×3, first 2 shown]
	global_load_dwordx2 v[8:9], v[12:13], off
	v_fma_f64 v[6:7], -v[10:11], v[52:53], v[14:15]
	s_waitcnt vmcnt(0)
	v_subrev_co_u32_e32 v18, vcc, s20, v8
	v_subb_co_u32_e32 v19, vcc, v9, v31, vcc
	v_lshlrev_b64 v[18:19], 6, v[18:19]
	v_add_co_u32_e32 v18, vcc, s4, v18
	global_load_dwordx4 v[8:11], v[36:37], off offset:2096
	global_load_dwordx4 v[14:17], v[36:37], off offset:2080
	;; [unrolled: 1-line block ×4, first 2 shown]
	v_addc_co_u32_e32 v19, vcc, v48, v19, vcc
	global_load_dwordx4 v[58:61], v[18:19], off offset:48
	global_load_dwordx4 v[62:65], v[18:19], off offset:32
	;; [unrolled: 1-line block ×3, first 2 shown]
	global_load_dwordx4 v[70:73], v[18:19], off
	s_waitcnt vmcnt(4)
	v_cvt_f64_f32_e32 v[46:47], v54
	v_cvt_f64_f32_e32 v[54:55], v55
	;; [unrolled: 1-line block ×3, first 2 shown]
	s_waitcnt vmcnt(0)
	v_fmac_f64_e32 v[42:43], v[54:55], v[70:71]
	v_fmac_f64_e32 v[0:1], v[46:47], v[70:71]
	;; [unrolled: 1-line block ×3, first 2 shown]
	v_cvt_f64_f32_e32 v[46:47], v57
	v_fmac_f64_e32 v[44:45], v[46:47], v[70:71]
	v_fmac_f64_e32 v[2:3], v[18:19], v[70:71]
	;; [unrolled: 1-line block ×3, first 2 shown]
	v_cvt_f64_f32_e32 v[18:19], v50
	v_fma_f64 v[2:3], -v[46:47], v[72:73], v[2:3]
	v_cvt_f64_f32_e32 v[46:47], v51
	v_fmac_f64_e32 v[4:5], v[18:19], v[70:71]
	v_fma_f64 v[4:5], -v[46:47], v[72:73], v[4:5]
	v_fmac_f64_e32 v[40:41], v[46:47], v[70:71]
	v_cvt_f64_f32_e32 v[46:47], v53
	v_fmac_f64_e32 v[40:41], v[18:19], v[72:73]
	v_cvt_f64_f32_e32 v[18:19], v52
	v_fmac_f64_e32 v[38:39], v[46:47], v[70:71]
	v_fma_f64 v[0:1], -v[54:55], v[72:73], v[0:1]
	v_fmac_f64_e32 v[6:7], v[18:19], v[70:71]
	v_fmac_f64_e32 v[38:39], v[18:19], v[72:73]
	v_cvt_f64_f32_e32 v[18:19], v14
	v_cvt_f64_f32_e32 v[14:15], v15
	v_fmac_f64_e32 v[0:1], v[18:19], v[66:67]
	v_fma_f64 v[6:7], -v[46:47], v[72:73], v[6:7]
	v_fma_f64 v[46:47], -v[14:15], v[68:69], v[0:1]
	v_fmac_f64_e32 v[42:43], v[14:15], v[66:67]
	v_cvt_f64_f32_e32 v[0:1], v16
	v_cvt_f64_f32_e32 v[14:15], v17
	v_fmac_f64_e32 v[2:3], v[0:1], v[66:67]
	v_fmac_f64_e32 v[44:45], v[14:15], v[66:67]
	;; [unrolled: 1-line block ×3, first 2 shown]
	v_fma_f64 v[18:19], -v[14:15], v[68:69], v[2:3]
	v_fmac_f64_e32 v[44:45], v[0:1], v[68:69]
	v_cvt_f64_f32_e32 v[0:1], v8
	v_cvt_f64_f32_e32 v[2:3], v9
	v_fmac_f64_e32 v[4:5], v[0:1], v[66:67]
	v_fmac_f64_e32 v[40:41], v[2:3], v[66:67]
	v_fma_f64 v[50:51], -v[2:3], v[68:69], v[4:5]
	v_fmac_f64_e32 v[40:41], v[0:1], v[68:69]
	v_cvt_f64_f32_e32 v[0:1], v10
	v_cvt_f64_f32_e32 v[2:3], v11
	v_fmac_f64_e32 v[6:7], v[0:1], v[66:67]
	v_fmac_f64_e32 v[38:39], v[2:3], v[66:67]
	v_fma_f64 v[52:53], -v[2:3], v[68:69], v[6:7]
	v_fmac_f64_e32 v[38:39], v[0:1], v[68:69]
	global_load_dwordx4 v[0:3], v[36:37], off offset:2160
	global_load_dwordx4 v[4:7], v[36:37], off offset:2144
	;; [unrolled: 1-line block ×4, first 2 shown]
	s_waitcnt vmcnt(0)
	v_cvt_f64_f32_e32 v[54:55], v14
	v_cvt_f64_f32_e32 v[14:15], v15
	v_fmac_f64_e32 v[46:47], v[54:55], v[62:63]
	v_fma_f64 v[46:47], -v[14:15], v[64:65], v[46:47]
	v_fmac_f64_e32 v[42:43], v[14:15], v[62:63]
	v_cvt_f64_f32_e32 v[14:15], v16
	v_cvt_f64_f32_e32 v[16:17], v17
	v_fmac_f64_e32 v[44:45], v[16:17], v[62:63]
	v_fmac_f64_e32 v[18:19], v[14:15], v[62:63]
	;; [unrolled: 1-line block ×3, first 2 shown]
	v_cvt_f64_f32_e32 v[14:15], v8
	v_cvt_f64_f32_e32 v[8:9], v9
	v_fmac_f64_e32 v[50:51], v[14:15], v[62:63]
	v_fma_f64 v[18:19], -v[16:17], v[64:65], v[18:19]
	v_fma_f64 v[16:17], -v[8:9], v[64:65], v[50:51]
	v_fmac_f64_e32 v[40:41], v[8:9], v[62:63]
	v_cvt_f64_f32_e32 v[8:9], v10
	v_cvt_f64_f32_e32 v[10:11], v11
	v_fmac_f64_e32 v[38:39], v[10:11], v[62:63]
	v_fmac_f64_e32 v[52:53], v[8:9], v[62:63]
	;; [unrolled: 1-line block ×3, first 2 shown]
	v_cvt_f64_f32_e32 v[8:9], v4
	v_fmac_f64_e32 v[42:43], v[54:55], v[64:65]
	v_cvt_f64_f32_e32 v[4:5], v5
	v_fmac_f64_e32 v[46:47], v[8:9], v[58:59]
	v_fma_f64 v[46:47], -v[4:5], v[60:61], v[46:47]
	v_fmac_f64_e32 v[42:43], v[4:5], v[58:59]
	v_cvt_f64_f32_e32 v[4:5], v6
	v_cvt_f64_f32_e32 v[6:7], v7
	v_fmac_f64_e32 v[44:45], v[6:7], v[58:59]
	v_fmac_f64_e32 v[18:19], v[4:5], v[58:59]
	;; [unrolled: 1-line block ×3, first 2 shown]
	v_cvt_f64_f32_e32 v[4:5], v0
	v_fmac_f64_e32 v[40:41], v[14:15], v[64:65]
	v_cvt_f64_f32_e32 v[0:1], v1
	v_fmac_f64_e32 v[16:17], v[4:5], v[58:59]
	v_fma_f64 v[16:17], -v[0:1], v[60:61], v[16:17]
	v_fmac_f64_e32 v[40:41], v[0:1], v[58:59]
	v_cvt_f64_f32_e32 v[0:1], v2
	v_cvt_f64_f32_e32 v[2:3], v3
	v_fma_f64 v[14:15], -v[10:11], v[64:65], v[52:53]
	v_fmac_f64_e32 v[38:39], v[2:3], v[58:59]
	v_fmac_f64_e32 v[14:15], v[0:1], v[58:59]
	;; [unrolled: 1-line block ×3, first 2 shown]
	global_load_dwordx2 v[0:1], v[12:13], off offset:64
	v_fmac_f64_e32 v[42:43], v[8:9], v[60:61]
	v_fma_f64 v[18:19], -v[6:7], v[60:61], v[18:19]
	v_fmac_f64_e32 v[40:41], v[4:5], v[60:61]
	v_fma_f64 v[14:15], -v[2:3], v[60:61], v[14:15]
	global_load_dwordx4 v[8:11], v[36:37], off offset:3120
	global_load_dwordx4 v[50:53], v[36:37], off offset:3104
	;; [unrolled: 1-line block ×4, first 2 shown]
	s_waitcnt vmcnt(4)
	v_subrev_co_u32_e32 v0, vcc, s20, v0
	v_subb_co_u32_e32 v1, vcc, v1, v31, vcc
	v_lshlrev_b64 v[0:1], 6, v[0:1]
	v_add_co_u32_e32 v72, vcc, s4, v0
	v_addc_co_u32_e32 v73, vcc, v48, v1, vcc
	global_load_dwordx4 v[0:3], v[72:73], off offset:48
	global_load_dwordx4 v[4:7], v[72:73], off offset:32
	global_load_dwordx4 v[62:65], v[72:73], off offset:16
	global_load_dwordx4 v[66:69], v[72:73], off
	s_waitcnt vmcnt(4)
	v_cvt_f64_f32_e32 v[70:71], v58
	v_cvt_f64_f32_e32 v[58:59], v59
	s_waitcnt vmcnt(0)
	v_fmac_f64_e32 v[46:47], v[70:71], v[66:67]
	v_fma_f64 v[46:47], -v[58:59], v[68:69], v[46:47]
	v_fmac_f64_e32 v[42:43], v[58:59], v[66:67]
	v_cvt_f64_f32_e32 v[58:59], v60
	v_cvt_f64_f32_e32 v[60:61], v61
	v_fmac_f64_e32 v[44:45], v[60:61], v[66:67]
	v_fmac_f64_e32 v[18:19], v[58:59], v[66:67]
	;; [unrolled: 1-line block ×3, first 2 shown]
	v_cvt_f64_f32_e32 v[58:59], v54
	v_cvt_f64_f32_e32 v[54:55], v55
	v_fmac_f64_e32 v[16:17], v[58:59], v[66:67]
	v_fma_f64 v[16:17], -v[54:55], v[68:69], v[16:17]
	v_fmac_f64_e32 v[40:41], v[54:55], v[66:67]
	v_cvt_f64_f32_e32 v[54:55], v56
	v_cvt_f64_f32_e32 v[56:57], v57
	v_fmac_f64_e32 v[38:39], v[56:57], v[66:67]
	v_fmac_f64_e32 v[14:15], v[54:55], v[66:67]
	;; [unrolled: 1-line block ×3, first 2 shown]
	v_cvt_f64_f32_e32 v[54:55], v50
	v_fmac_f64_e32 v[42:43], v[70:71], v[68:69]
	v_cvt_f64_f32_e32 v[50:51], v51
	v_fmac_f64_e32 v[46:47], v[54:55], v[62:63]
	v_fma_f64 v[46:47], -v[50:51], v[64:65], v[46:47]
	v_fmac_f64_e32 v[42:43], v[50:51], v[62:63]
	v_cvt_f64_f32_e32 v[50:51], v52
	v_cvt_f64_f32_e32 v[52:53], v53
	v_fma_f64 v[18:19], -v[60:61], v[68:69], v[18:19]
	v_fmac_f64_e32 v[44:45], v[52:53], v[62:63]
	v_fmac_f64_e32 v[18:19], v[50:51], v[62:63]
	;; [unrolled: 1-line block ×3, first 2 shown]
	v_cvt_f64_f32_e32 v[50:51], v8
	v_fmac_f64_e32 v[40:41], v[58:59], v[68:69]
	v_cvt_f64_f32_e32 v[8:9], v9
	v_fmac_f64_e32 v[16:17], v[50:51], v[62:63]
	v_fma_f64 v[14:15], -v[56:57], v[68:69], v[14:15]
	v_fma_f64 v[58:59], -v[8:9], v[64:65], v[16:17]
	v_fmac_f64_e32 v[40:41], v[8:9], v[62:63]
	v_cvt_f64_f32_e32 v[8:9], v10
	v_cvt_f64_f32_e32 v[10:11], v11
	v_fmac_f64_e32 v[14:15], v[8:9], v[62:63]
	v_fmac_f64_e32 v[38:39], v[10:11], v[62:63]
	;; [unrolled: 1-line block ×3, first 2 shown]
	v_fma_f64 v[18:19], -v[52:53], v[64:65], v[18:19]
	v_fmac_f64_e32 v[40:41], v[50:51], v[64:65]
	v_fma_f64 v[60:61], -v[10:11], v[64:65], v[14:15]
	v_fmac_f64_e32 v[38:39], v[8:9], v[64:65]
	global_load_dwordx4 v[8:11], v[36:37], off offset:3184
	global_load_dwordx4 v[14:17], v[36:37], off offset:3168
	;; [unrolled: 1-line block ×4, first 2 shown]
	v_add_co_u32_e32 v36, vcc, s5, v36
	v_addc_co_u32_e32 v37, vcc, 0, v37, vcc
	v_add_co_u32_e32 v32, vcc, 32, v32
	v_addc_co_u32_e32 v33, vcc, 0, v33, vcc
	;; [unrolled: 2-line block ×3, first 2 shown]
	v_cmp_ge_i64_e32 vcc, v[32:33], v[34:35]
	s_or_b64 s[8:9], vcc, s[8:9]
	s_waitcnt vmcnt(0)
	v_cvt_f64_f32_e32 v[62:63], v54
	v_cvt_f64_f32_e32 v[54:55], v55
	v_fmac_f64_e32 v[46:47], v[62:63], v[4:5]
	v_fma_f64 v[46:47], -v[54:55], v[6:7], v[46:47]
	v_fmac_f64_e32 v[42:43], v[54:55], v[4:5]
	v_cvt_f64_f32_e32 v[54:55], v56
	v_cvt_f64_f32_e32 v[56:57], v57
	v_fmac_f64_e32 v[44:45], v[56:57], v[4:5]
	v_fmac_f64_e32 v[18:19], v[54:55], v[4:5]
	;; [unrolled: 1-line block ×3, first 2 shown]
	v_cvt_f64_f32_e32 v[54:55], v50
	v_cvt_f64_f32_e32 v[50:51], v51
	v_fmac_f64_e32 v[58:59], v[54:55], v[4:5]
	v_fma_f64 v[58:59], -v[50:51], v[6:7], v[58:59]
	v_fmac_f64_e32 v[40:41], v[50:51], v[4:5]
	v_cvt_f64_f32_e32 v[50:51], v52
	v_cvt_f64_f32_e32 v[52:53], v53
	v_fmac_f64_e32 v[60:61], v[50:51], v[4:5]
	v_fmac_f64_e32 v[38:39], v[52:53], v[4:5]
	;; [unrolled: 1-line block ×3, first 2 shown]
	v_fma_f64 v[18:19], -v[56:57], v[6:7], v[18:19]
	v_fmac_f64_e32 v[40:41], v[54:55], v[6:7]
	v_fma_f64 v[60:61], -v[52:53], v[6:7], v[60:61]
	v_fmac_f64_e32 v[38:39], v[50:51], v[6:7]
	v_cvt_f64_f32_e32 v[4:5], v14
	v_cvt_f64_f32_e32 v[6:7], v15
	v_fmac_f64_e32 v[46:47], v[4:5], v[0:1]
	v_fmac_f64_e32 v[42:43], v[6:7], v[0:1]
	v_fma_f64 v[54:55], -v[6:7], v[2:3], v[46:47]
	v_fmac_f64_e32 v[42:43], v[4:5], v[2:3]
	v_cvt_f64_f32_e32 v[4:5], v16
	v_cvt_f64_f32_e32 v[6:7], v17
	v_fmac_f64_e32 v[18:19], v[4:5], v[0:1]
	;; [unrolled: 6-line block ×4, first 2 shown]
	v_fmac_f64_e32 v[38:39], v[6:7], v[0:1]
	v_fma_f64 v[18:19], -v[6:7], v[2:3], v[60:61]
	v_fmac_f64_e32 v[38:39], v[4:5], v[2:3]
	s_andn2_b64 exec, exec, s[8:9]
	s_cbranch_execnz .LBB176_37
; %bb.38:
	s_or_b64 exec, exec, s[8:9]
.LBB176_39:
	s_or_b64 exec, exec, s[0:1]
.LBB176_40:
	s_or_b64 exec, exec, s[2:3]
.LBB176_41:
	v_mov_b32_dpp v4, v42 row_shr:1 row_mask:0xf bank_mask:0xf
	v_mov_b32_dpp v5, v43 row_shr:1 row_mask:0xf bank_mask:0xf
	;; [unrolled: 1-line block ×6, first 2 shown]
	v_add_f64 v[4:5], v[42:43], v[4:5]
	v_mov_b32_dpp v8, v56 row_shr:1 row_mask:0xf bank_mask:0xf
	v_mov_b32_dpp v9, v57 row_shr:1 row_mask:0xf bank_mask:0xf
	;; [unrolled: 1-line block ×6, first 2 shown]
	v_add_f64 v[34:35], v[40:41], v[34:35]
	v_mov_b32_dpp v40, v18 row_shr:1 row_mask:0xf bank_mask:0xf
	v_mov_b32_dpp v41, v19 row_shr:1 row_mask:0xf bank_mask:0xf
	;; [unrolled: 1-line block ×4, first 2 shown]
	v_add_f64 v[0:1], v[54:55], v[0:1]
	v_add_f64 v[8:9], v[56:57], v[8:9]
	;; [unrolled: 1-line block ×6, first 2 shown]
	v_mov_b32_dpp v2, v0 row_shr:2 row_mask:0xf bank_mask:0xf
	v_mov_b32_dpp v3, v1 row_shr:2 row_mask:0xf bank_mask:0xf
	;; [unrolled: 1-line block ×16, first 2 shown]
	v_add_f64 v[0:1], v[0:1], v[2:3]
	v_add_f64 v[4:5], v[4:5], v[6:7]
	;; [unrolled: 1-line block ×8, first 2 shown]
	v_mov_b32_dpp v2, v0 row_shr:4 row_mask:0xf bank_mask:0xe
	v_mov_b32_dpp v3, v1 row_shr:4 row_mask:0xf bank_mask:0xe
	;; [unrolled: 1-line block ×16, first 2 shown]
	v_cmp_eq_u32_e32 vcc, 7, v30
	s_and_b64 exec, exec, vcc
	s_cbranch_execz .LBB176_12
; %bb.42:
	s_load_dwordx2 s[2:3], s[6:7], 0x68
	v_add_f64 v[30:31], v[0:1], v[2:3]
	v_add_f64 v[0:1], v[4:5], v[6:7]
	;; [unrolled: 1-line block ×8, first 2 shown]
	v_cmp_eq_f64_e32 vcc, 0, v[20:21]
	v_cmp_eq_f64_e64 s[0:1], 0, v[22:23]
	v_mul_f64 v[12:13], v[0:1], -v[26:27]
	v_mul_f64 v[14:15], v[24:25], v[0:1]
	v_mul_f64 v[8:9], v[2:3], -v[26:27]
	v_mul_f64 v[10:11], v[24:25], v[2:3]
	;; [unrolled: 2-line block ×4, first 2 shown]
	s_and_b64 s[0:1], vcc, s[0:1]
	v_fmac_f64_e32 v[12:13], v[24:25], v[30:31]
	v_fmac_f64_e32 v[14:15], v[26:27], v[30:31]
	v_lshlrev_b64 v[16:17], 6, v[28:29]
	v_fmac_f64_e32 v[8:9], v[24:25], v[44:45]
	v_fmac_f64_e32 v[10:11], v[26:27], v[44:45]
	;; [unrolled: 1-line block ×6, first 2 shown]
	s_and_saveexec_b64 s[4:5], s[0:1]
	s_xor_b64 s[0:1], exec, s[4:5]
	s_cbranch_execz .LBB176_44
; %bb.43:
	s_waitcnt lgkmcnt(0)
	v_mov_b32_e32 v18, s3
	v_add_co_u32_e32 v16, vcc, s2, v16
	v_addc_co_u32_e32 v17, vcc, v18, v17, vcc
	global_store_dwordx4 v[16:17], v[12:15], off
	global_store_dwordx4 v[16:17], v[8:11], off offset:16
	global_store_dwordx4 v[16:17], v[4:7], off offset:32
	;; [unrolled: 1-line block ×3, first 2 shown]
                                        ; implicit-def: $vgpr20_vgpr21
                                        ; implicit-def: $vgpr22_vgpr23
                                        ; implicit-def: $vgpr12_vgpr13
                                        ; implicit-def: $vgpr16_vgpr17
                                        ; implicit-def: $vgpr8_vgpr9
                                        ; implicit-def: $vgpr4_vgpr5
                                        ; implicit-def: $vgpr0_vgpr1
.LBB176_44:
	s_andn2_saveexec_b64 s[0:1], s[0:1]
	s_cbranch_execz .LBB176_12
; %bb.45:
	s_waitcnt lgkmcnt(0)
	v_mov_b32_e32 v18, s3
	v_add_co_u32_e32 v36, vcc, s2, v16
	v_addc_co_u32_e32 v37, vcc, v18, v17, vcc
	global_load_dwordx4 v[16:19], v[36:37], off
	global_load_dwordx4 v[24:27], v[36:37], off offset:16
	global_load_dwordx4 v[28:31], v[36:37], off offset:32
	;; [unrolled: 1-line block ×3, first 2 shown]
	s_waitcnt vmcnt(3)
	v_fmac_f64_e32 v[12:13], v[20:21], v[16:17]
	v_fmac_f64_e32 v[14:15], v[22:23], v[16:17]
	s_waitcnt vmcnt(2)
	v_fmac_f64_e32 v[8:9], v[20:21], v[24:25]
	v_fmac_f64_e32 v[10:11], v[22:23], v[24:25]
	;; [unrolled: 3-line block ×4, first 2 shown]
	v_fma_f64 v[12:13], -v[22:23], v[18:19], v[12:13]
	v_fmac_f64_e32 v[14:15], v[20:21], v[18:19]
	v_fma_f64 v[8:9], -v[22:23], v[26:27], v[8:9]
	v_fmac_f64_e32 v[10:11], v[20:21], v[26:27]
	;; [unrolled: 2-line block ×4, first 2 shown]
	global_store_dwordx4 v[36:37], v[12:15], off
	global_store_dwordx4 v[36:37], v[8:11], off offset:16
	global_store_dwordx4 v[36:37], v[4:7], off offset:32
	;; [unrolled: 1-line block ×3, first 2 shown]
	s_endpgm
	.section	.rodata,"a",@progbits
	.p2align	6, 0x0
	.amdhsa_kernel _ZN9rocsparseL18bsrxmvn_4x4_kernelILj128ELj8E21rocsparse_complex_numIdEllS1_IfES2_S2_EEvT3_20rocsparse_direction_NS_24const_host_device_scalarIT1_EES4_PKS4_PKT2_SD_SA_PKT4_PKT5_S8_PT6_21rocsparse_index_base_b
		.amdhsa_group_segment_fixed_size 2048
		.amdhsa_private_segment_fixed_size 0
		.amdhsa_kernarg_size 120
		.amdhsa_user_sgpr_count 8
		.amdhsa_user_sgpr_private_segment_buffer 1
		.amdhsa_user_sgpr_dispatch_ptr 1
		.amdhsa_user_sgpr_queue_ptr 0
		.amdhsa_user_sgpr_kernarg_segment_ptr 1
		.amdhsa_user_sgpr_dispatch_id 0
		.amdhsa_user_sgpr_flat_scratch_init 0
		.amdhsa_user_sgpr_kernarg_preload_length 0
		.amdhsa_user_sgpr_kernarg_preload_offset 0
		.amdhsa_user_sgpr_private_segment_size 0
		.amdhsa_uses_dynamic_stack 0
		.amdhsa_system_sgpr_private_segment_wavefront_offset 0
		.amdhsa_system_sgpr_workgroup_id_x 1
		.amdhsa_system_sgpr_workgroup_id_y 0
		.amdhsa_system_sgpr_workgroup_id_z 0
		.amdhsa_system_sgpr_workgroup_info 0
		.amdhsa_system_vgpr_workitem_id 2
		.amdhsa_next_free_vgpr 128
		.amdhsa_next_free_sgpr 22
		.amdhsa_accum_offset 128
		.amdhsa_reserve_vcc 1
		.amdhsa_reserve_flat_scratch 0
		.amdhsa_float_round_mode_32 0
		.amdhsa_float_round_mode_16_64 0
		.amdhsa_float_denorm_mode_32 3
		.amdhsa_float_denorm_mode_16_64 3
		.amdhsa_dx10_clamp 1
		.amdhsa_ieee_mode 1
		.amdhsa_fp16_overflow 0
		.amdhsa_tg_split 0
		.amdhsa_exception_fp_ieee_invalid_op 0
		.amdhsa_exception_fp_denorm_src 0
		.amdhsa_exception_fp_ieee_div_zero 0
		.amdhsa_exception_fp_ieee_overflow 0
		.amdhsa_exception_fp_ieee_underflow 0
		.amdhsa_exception_fp_ieee_inexact 0
		.amdhsa_exception_int_div_zero 0
	.end_amdhsa_kernel
	.section	.text._ZN9rocsparseL18bsrxmvn_4x4_kernelILj128ELj8E21rocsparse_complex_numIdEllS1_IfES2_S2_EEvT3_20rocsparse_direction_NS_24const_host_device_scalarIT1_EES4_PKS4_PKT2_SD_SA_PKT4_PKT5_S8_PT6_21rocsparse_index_base_b,"axG",@progbits,_ZN9rocsparseL18bsrxmvn_4x4_kernelILj128ELj8E21rocsparse_complex_numIdEllS1_IfES2_S2_EEvT3_20rocsparse_direction_NS_24const_host_device_scalarIT1_EES4_PKS4_PKT2_SD_SA_PKT4_PKT5_S8_PT6_21rocsparse_index_base_b,comdat
.Lfunc_end176:
	.size	_ZN9rocsparseL18bsrxmvn_4x4_kernelILj128ELj8E21rocsparse_complex_numIdEllS1_IfES2_S2_EEvT3_20rocsparse_direction_NS_24const_host_device_scalarIT1_EES4_PKS4_PKT2_SD_SA_PKT4_PKT5_S8_PT6_21rocsparse_index_base_b, .Lfunc_end176-_ZN9rocsparseL18bsrxmvn_4x4_kernelILj128ELj8E21rocsparse_complex_numIdEllS1_IfES2_S2_EEvT3_20rocsparse_direction_NS_24const_host_device_scalarIT1_EES4_PKS4_PKT2_SD_SA_PKT4_PKT5_S8_PT6_21rocsparse_index_base_b
                                        ; -- End function
	.section	.AMDGPU.csdata,"",@progbits
; Kernel info:
; codeLenInByte = 8740
; NumSgprs: 26
; NumVgprs: 128
; NumAgprs: 0
; TotalNumVgprs: 128
; ScratchSize: 0
; MemoryBound: 0
; FloatMode: 240
; IeeeMode: 1
; LDSByteSize: 2048 bytes/workgroup (compile time only)
; SGPRBlocks: 3
; VGPRBlocks: 15
; NumSGPRsForWavesPerEU: 26
; NumVGPRsForWavesPerEU: 128
; AccumOffset: 128
; Occupancy: 4
; WaveLimiterHint : 1
; COMPUTE_PGM_RSRC2:SCRATCH_EN: 0
; COMPUTE_PGM_RSRC2:USER_SGPR: 8
; COMPUTE_PGM_RSRC2:TRAP_HANDLER: 0
; COMPUTE_PGM_RSRC2:TGID_X_EN: 1
; COMPUTE_PGM_RSRC2:TGID_Y_EN: 0
; COMPUTE_PGM_RSRC2:TGID_Z_EN: 0
; COMPUTE_PGM_RSRC2:TIDIG_COMP_CNT: 2
; COMPUTE_PGM_RSRC3_GFX90A:ACCUM_OFFSET: 31
; COMPUTE_PGM_RSRC3_GFX90A:TG_SPLIT: 0
	.section	.text._ZN9rocsparseL18bsrxmvn_4x4_kernelILj128ELj16E21rocsparse_complex_numIdEllS1_IfES2_S2_EEvT3_20rocsparse_direction_NS_24const_host_device_scalarIT1_EES4_PKS4_PKT2_SD_SA_PKT4_PKT5_S8_PT6_21rocsparse_index_base_b,"axG",@progbits,_ZN9rocsparseL18bsrxmvn_4x4_kernelILj128ELj16E21rocsparse_complex_numIdEllS1_IfES2_S2_EEvT3_20rocsparse_direction_NS_24const_host_device_scalarIT1_EES4_PKS4_PKT2_SD_SA_PKT4_PKT5_S8_PT6_21rocsparse_index_base_b,comdat
	.globl	_ZN9rocsparseL18bsrxmvn_4x4_kernelILj128ELj16E21rocsparse_complex_numIdEllS1_IfES2_S2_EEvT3_20rocsparse_direction_NS_24const_host_device_scalarIT1_EES4_PKS4_PKT2_SD_SA_PKT4_PKT5_S8_PT6_21rocsparse_index_base_b ; -- Begin function _ZN9rocsparseL18bsrxmvn_4x4_kernelILj128ELj16E21rocsparse_complex_numIdEllS1_IfES2_S2_EEvT3_20rocsparse_direction_NS_24const_host_device_scalarIT1_EES4_PKS4_PKT2_SD_SA_PKT4_PKT5_S8_PT6_21rocsparse_index_base_b
	.p2align	8
	.type	_ZN9rocsparseL18bsrxmvn_4x4_kernelILj128ELj16E21rocsparse_complex_numIdEllS1_IfES2_S2_EEvT3_20rocsparse_direction_NS_24const_host_device_scalarIT1_EES4_PKS4_PKT2_SD_SA_PKT4_PKT5_S8_PT6_21rocsparse_index_base_b,@function
_ZN9rocsparseL18bsrxmvn_4x4_kernelILj128ELj16E21rocsparse_complex_numIdEllS1_IfES2_S2_EEvT3_20rocsparse_direction_NS_24const_host_device_scalarIT1_EES4_PKS4_PKT2_SD_SA_PKT4_PKT5_S8_PT6_21rocsparse_index_base_b: ; @_ZN9rocsparseL18bsrxmvn_4x4_kernelILj128ELj16E21rocsparse_complex_numIdEllS1_IfES2_S2_EEvT3_20rocsparse_direction_NS_24const_host_device_scalarIT1_EES4_PKS4_PKT2_SD_SA_PKT4_PKT5_S8_PT6_21rocsparse_index_base_b
; %bb.0:
	s_load_dwordx2 s[20:21], s[6:7], 0x70
	s_load_dwordx4 s[16:19], s[6:7], 0x10
	s_load_dwordx2 s[10:11], s[4:5], 0x4
	s_load_dwordx4 s[12:15], s[6:7], 0x58
	s_mov_b64 s[2:3], src_shared_base
	v_bfe_u32 v3, v0, 10, 10
	s_waitcnt lgkmcnt(0)
	s_bitcmp1_b32 s21, 0
	s_cselect_b64 s[0:1], -1, 0
	s_and_b64 vcc, s[0:1], exec
	s_cselect_b32 s2, s3, s17
	s_lshr_b32 s4, s10, 16
	v_and_b32_e32 v2, 0x3ff, v0
	s_mul_i32 s4, s4, s11
	v_mul_u32_u24_e32 v3, s11, v3
	v_mad_u32_u24 v3, s4, v2, v3
	v_bfe_u32 v0, v0, 20, 10
	v_add_lshl_u32 v0, v3, v0, 3
	v_mov_b32_e32 v1, s16
	v_add_u32_e32 v3, 0x400, v0
	v_pk_mov_b32 v[4:5], s[16:17], s[16:17] op_sel:[0,1]
	v_pk_mov_b32 v[6:7], s[12:13], s[12:13] op_sel:[0,1]
	ds_write2st64_b64 v0, v[6:7], v[4:5] offset1:2
	v_cndmask_b32_e64 v4, v1, v3, s[0:1]
	v_mov_b32_e32 v5, s2
	flat_load_dwordx2 v[32:33], v[4:5]
	s_xor_b64 s[4:5], s[0:1], -1
	v_pk_mov_b32 v[34:35], s[18:19], s[18:19] op_sel:[0,1]
	s_cbranch_vccnz .LBB177_2
; %bb.1:
	v_pk_mov_b32 v[4:5], s[16:17], s[16:17] op_sel:[0,1]
	flat_load_dwordx2 v[34:35], v[4:5] offset:8
.LBB177_2:
	s_and_b64 s[10:11], s[0:1], exec
	s_cselect_b32 s2, s3, s13
	v_mov_b32_e32 v1, s12
	v_cndmask_b32_e64 v0, v1, v0, s[0:1]
	v_mov_b32_e32 v1, s2
	flat_load_dwordx2 v[28:29], v[0:1]
	s_andn2_b64 vcc, exec, s[4:5]
	v_pk_mov_b32 v[30:31], s[14:15], s[14:15] op_sel:[0,1]
	s_cbranch_vccnz .LBB177_4
; %bb.3:
	v_pk_mov_b32 v[0:1], s[12:13], s[12:13] op_sel:[0,1]
	flat_load_dwordx2 v[30:31], v[0:1] offset:8
.LBB177_4:
	s_waitcnt vmcnt(0) lgkmcnt(0)
	v_cmp_eq_f64_e32 vcc, 0, v[32:33]
	v_cmp_eq_f64_e64 s[0:1], 0, v[34:35]
	s_and_b64 s[4:5], vcc, s[0:1]
	s_mov_b64 s[0:1], -1
	s_and_saveexec_b64 s[2:3], s[4:5]
; %bb.5:
	v_cmp_neq_f64_e32 vcc, 1.0, v[28:29]
	v_cmp_neq_f64_e64 s[0:1], 0, v[30:31]
	s_or_b64 s[0:1], vcc, s[0:1]
	s_orn2_b64 s[0:1], s[0:1], exec
; %bb.6:
	s_or_b64 exec, exec, s[2:3]
	s_and_saveexec_b64 s[2:3], s[0:1]
	s_cbranch_execz .LBB177_12
; %bb.7:
	s_load_dwordx2 s[2:3], s[6:7], 0x28
	v_lshrrev_b32_e32 v0, 4, v2
	v_lshl_or_b32 v0, s8, 3, v0
	v_mov_b32_e32 v1, 0
	s_mov_b64 s[0:1], 0
	s_waitcnt lgkmcnt(0)
	s_cmp_lg_u64 s[2:3], 0
	s_cbranch_scc0 .LBB177_13
; %bb.8:
	s_load_dwordx2 s[4:5], s[6:7], 0x20
                                        ; implicit-def: $vgpr36_vgpr37
	s_waitcnt lgkmcnt(0)
	v_cmp_gt_i64_e32 vcc, s[4:5], v[0:1]
	s_and_saveexec_b64 s[4:5], vcc
	s_xor_b64 s[4:5], exec, s[4:5]
                                        ; implicit-def: $sgpr16_sgpr17
	s_cbranch_execz .LBB177_10
; %bb.9:
	v_lshlrev_b64 v[4:5], 3, v[0:1]
	v_mov_b32_e32 v3, s3
	v_add_co_u32_e32 v4, vcc, s2, v4
	v_addc_co_u32_e32 v5, vcc, v3, v5, vcc
	global_load_dwordx2 v[4:5], v[4:5], off
	s_mov_b64 s[0:1], exec
	s_mov_b32 s17, 0
	s_waitcnt vmcnt(0)
	v_subrev_co_u32_e32 v36, vcc, s20, v4
	v_subbrev_co_u32_e32 v37, vcc, 0, v5, vcc
.LBB177_10:
	s_or_b64 exec, exec, s[4:5]
.LBB177_11:
	s_and_b64 exec, exec, s[0:1]
	s_cbranch_execnz .LBB177_17
.LBB177_12:
	s_endpgm
.LBB177_13:
                                        ; implicit-def: $vgpr36_vgpr37
                                        ; implicit-def: $sgpr16_sgpr17
	s_cbranch_execz .LBB177_11
; %bb.14:
	s_load_dwordx2 s[2:3], s[6:7], 0x0
                                        ; implicit-def: $vgpr36_vgpr37
	s_waitcnt lgkmcnt(0)
	v_cmp_gt_i64_e32 vcc, s[2:3], v[0:1]
	s_and_saveexec_b64 s[2:3], vcc
                                        ; implicit-def: $sgpr16_sgpr17
; %bb.15:
	s_mov_b32 s17, 0
	s_or_b64 s[0:1], s[0:1], exec
	v_pk_mov_b32 v[36:37], v[0:1], v[0:1] op_sel:[0,1]
; %bb.16:
	s_or_b64 exec, exec, s[2:3]
	s_and_b64 exec, exec, s[0:1]
	s_cbranch_execz .LBB177_12
.LBB177_17:
	s_load_dwordx8 s[8:15], s[6:7], 0x30
	v_lshlrev_b64 v[0:1], 3, v[36:37]
	v_and_b32_e32 v38, 15, v2
	v_mov_b32_e32 v2, s17
	s_waitcnt lgkmcnt(0)
	v_mov_b32_e32 v3, s9
	v_add_co_u32_e32 v4, vcc, s8, v0
	v_addc_co_u32_e32 v5, vcc, v3, v1, vcc
	v_add_co_u32_e32 v3, vcc, 8, v4
	global_load_dwordx2 v[54:55], v[4:5], off
	v_addc_co_u32_e32 v4, vcc, 0, v5, vcc
	v_mov_b32_e32 v5, s11
	v_add_co_u32_e32 v0, vcc, s10, v0
	s_cmp_eq_u64 s[10:11], 0
	v_addc_co_u32_e32 v1, vcc, v5, v1, vcc
	s_cselect_b64 vcc, -1, 0
	v_cndmask_b32_e32 v1, v1, v4, vcc
	v_cndmask_b32_e32 v0, v0, v3, vcc
	global_load_dwordx2 v[0:1], v[0:1], off
	s_load_dword s0, s[6:7], 0x8
	s_load_dwordx2 s[4:5], s[6:7], 0x50
	v_mov_b32_e32 v3, s15
	s_waitcnt lgkmcnt(0)
	s_cmp_eq_u32 s0, 1
	s_waitcnt vmcnt(1)
	v_subrev_co_u32_e32 v4, vcc, s20, v54
	v_subb_co_u32_e32 v5, vcc, v55, v2, vcc
	v_add_co_u32_e32 v42, vcc, v4, v38
	v_addc_co_u32_e32 v43, vcc, 0, v5, vcc
	s_waitcnt vmcnt(0)
	v_subrev_co_u32_e32 v44, vcc, s20, v0
	v_subb_co_u32_e32 v45, vcc, v1, v2, vcc
	v_lshlrev_b64 v[0:1], 7, v[42:43]
	v_add_co_u32_e32 v46, vcc, s14, v0
	v_addc_co_u32_e32 v47, vcc, v3, v1, vcc
	v_cmp_lt_i64_e64 s[0:1], v[42:43], v[44:45]
	s_cbranch_scc1 .LBB177_29
; %bb.18:
	v_pk_mov_b32 v[52:53], 0, 0
	s_mov_b64 s[8:9], 0
	v_pk_mov_b32 v[26:27], v[52:53], v[52:53] op_sel:[0,1]
	v_pk_mov_b32 v[50:51], v[52:53], v[52:53] op_sel:[0,1]
	v_pk_mov_b32 v[62:63], v[52:53], v[52:53] op_sel:[0,1]
	v_pk_mov_b32 v[48:49], v[52:53], v[52:53] op_sel:[0,1]
	v_pk_mov_b32 v[24:25], v[52:53], v[52:53] op_sel:[0,1]
	v_pk_mov_b32 v[40:41], v[52:53], v[52:53] op_sel:[0,1]
	v_pk_mov_b32 v[16:17], v[52:53], v[52:53] op_sel:[0,1]
	s_and_saveexec_b64 s[10:11], s[0:1]
	s_cbranch_execz .LBB177_28
; %bb.19:
	v_or_b32_e32 v0, 16, v38
	v_mov_b32_e32 v1, s17
	v_subrev_co_u32_e32 v0, vcc, s20, v0
	v_subb_co_u32_e32 v1, vcc, 0, v1, vcc
	v_add_co_u32_e32 v0, vcc, v0, v54
	v_addc_co_u32_e32 v1, vcc, v1, v55, vcc
	v_cmp_gt_i64_e32 vcc, v[0:1], v[44:45]
	v_cndmask_b32_e32 v1, v45, v1, vcc
	v_cndmask_b32_e32 v0, v44, v0, vcc
	v_mov_b32_e32 v4, s17
	v_sub_co_u32_e32 v5, vcc, s20, v38
	v_not_b32_e32 v3, v54
	v_subbrev_co_u32_e32 v4, vcc, 0, v4, vcc
	v_not_b32_e32 v2, v55
	v_add_co_u32_e32 v3, vcc, v5, v3
	v_addc_co_u32_e32 v2, vcc, v4, v2, vcc
	v_add_co_u32_e32 v8, vcc, v3, v0
	v_lshrrev_b32_e32 v0, 4, v8
	v_add_u32_e32 v0, 1, v0
	v_addc_co_u32_e32 v9, vcc, v2, v1, vcc
	v_and_b32_e32 v0, 3, v0
	v_pk_mov_b32 v[16:17], 0, 0
	v_cmp_ne_u32_e32 vcc, 0, v0
	s_mov_b64 s[18:19], 0
	v_pk_mov_b32 v[40:41], v[16:17], v[16:17] op_sel:[0,1]
	v_pk_mov_b32 v[24:25], v[16:17], v[16:17] op_sel:[0,1]
	;; [unrolled: 1-line block ×9, first 2 shown]
	s_and_saveexec_b64 s[14:15], vcc
	s_cbranch_execz .LBB177_23
; %bb.20:
	v_lshlrev_b64 v[2:3], 3, v[42:43]
	v_mov_b32_e32 v1, s13
	v_add_co_u32_e32 v12, vcc, s12, v2
	v_pk_mov_b32 v[52:53], 0, 0
	v_mov_b32_e32 v11, 0
	v_addc_co_u32_e32 v13, vcc, v1, v3, vcc
	v_lshlrev_b32_e32 v10, 3, v0
	s_movk_i32 s16, 0x800
	v_mov_b32_e32 v18, s17
	v_mov_b32_e32 v19, s5
	v_pk_mov_b32 v[58:59], v[42:43], v[42:43] op_sel:[0,1]
	v_pk_mov_b32 v[56:57], v[46:47], v[46:47] op_sel:[0,1]
	;; [unrolled: 1-line block ×9, first 2 shown]
.LBB177_21:                             ; =>This Inner Loop Header: Depth=1
	global_load_dwordx2 v[14:15], v[12:13], off
	global_load_dwordx4 v[4:7], v[56:57], off
	global_load_dwordx4 v[0:3], v[56:57], off offset:32
	global_load_dwordx4 v[20:23], v[56:57], off offset:64
	;; [unrolled: 1-line block ×7, first 2 shown]
	v_add_co_u32_e32 v56, vcc, s16, v56
	v_addc_co_u32_e32 v57, vcc, 0, v57, vcc
	v_add_co_u32_e32 v12, vcc, 0x80, v12
	v_addc_co_u32_e32 v13, vcc, 0, v13, vcc
	v_add_co_u32_e64 v58, s[2:3], 16, v58
	v_addc_co_u32_e64 v59, s[2:3], 0, v59, s[2:3]
	v_add_co_u32_e64 v10, s[2:3], -8, v10
	v_addc_co_u32_e64 v11, s[2:3], -1, v11, s[2:3]
	v_cmp_eq_u64_e64 s[2:3], 0, v[10:11]
	s_or_b64 s[18:19], s[2:3], s[18:19]
	s_waitcnt vmcnt(8)
	v_subrev_co_u32_e32 v14, vcc, s20, v14
	v_subb_co_u32_e32 v15, vcc, v15, v18, vcc
	s_waitcnt vmcnt(7)
	v_cvt_f64_f32_e32 v[60:61], v4
	v_cvt_f64_f32_e32 v[92:93], v5
	v_lshlrev_b64 v[4:5], 6, v[14:15]
	v_add_co_u32_e32 v14, vcc, s4, v4
	v_addc_co_u32_e32 v15, vcc, v19, v5, vcc
	v_cvt_f64_f32_e32 v[94:95], v6
	v_cvt_f64_f32_e32 v[96:97], v7
	s_waitcnt vmcnt(3)
	v_cvt_f64_f32_e32 v[104:105], v68
	v_cvt_f64_f32_e32 v[106:107], v69
	;; [unrolled: 1-line block ×4, first 2 shown]
	global_load_dwordx4 v[4:7], v[14:15], off
	global_load_dwordx4 v[68:71], v[14:15], off offset:16
	global_load_dwordx4 v[84:87], v[14:15], off offset:32
	;; [unrolled: 1-line block ×3, first 2 shown]
	v_cvt_f64_f32_e32 v[98:99], v0
	v_cvt_f64_f32_e32 v[0:1], v1
	;; [unrolled: 1-line block ×12, first 2 shown]
	s_waitcnt vmcnt(6)
	v_cvt_f64_f32_e32 v[14:15], v72
	v_cvt_f64_f32_e32 v[72:73], v73
	s_waitcnt vmcnt(5)
	v_cvt_f64_f32_e32 v[120:121], v76
	v_cvt_f64_f32_e32 v[76:77], v77
	s_waitcnt vmcnt(4)
	v_cvt_f64_f32_e32 v[124:125], v80
	v_cvt_f64_f32_e32 v[80:81], v81
	v_cvt_f64_f32_e32 v[114:115], v74
	v_cvt_f64_f32_e32 v[74:75], v75
	;; [unrolled: 1-line block ×6, first 2 shown]
	s_waitcnt vmcnt(3)
	v_fmac_f64_e32 v[26:27], v[60:61], v[4:5]
	v_fmac_f64_e32 v[52:53], v[92:93], v[4:5]
	v_fmac_f64_e32 v[62:63], v[98:99], v[4:5]
	v_fmac_f64_e32 v[50:51], v[0:1], v[4:5]
	v_fmac_f64_e32 v[24:25], v[100:101], v[4:5]
	v_fmac_f64_e32 v[48:49], v[20:21], v[4:5]
	v_fmac_f64_e32 v[16:17], v[102:103], v[4:5]
	v_fmac_f64_e32 v[40:41], v[64:65], v[4:5]
	v_fma_f64 v[4:5], -v[92:93], v[6:7], v[26:27]
	v_fmac_f64_e32 v[52:53], v[60:61], v[6:7]
	v_fma_f64 v[0:1], -v[0:1], v[6:7], v[62:63]
	v_fmac_f64_e32 v[50:51], v[98:99], v[6:7]
	v_fma_f64 v[20:21], -v[20:21], v[6:7], v[24:25]
	v_fmac_f64_e32 v[48:49], v[100:101], v[6:7]
	v_fma_f64 v[16:17], -v[64:65], v[6:7], v[16:17]
	v_fmac_f64_e32 v[40:41], v[102:103], v[6:7]
	s_waitcnt vmcnt(2)
	v_fmac_f64_e32 v[4:5], v[94:95], v[68:69]
	v_fmac_f64_e32 v[52:53], v[96:97], v[68:69]
	v_fmac_f64_e32 v[0:1], v[112:113], v[68:69]
	v_fmac_f64_e32 v[50:51], v[2:3], v[68:69]
	v_fmac_f64_e32 v[20:21], v[116:117], v[68:69]
	v_fmac_f64_e32 v[48:49], v[22:23], v[68:69]
	v_fmac_f64_e32 v[16:17], v[118:119], v[68:69]
	v_fmac_f64_e32 v[40:41], v[66:67], v[68:69]
	v_fma_f64 v[4:5], -v[96:97], v[70:71], v[4:5]
	v_fmac_f64_e32 v[52:53], v[94:95], v[70:71]
	v_fma_f64 v[0:1], -v[2:3], v[70:71], v[0:1]
	v_fmac_f64_e32 v[50:51], v[112:113], v[70:71]
	v_fma_f64 v[2:3], -v[22:23], v[70:71], v[20:21]
	v_fmac_f64_e32 v[48:49], v[116:117], v[70:71]
	v_fma_f64 v[6:7], -v[66:67], v[70:71], v[16:17]
	v_fmac_f64_e32 v[40:41], v[118:119], v[70:71]
	;; [unrolled: 17-line block ×4, first 2 shown]
	s_andn2_b64 exec, exec, s[18:19]
	s_cbranch_execnz .LBB177_21
; %bb.22:
	s_or_b64 exec, exec, s[18:19]
.LBB177_23:
	s_or_b64 exec, exec, s[14:15]
	v_cmp_lt_u64_e32 vcc, 47, v[8:9]
	s_and_saveexec_b64 s[14:15], vcc
	s_cbranch_execz .LBB177_27
; %bb.24:
	v_lshlrev_b64 v[0:1], 3, v[58:59]
	v_mov_b32_e32 v2, s13
	v_add_co_u32_e32 v0, vcc, s12, v0
	v_addc_co_u32_e32 v1, vcc, v1, v2, vcc
	v_add_co_u32_e32 v60, vcc, 0x100, v0
	v_addc_co_u32_e32 v61, vcc, 0, v1, vcc
	s_mov_b64 s[18:19], 0
	v_mov_b32_e32 v39, s17
	v_mov_b32_e32 v72, s5
	s_movk_i32 s16, 0x1000
.LBB177_25:                             ; =>This Inner Loop Header: Depth=1
	global_load_dwordx2 v[0:1], v[60:61], off offset:-256
	global_load_dwordx4 v[20:23], v[56:57], off offset:48
	global_load_dwordx4 v[64:67], v[56:57], off offset:32
	;; [unrolled: 1-line block ×3, first 2 shown]
	global_load_dwordx4 v[74:77], v[56:57], off
	s_waitcnt vmcnt(4)
	v_subrev_co_u32_e32 v0, vcc, s20, v0
	v_subb_co_u32_e32 v1, vcc, v1, v39, vcc
	v_lshlrev_b64 v[0:1], 6, v[0:1]
	v_add_co_u32_e32 v78, vcc, s4, v0
	v_addc_co_u32_e32 v79, vcc, v72, v1, vcc
	global_load_dwordx4 v[0:3], v[78:79], off offset:48
	global_load_dwordx4 v[4:7], v[78:79], off offset:32
	;; [unrolled: 1-line block ×3, first 2 shown]
	global_load_dwordx4 v[12:15], v[78:79], off
	s_waitcnt vmcnt(4)
	v_cvt_f64_f32_e32 v[18:19], v74
	v_cvt_f64_f32_e32 v[74:75], v75
	s_waitcnt vmcnt(0)
	v_fmac_f64_e32 v[26:27], v[18:19], v[12:13]
	v_fmac_f64_e32 v[52:53], v[74:75], v[12:13]
	v_fma_f64 v[26:27], -v[74:75], v[14:15], v[26:27]
	v_fmac_f64_e32 v[52:53], v[18:19], v[14:15]
	v_cvt_f64_f32_e32 v[18:19], v76
	v_cvt_f64_f32_e32 v[74:75], v77
	v_fmac_f64_e32 v[26:27], v[18:19], v[8:9]
	v_fmac_f64_e32 v[52:53], v[74:75], v[8:9]
	v_fma_f64 v[26:27], -v[74:75], v[10:11], v[26:27]
	v_fmac_f64_e32 v[52:53], v[18:19], v[10:11]
	v_cvt_f64_f32_e32 v[18:19], v68
	v_cvt_f64_f32_e32 v[68:69], v69
	v_fmac_f64_e32 v[26:27], v[18:19], v[4:5]
	v_fma_f64 v[26:27], -v[68:69], v[6:7], v[26:27]
	v_fmac_f64_e32 v[52:53], v[68:69], v[4:5]
	v_cvt_f64_f32_e32 v[68:69], v70
	v_cvt_f64_f32_e32 v[70:71], v71
	v_fmac_f64_e32 v[26:27], v[68:69], v[0:1]
	v_fmac_f64_e32 v[52:53], v[18:19], v[6:7]
	v_fma_f64 v[18:19], -v[70:71], v[2:3], v[26:27]
	v_cvt_f64_f32_e32 v[26:27], v64
	v_cvt_f64_f32_e32 v[64:65], v65
	v_fmac_f64_e32 v[62:63], v[26:27], v[12:13]
	v_fmac_f64_e32 v[50:51], v[64:65], v[12:13]
	v_fma_f64 v[62:63], -v[64:65], v[14:15], v[62:63]
	v_fmac_f64_e32 v[50:51], v[26:27], v[14:15]
	v_cvt_f64_f32_e32 v[26:27], v66
	v_cvt_f64_f32_e32 v[64:65], v67
	v_fmac_f64_e32 v[62:63], v[26:27], v[8:9]
	v_fmac_f64_e32 v[50:51], v[64:65], v[8:9]
	v_fma_f64 v[62:63], -v[64:65], v[10:11], v[62:63]
	v_fmac_f64_e32 v[50:51], v[26:27], v[10:11]
	;; [unrolled: 6-line block ×3, first 2 shown]
	v_cvt_f64_f32_e32 v[26:27], v22
	v_fmac_f64_e32 v[52:53], v[70:71], v[0:1]
	v_cvt_f64_f32_e32 v[22:23], v23
	v_fmac_f64_e32 v[62:63], v[26:27], v[0:1]
	v_fmac_f64_e32 v[52:53], v[68:69], v[2:3]
	v_fma_f64 v[20:21], -v[22:23], v[2:3], v[62:63]
	global_load_dwordx4 v[62:65], v[56:57], off offset:112
	global_load_dwordx4 v[66:69], v[56:57], off offset:96
	;; [unrolled: 1-line block ×4, first 2 shown]
	v_fmac_f64_e32 v[50:51], v[22:23], v[0:1]
	v_fmac_f64_e32 v[50:51], v[26:27], v[2:3]
	s_waitcnt vmcnt(0)
	v_cvt_f64_f32_e32 v[22:23], v78
	v_cvt_f64_f32_e32 v[26:27], v79
	v_fmac_f64_e32 v[24:25], v[22:23], v[12:13]
	v_fmac_f64_e32 v[48:49], v[26:27], v[12:13]
	v_fma_f64 v[24:25], -v[26:27], v[14:15], v[24:25]
	v_fmac_f64_e32 v[48:49], v[22:23], v[14:15]
	v_cvt_f64_f32_e32 v[22:23], v80
	v_cvt_f64_f32_e32 v[26:27], v81
	v_fmac_f64_e32 v[24:25], v[22:23], v[8:9]
	v_fmac_f64_e32 v[48:49], v[26:27], v[8:9]
	v_fma_f64 v[24:25], -v[26:27], v[10:11], v[24:25]
	v_fmac_f64_e32 v[48:49], v[22:23], v[10:11]
	;; [unrolled: 6-line block ×7, first 2 shown]
	v_cvt_f64_f32_e32 v[4:5], v64
	v_cvt_f64_f32_e32 v[6:7], v65
	v_fmac_f64_e32 v[12:13], v[4:5], v[0:1]
	v_fmac_f64_e32 v[40:41], v[6:7], v[0:1]
	global_load_dwordx2 v[0:1], v[60:61], off offset:-128
	v_fma_f64 v[26:27], -v[6:7], v[2:3], v[12:13]
	v_fmac_f64_e32 v[40:41], v[4:5], v[2:3]
	global_load_dwordx4 v[2:5], v[56:57], off offset:2096
	global_load_dwordx4 v[6:9], v[56:57], off offset:2080
	;; [unrolled: 1-line block ×4, first 2 shown]
	s_waitcnt vmcnt(4)
	v_subrev_co_u32_e32 v0, vcc, s20, v0
	v_subb_co_u32_e32 v1, vcc, v1, v39, vcc
	v_lshlrev_b64 v[0:1], 6, v[0:1]
	v_add_co_u32_e32 v0, vcc, s4, v0
	v_addc_co_u32_e32 v1, vcc, v72, v1, vcc
	global_load_dwordx4 v[22:25], v[0:1], off offset:48
	global_load_dwordx4 v[62:65], v[0:1], off offset:32
	;; [unrolled: 1-line block ×3, first 2 shown]
	global_load_dwordx4 v[74:77], v[0:1], off
	s_waitcnt vmcnt(4)
	v_cvt_f64_f32_e32 v[78:79], v14
	v_cvt_f64_f32_e32 v[14:15], v15
	s_waitcnt vmcnt(0)
	v_fmac_f64_e32 v[18:19], v[78:79], v[74:75]
	v_fmac_f64_e32 v[52:53], v[14:15], v[74:75]
	v_fma_f64 v[0:1], -v[14:15], v[76:77], v[18:19]
	v_fmac_f64_e32 v[52:53], v[78:79], v[76:77]
	v_cvt_f64_f32_e32 v[14:15], v16
	v_cvt_f64_f32_e32 v[16:17], v17
	v_fmac_f64_e32 v[0:1], v[14:15], v[66:67]
	v_fmac_f64_e32 v[52:53], v[16:17], v[66:67]
	v_fma_f64 v[0:1], -v[16:17], v[68:69], v[0:1]
	v_fmac_f64_e32 v[52:53], v[14:15], v[68:69]
	v_cvt_f64_f32_e32 v[14:15], v10
	v_cvt_f64_f32_e32 v[10:11], v11
	;; [unrolled: 6-line block ×3, first 2 shown]
	v_fmac_f64_e32 v[52:53], v[12:13], v[22:23]
	v_fmac_f64_e32 v[0:1], v[10:11], v[22:23]
	;; [unrolled: 1-line block ×3, first 2 shown]
	v_cvt_f64_f32_e32 v[10:11], v6
	v_cvt_f64_f32_e32 v[6:7], v7
	v_fmac_f64_e32 v[20:21], v[10:11], v[74:75]
	v_fmac_f64_e32 v[50:51], v[6:7], v[74:75]
	v_fma_f64 v[0:1], -v[12:13], v[24:25], v[0:1]
	v_fma_f64 v[12:13], -v[6:7], v[76:77], v[20:21]
	v_fmac_f64_e32 v[50:51], v[10:11], v[76:77]
	v_cvt_f64_f32_e32 v[6:7], v8
	v_cvt_f64_f32_e32 v[8:9], v9
	v_fmac_f64_e32 v[12:13], v[6:7], v[66:67]
	v_fmac_f64_e32 v[50:51], v[8:9], v[66:67]
	v_fma_f64 v[10:11], -v[8:9], v[68:69], v[12:13]
	v_fmac_f64_e32 v[50:51], v[6:7], v[68:69]
	v_cvt_f64_f32_e32 v[6:7], v2
	v_cvt_f64_f32_e32 v[2:3], v3
	v_fmac_f64_e32 v[10:11], v[6:7], v[62:63]
	v_fmac_f64_e32 v[50:51], v[2:3], v[62:63]
	;; [unrolled: 6-line block ×3, first 2 shown]
	v_fma_f64 v[2:3], -v[4:5], v[24:25], v[8:9]
	v_fmac_f64_e32 v[50:51], v[6:7], v[24:25]
	global_load_dwordx4 v[6:9], v[56:57], off offset:2160
	global_load_dwordx4 v[10:13], v[56:57], off offset:2144
	;; [unrolled: 1-line block ×4, first 2 shown]
	s_waitcnt vmcnt(0)
	v_cvt_f64_f32_e32 v[4:5], v18
	v_cvt_f64_f32_e32 v[18:19], v19
	v_fmac_f64_e32 v[70:71], v[4:5], v[74:75]
	v_fmac_f64_e32 v[48:49], v[18:19], v[74:75]
	v_fma_f64 v[70:71], -v[18:19], v[76:77], v[70:71]
	v_fmac_f64_e32 v[48:49], v[4:5], v[76:77]
	v_cvt_f64_f32_e32 v[4:5], v20
	v_cvt_f64_f32_e32 v[18:19], v21
	v_fmac_f64_e32 v[70:71], v[4:5], v[66:67]
	v_fmac_f64_e32 v[48:49], v[18:19], v[66:67]
	v_fma_f64 v[20:21], -v[18:19], v[68:69], v[70:71]
	v_fmac_f64_e32 v[48:49], v[4:5], v[68:69]
	;; [unrolled: 6-line block ×3, first 2 shown]
	v_cvt_f64_f32_e32 v[14:15], v16
	v_cvt_f64_f32_e32 v[16:17], v17
	v_fmac_f64_e32 v[48:49], v[16:17], v[22:23]
	v_fmac_f64_e32 v[18:19], v[14:15], v[22:23]
	;; [unrolled: 1-line block ×3, first 2 shown]
	v_cvt_f64_f32_e32 v[14:15], v10
	v_cvt_f64_f32_e32 v[10:11], v11
	v_fmac_f64_e32 v[26:27], v[14:15], v[74:75]
	v_fmac_f64_e32 v[40:41], v[10:11], v[74:75]
	v_fma_f64 v[4:5], -v[16:17], v[24:25], v[18:19]
	v_fma_f64 v[16:17], -v[10:11], v[76:77], v[26:27]
	v_fmac_f64_e32 v[40:41], v[14:15], v[76:77]
	v_cvt_f64_f32_e32 v[10:11], v12
	v_cvt_f64_f32_e32 v[12:13], v13
	v_fmac_f64_e32 v[16:17], v[10:11], v[66:67]
	v_fmac_f64_e32 v[40:41], v[12:13], v[66:67]
	v_fma_f64 v[14:15], -v[12:13], v[68:69], v[16:17]
	v_fmac_f64_e32 v[40:41], v[10:11], v[68:69]
	v_cvt_f64_f32_e32 v[10:11], v6
	v_cvt_f64_f32_e32 v[6:7], v7
	v_fmac_f64_e32 v[14:15], v[10:11], v[62:63]
	v_fmac_f64_e32 v[40:41], v[6:7], v[62:63]
	v_fma_f64 v[12:13], -v[6:7], v[64:65], v[14:15]
	v_fmac_f64_e32 v[40:41], v[10:11], v[64:65]
	v_cvt_f64_f32_e32 v[10:11], v8
	v_cvt_f64_f32_e32 v[8:9], v9
	v_fmac_f64_e32 v[12:13], v[10:11], v[22:23]
	v_fma_f64 v[6:7], -v[8:9], v[24:25], v[12:13]
	v_fmac_f64_e32 v[40:41], v[8:9], v[22:23]
	global_load_dwordx2 v[8:9], v[60:61], off
	v_add_co_u32_e32 v64, vcc, s16, v56
	v_addc_co_u32_e32 v65, vcc, 0, v57, vcc
	v_fmac_f64_e32 v[40:41], v[10:11], v[24:25]
	s_waitcnt vmcnt(0)
	v_subrev_co_u32_e32 v24, vcc, s20, v8
	v_subb_co_u32_e32 v25, vcc, v9, v39, vcc
	v_lshlrev_b64 v[24:25], 6, v[24:25]
	v_add_co_u32_e32 v66, vcc, s4, v24
	v_addc_co_u32_e32 v67, vcc, v72, v25, vcc
	global_load_dwordx4 v[8:11], v[64:65], off
	global_load_dwordx4 v[12:15], v[64:65], off offset:48
	global_load_dwordx4 v[16:19], v[64:65], off offset:32
	;; [unrolled: 1-line block ×6, first 2 shown]
	global_load_dwordx4 v[82:85], v[66:67], off
	s_waitcnt vmcnt(7)
	v_cvt_f64_f32_e32 v[62:63], v8
	v_cvt_f64_f32_e32 v[8:9], v9
	s_waitcnt vmcnt(0)
	v_fmac_f64_e32 v[0:1], v[62:63], v[82:83]
	v_fmac_f64_e32 v[52:53], v[8:9], v[82:83]
	v_fma_f64 v[0:1], -v[8:9], v[84:85], v[0:1]
	v_fmac_f64_e32 v[52:53], v[62:63], v[84:85]
	v_cvt_f64_f32_e32 v[8:9], v10
	v_cvt_f64_f32_e32 v[10:11], v11
	v_fmac_f64_e32 v[0:1], v[8:9], v[78:79]
	v_fmac_f64_e32 v[52:53], v[10:11], v[78:79]
	v_fma_f64 v[0:1], -v[10:11], v[80:81], v[0:1]
	v_fmac_f64_e32 v[52:53], v[8:9], v[80:81]
	v_cvt_f64_f32_e32 v[8:9], v20
	v_cvt_f64_f32_e32 v[10:11], v21
	;; [unrolled: 6-line block ×7, first 2 shown]
	v_fmac_f64_e32 v[2:3], v[0:1], v[24:25]
	v_fmac_f64_e32 v[50:51], v[8:9], v[24:25]
	v_fma_f64 v[62:63], -v[8:9], v[26:27], v[2:3]
	v_fmac_f64_e32 v[50:51], v[0:1], v[26:27]
	global_load_dwordx4 v[0:3], v[64:65], off offset:112
	global_load_dwordx4 v[8:11], v[64:65], off offset:96
	;; [unrolled: 1-line block ×4, first 2 shown]
	s_waitcnt vmcnt(0)
	v_cvt_f64_f32_e32 v[20:21], v16
	v_cvt_f64_f32_e32 v[16:17], v17
	v_fmac_f64_e32 v[4:5], v[20:21], v[82:83]
	v_fmac_f64_e32 v[48:49], v[16:17], v[82:83]
	v_fma_f64 v[4:5], -v[16:17], v[84:85], v[4:5]
	v_fmac_f64_e32 v[48:49], v[20:21], v[84:85]
	v_cvt_f64_f32_e32 v[16:17], v18
	v_cvt_f64_f32_e32 v[18:19], v19
	v_fmac_f64_e32 v[4:5], v[16:17], v[78:79]
	v_fmac_f64_e32 v[48:49], v[18:19], v[78:79]
	v_fma_f64 v[4:5], -v[18:19], v[80:81], v[4:5]
	v_fmac_f64_e32 v[48:49], v[16:17], v[80:81]
	v_cvt_f64_f32_e32 v[16:17], v12
	v_cvt_f64_f32_e32 v[12:13], v13
	v_fmac_f64_e32 v[4:5], v[16:17], v[74:75]
	v_fma_f64 v[4:5], -v[12:13], v[76:77], v[4:5]
	v_fmac_f64_e32 v[48:49], v[12:13], v[74:75]
	v_cvt_f64_f32_e32 v[12:13], v14
	v_cvt_f64_f32_e32 v[14:15], v15
	v_fmac_f64_e32 v[4:5], v[12:13], v[24:25]
	v_fma_f64 v[68:69], -v[14:15], v[26:27], v[4:5]
	v_cvt_f64_f32_e32 v[4:5], v8
	v_cvt_f64_f32_e32 v[8:9], v9
	v_fmac_f64_e32 v[6:7], v[4:5], v[82:83]
	v_fmac_f64_e32 v[40:41], v[8:9], v[82:83]
	v_fma_f64 v[6:7], -v[8:9], v[84:85], v[6:7]
	v_fmac_f64_e32 v[40:41], v[4:5], v[84:85]
	v_cvt_f64_f32_e32 v[4:5], v10
	v_cvt_f64_f32_e32 v[8:9], v11
	v_fmac_f64_e32 v[6:7], v[4:5], v[78:79]
	v_fmac_f64_e32 v[40:41], v[8:9], v[78:79]
	v_fma_f64 v[6:7], -v[8:9], v[80:81], v[6:7]
	v_fmac_f64_e32 v[40:41], v[4:5], v[80:81]
	;; [unrolled: 6-line block ×3, first 2 shown]
	v_cvt_f64_f32_e32 v[0:1], v2
	v_cvt_f64_f32_e32 v[2:3], v3
	v_fmac_f64_e32 v[40:41], v[2:3], v[24:25]
	v_fmac_f64_e32 v[6:7], v[0:1], v[24:25]
	;; [unrolled: 1-line block ×3, first 2 shown]
	global_load_dwordx2 v[0:1], v[60:61], off offset:128
	v_fmac_f64_e32 v[48:49], v[16:17], v[76:77]
	v_fmac_f64_e32 v[48:49], v[14:15], v[24:25]
	;; [unrolled: 1-line block ×3, first 2 shown]
	v_fma_f64 v[66:67], -v[2:3], v[26:27], v[6:7]
	s_waitcnt vmcnt(0)
	v_subrev_co_u32_e32 v4, vcc, s20, v0
	v_subb_co_u32_e32 v5, vcc, v1, v39, vcc
	v_lshlrev_b64 v[4:5], 6, v[4:5]
	v_add_co_u32_e32 v80, vcc, s4, v4
	global_load_dwordx4 v[0:3], v[64:65], off offset:2096
	global_load_dwordx4 v[12:15], v[64:65], off offset:2080
	;; [unrolled: 1-line block ×4, first 2 shown]
	v_addc_co_u32_e32 v81, vcc, v72, v5, vcc
	global_load_dwordx4 v[4:7], v[80:81], off offset:48
	global_load_dwordx4 v[8:11], v[80:81], off offset:32
	;; [unrolled: 1-line block ×3, first 2 shown]
	global_load_dwordx4 v[20:23], v[80:81], off
	v_add_co_u32_e32 v58, vcc, 64, v58
	v_addc_co_u32_e32 v59, vcc, 0, v59, vcc
	v_add_co_u32_e32 v60, vcc, 0x200, v60
	v_addc_co_u32_e32 v61, vcc, 0, v61, vcc
	v_cmp_ge_i64_e64 s[2:3], v[58:59], v[44:45]
	v_add_co_u32_e32 v56, vcc, 0x2000, v56
	v_addc_co_u32_e32 v57, vcc, 0, v57, vcc
	s_or_b64 s[18:19], s[2:3], s[18:19]
	s_waitcnt vmcnt(4)
	v_cvt_f64_f32_e32 v[78:79], v74
	v_cvt_f64_f32_e32 v[74:75], v75
	s_waitcnt vmcnt(0)
	v_fmac_f64_e32 v[70:71], v[78:79], v[20:21]
	v_fmac_f64_e32 v[52:53], v[74:75], v[20:21]
	v_fma_f64 v[70:71], -v[74:75], v[22:23], v[70:71]
	v_fmac_f64_e32 v[52:53], v[78:79], v[22:23]
	v_cvt_f64_f32_e32 v[74:75], v76
	v_cvt_f64_f32_e32 v[76:77], v77
	v_fmac_f64_e32 v[52:53], v[76:77], v[16:17]
	v_fmac_f64_e32 v[70:71], v[74:75], v[16:17]
	;; [unrolled: 1-line block ×3, first 2 shown]
	v_cvt_f64_f32_e32 v[74:75], v24
	v_cvt_f64_f32_e32 v[24:25], v25
	v_fma_f64 v[70:71], -v[76:77], v[18:19], v[70:71]
	v_fmac_f64_e32 v[52:53], v[24:25], v[8:9]
	v_fmac_f64_e32 v[70:71], v[74:75], v[8:9]
	;; [unrolled: 1-line block ×3, first 2 shown]
	v_cvt_f64_f32_e32 v[74:75], v27
	v_fma_f64 v[70:71], -v[24:25], v[10:11], v[70:71]
	v_cvt_f64_f32_e32 v[24:25], v26
	v_fmac_f64_e32 v[52:53], v[74:75], v[4:5]
	v_fmac_f64_e32 v[70:71], v[24:25], v[4:5]
	;; [unrolled: 1-line block ×3, first 2 shown]
	v_cvt_f64_f32_e32 v[24:25], v12
	v_cvt_f64_f32_e32 v[12:13], v13
	v_fmac_f64_e32 v[62:63], v[24:25], v[20:21]
	v_fmac_f64_e32 v[50:51], v[12:13], v[20:21]
	v_fma_f64 v[62:63], -v[12:13], v[22:23], v[62:63]
	v_fmac_f64_e32 v[50:51], v[24:25], v[22:23]
	v_cvt_f64_f32_e32 v[12:13], v14
	v_cvt_f64_f32_e32 v[14:15], v15
	v_fmac_f64_e32 v[62:63], v[12:13], v[16:17]
	v_fmac_f64_e32 v[50:51], v[14:15], v[16:17]
	v_fma_f64 v[24:25], -v[14:15], v[18:19], v[62:63]
	v_fmac_f64_e32 v[50:51], v[12:13], v[18:19]
	;; [unrolled: 6-line block ×3, first 2 shown]
	v_cvt_f64_f32_e32 v[0:1], v2
	v_cvt_f64_f32_e32 v[2:3], v3
	v_fmac_f64_e32 v[14:15], v[0:1], v[4:5]
	v_fmac_f64_e32 v[50:51], v[2:3], v[4:5]
	v_fma_f64 v[26:27], -v[74:75], v[6:7], v[70:71]
	v_fma_f64 v[62:63], -v[2:3], v[6:7], v[14:15]
	v_fmac_f64_e32 v[50:51], v[0:1], v[6:7]
	global_load_dwordx4 v[0:3], v[64:65], off offset:2160
	global_load_dwordx4 v[12:15], v[64:65], off offset:2144
	;; [unrolled: 1-line block ×4, first 2 shown]
	s_waitcnt vmcnt(1)
	v_cvt_f64_f32_e32 v[70:71], v77
	s_waitcnt vmcnt(0)
	v_cvt_f64_f32_e32 v[24:25], v78
	v_cvt_f64_f32_e32 v[64:65], v79
	v_fmac_f64_e32 v[68:69], v[24:25], v[20:21]
	v_fmac_f64_e32 v[48:49], v[64:65], v[20:21]
	v_fma_f64 v[68:69], -v[64:65], v[22:23], v[68:69]
	v_fmac_f64_e32 v[48:49], v[24:25], v[22:23]
	v_cvt_f64_f32_e32 v[24:25], v80
	v_cvt_f64_f32_e32 v[64:65], v81
	v_fmac_f64_e32 v[68:69], v[24:25], v[16:17]
	v_fmac_f64_e32 v[48:49], v[64:65], v[16:17]
	v_fma_f64 v[68:69], -v[64:65], v[18:19], v[68:69]
	v_fmac_f64_e32 v[48:49], v[24:25], v[18:19]
	v_cvt_f64_f32_e32 v[64:65], v75
	v_cvt_f64_f32_e32 v[24:25], v74
	v_fmac_f64_e32 v[48:49], v[64:65], v[8:9]
	v_fmac_f64_e32 v[68:69], v[24:25], v[8:9]
	;; [unrolled: 1-line block ×3, first 2 shown]
	v_fma_f64 v[68:69], -v[64:65], v[10:11], v[68:69]
	v_cvt_f64_f32_e32 v[64:65], v76
	v_fmac_f64_e32 v[48:49], v[70:71], v[4:5]
	v_fmac_f64_e32 v[68:69], v[64:65], v[4:5]
	;; [unrolled: 1-line block ×3, first 2 shown]
	v_cvt_f64_f32_e32 v[64:65], v12
	v_cvt_f64_f32_e32 v[12:13], v13
	v_fmac_f64_e32 v[66:67], v[64:65], v[20:21]
	v_fmac_f64_e32 v[40:41], v[12:13], v[20:21]
	v_fma_f64 v[66:67], -v[12:13], v[22:23], v[66:67]
	v_fmac_f64_e32 v[40:41], v[64:65], v[22:23]
	v_cvt_f64_f32_e32 v[12:13], v14
	v_cvt_f64_f32_e32 v[14:15], v15
	v_fmac_f64_e32 v[66:67], v[12:13], v[16:17]
	v_fmac_f64_e32 v[40:41], v[14:15], v[16:17]
	v_fma_f64 v[20:21], -v[14:15], v[18:19], v[66:67]
	v_fmac_f64_e32 v[40:41], v[12:13], v[18:19]
	;; [unrolled: 6-line block ×3, first 2 shown]
	v_cvt_f64_f32_e32 v[0:1], v2
	v_cvt_f64_f32_e32 v[2:3], v3
	v_fmac_f64_e32 v[14:15], v[0:1], v[4:5]
	v_fmac_f64_e32 v[40:41], v[2:3], v[4:5]
	v_fma_f64 v[24:25], -v[70:71], v[6:7], v[68:69]
	v_fma_f64 v[16:17], -v[2:3], v[6:7], v[14:15]
	v_fmac_f64_e32 v[40:41], v[0:1], v[6:7]
	s_andn2_b64 exec, exec, s[18:19]
	s_cbranch_execnz .LBB177_25
; %bb.26:
	s_or_b64 exec, exec, s[18:19]
.LBB177_27:
	s_or_b64 exec, exec, s[14:15]
.LBB177_28:
	s_or_b64 exec, exec, s[10:11]
	s_andn2_b64 vcc, exec, s[8:9]
	s_cbranch_vccz .LBB177_30
	s_branch .LBB177_41
.LBB177_29:
                                        ; implicit-def: $vgpr52_vgpr53
                                        ; implicit-def: $vgpr26_vgpr27
                                        ; implicit-def: $vgpr50_vgpr51
                                        ; implicit-def: $vgpr62_vgpr63
                                        ; implicit-def: $vgpr48_vgpr49
                                        ; implicit-def: $vgpr24_vgpr25
                                        ; implicit-def: $vgpr40_vgpr41
                                        ; implicit-def: $vgpr16_vgpr17
.LBB177_30:
	v_pk_mov_b32 v[52:53], 0, 0
	v_pk_mov_b32 v[26:27], v[52:53], v[52:53] op_sel:[0,1]
	v_pk_mov_b32 v[50:51], v[52:53], v[52:53] op_sel:[0,1]
	v_pk_mov_b32 v[62:63], v[52:53], v[52:53] op_sel:[0,1]
	v_pk_mov_b32 v[48:49], v[52:53], v[52:53] op_sel:[0,1]
	v_pk_mov_b32 v[24:25], v[52:53], v[52:53] op_sel:[0,1]
	v_pk_mov_b32 v[40:41], v[52:53], v[52:53] op_sel:[0,1]
	v_pk_mov_b32 v[16:17], v[52:53], v[52:53] op_sel:[0,1]
	s_and_saveexec_b64 s[2:3], s[0:1]
	s_cbranch_execz .LBB177_40
; %bb.31:
	v_or_b32_e32 v0, 16, v38
	v_mov_b32_e32 v1, s17
	v_subrev_co_u32_e32 v0, vcc, s20, v0
	v_subb_co_u32_e32 v1, vcc, 0, v1, vcc
	v_add_co_u32_e32 v0, vcc, v0, v54
	v_addc_co_u32_e32 v1, vcc, v1, v55, vcc
	v_cmp_gt_i64_e32 vcc, v[0:1], v[44:45]
	v_cndmask_b32_e32 v1, v45, v1, vcc
	v_cndmask_b32_e32 v0, v44, v0, vcc
	v_mov_b32_e32 v4, s17
	v_sub_co_u32_e32 v5, vcc, s20, v38
	v_not_b32_e32 v3, v54
	v_subbrev_co_u32_e32 v4, vcc, 0, v4, vcc
	v_not_b32_e32 v2, v55
	v_add_co_u32_e32 v3, vcc, v5, v3
	v_addc_co_u32_e32 v2, vcc, v4, v2, vcc
	v_add_co_u32_e32 v18, vcc, v3, v0
	v_lshrrev_b32_e32 v0, 4, v18
	v_add_u32_e32 v0, 1, v0
	v_addc_co_u32_e32 v19, vcc, v2, v1, vcc
	v_and_b32_e32 v0, 3, v0
	v_pk_mov_b32 v[16:17], 0, 0
	v_cmp_ne_u32_e32 vcc, 0, v0
	s_mov_b64 s[10:11], 0
	v_pk_mov_b32 v[40:41], v[16:17], v[16:17] op_sel:[0,1]
	v_pk_mov_b32 v[24:25], v[16:17], v[16:17] op_sel:[0,1]
	;; [unrolled: 1-line block ×7, first 2 shown]
	s_and_saveexec_b64 s[8:9], vcc
	s_cbranch_execz .LBB177_35
; %bb.32:
	v_lshlrev_b64 v[2:3], 3, v[42:43]
	v_mov_b32_e32 v1, s13
	v_add_co_u32_e32 v22, vcc, s12, v2
	v_pk_mov_b32 v[52:53], 0, 0
	v_mov_b32_e32 v21, 0
	v_addc_co_u32_e32 v23, vcc, v1, v3, vcc
	v_lshlrev_b32_e32 v20, 3, v0
	s_movk_i32 s14, 0x800
	v_mov_b32_e32 v39, s17
	v_mov_b32_e32 v56, s5
	v_pk_mov_b32 v[26:27], v[52:53], v[52:53] op_sel:[0,1]
	v_pk_mov_b32 v[50:51], v[52:53], v[52:53] op_sel:[0,1]
	;; [unrolled: 1-line block ×7, first 2 shown]
.LBB177_33:                             ; =>This Inner Loop Header: Depth=1
	global_load_dwordx2 v[54:55], v[22:23], off
	global_load_dwordx4 v[12:15], v[46:47], off
	global_load_dwordx4 v[8:11], v[46:47], off offset:16
	global_load_dwordx4 v[4:7], v[46:47], off offset:32
	;; [unrolled: 1-line block ×7, first 2 shown]
	v_add_co_u32_e32 v46, vcc, s14, v46
	v_addc_co_u32_e32 v47, vcc, 0, v47, vcc
	v_add_co_u32_e32 v22, vcc, 0x80, v22
	v_addc_co_u32_e32 v23, vcc, 0, v23, vcc
	v_add_co_u32_e64 v42, s[0:1], 16, v42
	v_addc_co_u32_e64 v43, s[0:1], 0, v43, s[0:1]
	v_add_co_u32_e64 v20, s[0:1], -8, v20
	v_addc_co_u32_e64 v21, s[0:1], -1, v21, s[0:1]
	v_cmp_eq_u64_e64 s[0:1], 0, v[20:21]
	s_or_b64 s[10:11], s[0:1], s[10:11]
	s_waitcnt vmcnt(8)
	v_subrev_co_u32_e32 v54, vcc, s20, v54
	v_subb_co_u32_e32 v55, vcc, v55, v39, vcc
	s_waitcnt vmcnt(5)
	v_cvt_f64_f32_e32 v[96:97], v4
	v_cvt_f64_f32_e32 v[98:99], v5
	v_lshlrev_b64 v[4:5], 6, v[54:55]
	v_add_co_u32_e32 v54, vcc, s4, v4
	v_addc_co_u32_e32 v55, vcc, v56, v5, vcc
	v_cvt_f64_f32_e32 v[80:81], v12
	v_cvt_f64_f32_e32 v[82:83], v13
	;; [unrolled: 1-line block ×10, first 2 shown]
	global_load_dwordx4 v[4:7], v[54:55], off
	global_load_dwordx4 v[8:11], v[54:55], off offset:16
	global_load_dwordx4 v[12:15], v[54:55], off offset:32
	;; [unrolled: 1-line block ×3, first 2 shown]
	s_waitcnt vmcnt(8)
	v_cvt_f64_f32_e32 v[104:105], v0
	v_cvt_f64_f32_e32 v[0:1], v1
	v_cvt_f64_f32_e32 v[106:107], v2
	v_cvt_f64_f32_e32 v[2:3], v3
	s_waitcnt vmcnt(7)
	v_cvt_f64_f32_e32 v[54:55], v58
	v_cvt_f64_f32_e32 v[58:59], v59
	v_cvt_f64_f32_e32 v[108:109], v60
	v_cvt_f64_f32_e32 v[60:61], v61
	;; [unrolled: 5-line block ×5, first 2 shown]
	s_waitcnt vmcnt(3)
	v_fmac_f64_e32 v[26:27], v[80:81], v[4:5]
	v_fmac_f64_e32 v[52:53], v[82:83], v[4:5]
	v_fmac_f64_e32 v[62:63], v[84:85], v[4:5]
	v_fmac_f64_e32 v[50:51], v[86:87], v[4:5]
	v_fmac_f64_e32 v[24:25], v[88:89], v[4:5]
	v_fmac_f64_e32 v[48:49], v[90:91], v[4:5]
	v_fmac_f64_e32 v[16:17], v[92:93], v[4:5]
	v_fmac_f64_e32 v[40:41], v[94:95], v[4:5]
	v_fma_f64 v[4:5], -v[82:83], v[6:7], v[26:27]
	v_fmac_f64_e32 v[52:53], v[80:81], v[6:7]
	v_fma_f64 v[26:27], -v[86:87], v[6:7], v[62:63]
	v_fmac_f64_e32 v[50:51], v[84:85], v[6:7]
	v_fma_f64 v[24:25], -v[90:91], v[6:7], v[24:25]
	v_fmac_f64_e32 v[48:49], v[88:89], v[6:7]
	v_fma_f64 v[16:17], -v[94:95], v[6:7], v[16:17]
	v_fmac_f64_e32 v[40:41], v[92:93], v[6:7]
	s_waitcnt vmcnt(2)
	v_fmac_f64_e32 v[4:5], v[96:97], v[8:9]
	v_fmac_f64_e32 v[52:53], v[98:99], v[8:9]
	v_fmac_f64_e32 v[26:27], v[100:101], v[8:9]
	v_fmac_f64_e32 v[50:51], v[102:103], v[8:9]
	v_fmac_f64_e32 v[24:25], v[104:105], v[8:9]
	v_fmac_f64_e32 v[48:49], v[0:1], v[8:9]
	v_fmac_f64_e32 v[16:17], v[106:107], v[8:9]
	v_fmac_f64_e32 v[40:41], v[2:3], v[8:9]
	v_fma_f64 v[4:5], -v[98:99], v[10:11], v[4:5]
	v_fmac_f64_e32 v[52:53], v[96:97], v[10:11]
	v_fma_f64 v[6:7], -v[102:103], v[10:11], v[26:27]
	v_fmac_f64_e32 v[50:51], v[100:101], v[10:11]
	v_fma_f64 v[0:1], -v[0:1], v[10:11], v[24:25]
	v_fmac_f64_e32 v[48:49], v[104:105], v[10:11]
	v_fma_f64 v[2:3], -v[2:3], v[10:11], v[16:17]
	v_fmac_f64_e32 v[40:41], v[106:107], v[10:11]
	s_waitcnt vmcnt(1)
	v_fmac_f64_e32 v[4:5], v[54:55], v[12:13]
	v_fmac_f64_e32 v[52:53], v[58:59], v[12:13]
	v_fmac_f64_e32 v[6:7], v[108:109], v[12:13]
	v_fmac_f64_e32 v[50:51], v[60:61], v[12:13]
	v_fmac_f64_e32 v[0:1], v[110:111], v[12:13]
	v_fmac_f64_e32 v[48:49], v[64:65], v[12:13]
	v_fmac_f64_e32 v[2:3], v[112:113], v[12:13]
	v_fmac_f64_e32 v[40:41], v[66:67], v[12:13]
	v_fma_f64 v[4:5], -v[58:59], v[14:15], v[4:5]
	v_fmac_f64_e32 v[52:53], v[54:55], v[14:15]
	v_fma_f64 v[6:7], -v[60:61], v[14:15], v[6:7]
	v_fmac_f64_e32 v[50:51], v[108:109], v[14:15]
	v_fma_f64 v[0:1], -v[64:65], v[14:15], v[0:1]
	v_fmac_f64_e32 v[48:49], v[110:111], v[14:15]
	v_fma_f64 v[2:3], -v[66:67], v[14:15], v[2:3]
	v_fmac_f64_e32 v[40:41], v[112:113], v[14:15]
	s_waitcnt vmcnt(0)
	v_fmac_f64_e32 v[4:5], v[114:115], v[76:77]
	v_fmac_f64_e32 v[52:53], v[68:69], v[76:77]
	v_fmac_f64_e32 v[6:7], v[116:117], v[76:77]
	v_fmac_f64_e32 v[50:51], v[70:71], v[76:77]
	v_fmac_f64_e32 v[0:1], v[118:119], v[76:77]
	v_fmac_f64_e32 v[48:49], v[72:73], v[76:77]
	v_fmac_f64_e32 v[2:3], v[120:121], v[76:77]
	v_fmac_f64_e32 v[40:41], v[74:75], v[76:77]
	v_fma_f64 v[26:27], -v[68:69], v[78:79], v[4:5]
	v_fmac_f64_e32 v[52:53], v[114:115], v[78:79]
	v_fma_f64 v[62:63], -v[70:71], v[78:79], v[6:7]
	v_fmac_f64_e32 v[50:51], v[116:117], v[78:79]
	v_fma_f64 v[24:25], -v[72:73], v[78:79], v[0:1]
	v_fmac_f64_e32 v[48:49], v[118:119], v[78:79]
	v_fma_f64 v[16:17], -v[74:75], v[78:79], v[2:3]
	v_fmac_f64_e32 v[40:41], v[120:121], v[78:79]
	s_andn2_b64 exec, exec, s[10:11]
	s_cbranch_execnz .LBB177_33
; %bb.34:
	s_or_b64 exec, exec, s[10:11]
.LBB177_35:
	s_or_b64 exec, exec, s[8:9]
	v_cmp_lt_u64_e32 vcc, 47, v[18:19]
	s_and_saveexec_b64 s[8:9], vcc
	s_cbranch_execz .LBB177_39
; %bb.36:
	v_lshlrev_b64 v[0:1], 3, v[42:43]
	v_mov_b32_e32 v2, s13
	v_add_co_u32_e32 v0, vcc, s12, v0
	v_addc_co_u32_e32 v1, vcc, v1, v2, vcc
	v_add_co_u32_e32 v20, vcc, 0x100, v0
	v_addc_co_u32_e32 v21, vcc, 0, v1, vcc
	s_mov_b64 s[10:11], 0
	v_mov_b32_e32 v39, s17
	v_mov_b32_e32 v58, s5
	s_movk_i32 s5, 0x1000
.LBB177_37:                             ; =>This Inner Loop Header: Depth=1
	global_load_dwordx2 v[0:1], v[20:21], off offset:-256
	global_load_dwordx4 v[8:11], v[46:47], off offset:48
	global_load_dwordx4 v[12:15], v[46:47], off offset:32
	;; [unrolled: 1-line block ×3, first 2 shown]
	global_load_dwordx4 v[64:67], v[46:47], off
	s_waitcnt vmcnt(4)
	v_subrev_co_u32_e32 v0, vcc, s20, v0
	v_subb_co_u32_e32 v1, vcc, v1, v39, vcc
	v_lshlrev_b64 v[0:1], 6, v[0:1]
	v_add_co_u32_e32 v60, vcc, s4, v0
	v_addc_co_u32_e32 v61, vcc, v58, v1, vcc
	global_load_dwordx4 v[0:3], v[60:61], off offset:48
	global_load_dwordx4 v[4:7], v[60:61], off offset:32
	;; [unrolled: 1-line block ×3, first 2 shown]
	global_load_dwordx4 v[72:75], v[60:61], off
	s_waitcnt vmcnt(4)
	v_cvt_f64_f32_e32 v[18:19], v64
	v_cvt_f64_f32_e32 v[22:23], v65
	s_waitcnt vmcnt(0)
	v_fmac_f64_e32 v[26:27], v[18:19], v[72:73]
	v_fma_f64 v[26:27], -v[22:23], v[74:75], v[26:27]
	v_fmac_f64_e32 v[52:53], v[22:23], v[72:73]
	v_cvt_f64_f32_e32 v[22:23], v67
	v_fmac_f64_e32 v[52:53], v[18:19], v[74:75]
	v_cvt_f64_f32_e32 v[18:19], v66
	v_fmac_f64_e32 v[50:51], v[22:23], v[72:73]
	v_fmac_f64_e32 v[62:63], v[18:19], v[72:73]
	;; [unrolled: 1-line block ×3, first 2 shown]
	v_cvt_f64_f32_e32 v[18:19], v54
	v_fma_f64 v[60:61], -v[22:23], v[74:75], v[62:63]
	v_cvt_f64_f32_e32 v[22:23], v55
	v_fmac_f64_e32 v[24:25], v[18:19], v[72:73]
	v_fma_f64 v[24:25], -v[22:23], v[74:75], v[24:25]
	v_fmac_f64_e32 v[48:49], v[22:23], v[72:73]
	v_cvt_f64_f32_e32 v[22:23], v57
	v_fmac_f64_e32 v[48:49], v[18:19], v[74:75]
	v_cvt_f64_f32_e32 v[18:19], v56
	v_fmac_f64_e32 v[40:41], v[22:23], v[72:73]
	v_fmac_f64_e32 v[16:17], v[18:19], v[72:73]
	;; [unrolled: 1-line block ×3, first 2 shown]
	v_cvt_f64_f32_e32 v[18:19], v12
	v_cvt_f64_f32_e32 v[12:13], v13
	v_fmac_f64_e32 v[26:27], v[18:19], v[68:69]
	v_fma_f64 v[26:27], -v[12:13], v[70:71], v[26:27]
	v_fmac_f64_e32 v[52:53], v[12:13], v[68:69]
	v_cvt_f64_f32_e32 v[12:13], v14
	v_cvt_f64_f32_e32 v[14:15], v15
	v_fmac_f64_e32 v[50:51], v[14:15], v[68:69]
	v_fmac_f64_e32 v[60:61], v[12:13], v[68:69]
	;; [unrolled: 1-line block ×3, first 2 shown]
	v_cvt_f64_f32_e32 v[12:13], v8
	v_cvt_f64_f32_e32 v[8:9], v9
	v_fmac_f64_e32 v[24:25], v[12:13], v[68:69]
	v_fma_f64 v[16:17], -v[22:23], v[74:75], v[16:17]
	v_fma_f64 v[56:57], -v[8:9], v[70:71], v[24:25]
	v_fmac_f64_e32 v[48:49], v[8:9], v[68:69]
	v_cvt_f64_f32_e32 v[8:9], v10
	v_cvt_f64_f32_e32 v[10:11], v11
	v_fmac_f64_e32 v[16:17], v[8:9], v[68:69]
	v_fmac_f64_e32 v[40:41], v[10:11], v[68:69]
	;; [unrolled: 1-line block ×3, first 2 shown]
	v_fma_f64 v[54:55], -v[14:15], v[70:71], v[60:61]
	v_fmac_f64_e32 v[48:49], v[12:13], v[70:71]
	v_fma_f64 v[60:61], -v[10:11], v[70:71], v[16:17]
	v_fmac_f64_e32 v[40:41], v[8:9], v[70:71]
	global_load_dwordx4 v[8:11], v[46:47], off offset:112
	global_load_dwordx4 v[12:15], v[46:47], off offset:96
	;; [unrolled: 1-line block ×4, first 2 shown]
	s_waitcnt vmcnt(0)
	v_cvt_f64_f32_e32 v[62:63], v22
	v_cvt_f64_f32_e32 v[22:23], v23
	v_fmac_f64_e32 v[26:27], v[62:63], v[4:5]
	v_fma_f64 v[26:27], -v[22:23], v[6:7], v[26:27]
	v_fmac_f64_e32 v[52:53], v[22:23], v[4:5]
	v_cvt_f64_f32_e32 v[22:23], v24
	v_cvt_f64_f32_e32 v[24:25], v25
	v_fmac_f64_e32 v[50:51], v[24:25], v[4:5]
	v_fmac_f64_e32 v[54:55], v[22:23], v[4:5]
	;; [unrolled: 1-line block ×3, first 2 shown]
	v_cvt_f64_f32_e32 v[22:23], v16
	v_cvt_f64_f32_e32 v[16:17], v17
	v_fmac_f64_e32 v[56:57], v[22:23], v[4:5]
	v_fma_f64 v[54:55], -v[24:25], v[6:7], v[54:55]
	v_fma_f64 v[24:25], -v[16:17], v[6:7], v[56:57]
	v_fmac_f64_e32 v[48:49], v[16:17], v[4:5]
	v_cvt_f64_f32_e32 v[16:17], v18
	v_cvt_f64_f32_e32 v[18:19], v19
	v_fmac_f64_e32 v[60:61], v[16:17], v[4:5]
	v_fmac_f64_e32 v[40:41], v[18:19], v[4:5]
	;; [unrolled: 1-line block ×4, first 2 shown]
	v_fma_f64 v[22:23], -v[18:19], v[6:7], v[60:61]
	v_fmac_f64_e32 v[40:41], v[16:17], v[6:7]
	v_cvt_f64_f32_e32 v[4:5], v12
	v_cvt_f64_f32_e32 v[6:7], v13
	v_fmac_f64_e32 v[26:27], v[4:5], v[0:1]
	v_fmac_f64_e32 v[52:53], v[6:7], v[0:1]
	v_fma_f64 v[26:27], -v[6:7], v[2:3], v[26:27]
	v_fmac_f64_e32 v[52:53], v[4:5], v[2:3]
	v_cvt_f64_f32_e32 v[4:5], v14
	v_cvt_f64_f32_e32 v[6:7], v15
	v_fmac_f64_e32 v[54:55], v[4:5], v[0:1]
	v_fmac_f64_e32 v[50:51], v[6:7], v[0:1]
	v_fma_f64 v[64:65], -v[6:7], v[2:3], v[54:55]
	v_fmac_f64_e32 v[50:51], v[4:5], v[2:3]
	v_cvt_f64_f32_e32 v[4:5], v8
	v_cvt_f64_f32_e32 v[6:7], v9
	v_fmac_f64_e32 v[24:25], v[4:5], v[0:1]
	v_fmac_f64_e32 v[48:49], v[6:7], v[0:1]
	v_fma_f64 v[66:67], -v[6:7], v[2:3], v[24:25]
	v_fmac_f64_e32 v[48:49], v[4:5], v[2:3]
	v_cvt_f64_f32_e32 v[4:5], v10
	v_cvt_f64_f32_e32 v[6:7], v11
	v_fmac_f64_e32 v[22:23], v[4:5], v[0:1]
	v_fmac_f64_e32 v[40:41], v[6:7], v[0:1]
	global_load_dwordx2 v[0:1], v[20:21], off offset:-128
	v_fma_f64 v[68:69], -v[6:7], v[2:3], v[22:23]
	v_fmac_f64_e32 v[40:41], v[4:5], v[2:3]
	s_waitcnt vmcnt(0)
	v_subrev_co_u32_e32 v16, vcc, s20, v0
	v_subb_co_u32_e32 v17, vcc, v1, v39, vcc
	v_lshlrev_b64 v[16:17], 6, v[16:17]
	v_add_co_u32_e32 v72, vcc, s4, v16
	global_load_dwordx4 v[0:3], v[46:47], off offset:2096
	global_load_dwordx4 v[4:7], v[46:47], off offset:2080
	;; [unrolled: 1-line block ×4, first 2 shown]
	v_addc_co_u32_e32 v73, vcc, v58, v17, vcc
	global_load_dwordx4 v[16:19], v[72:73], off offset:48
	global_load_dwordx4 v[22:25], v[72:73], off offset:32
	global_load_dwordx4 v[54:57], v[72:73], off offset:16
	global_load_dwordx4 v[60:63], v[72:73], off
	s_waitcnt vmcnt(4)
	v_cvt_f64_f32_e32 v[70:71], v12
	v_cvt_f64_f32_e32 v[12:13], v13
	s_waitcnt vmcnt(0)
	v_fmac_f64_e32 v[26:27], v[70:71], v[60:61]
	v_fma_f64 v[26:27], -v[12:13], v[62:63], v[26:27]
	v_fmac_f64_e32 v[52:53], v[12:13], v[60:61]
	v_cvt_f64_f32_e32 v[12:13], v14
	v_cvt_f64_f32_e32 v[14:15], v15
	v_fmac_f64_e32 v[50:51], v[14:15], v[60:61]
	v_fmac_f64_e32 v[64:65], v[12:13], v[60:61]
	;; [unrolled: 1-line block ×3, first 2 shown]
	v_cvt_f64_f32_e32 v[12:13], v8
	v_cvt_f64_f32_e32 v[8:9], v9
	v_fmac_f64_e32 v[66:67], v[12:13], v[60:61]
	v_fma_f64 v[64:65], -v[14:15], v[62:63], v[64:65]
	v_fma_f64 v[14:15], -v[8:9], v[62:63], v[66:67]
	v_fmac_f64_e32 v[48:49], v[8:9], v[60:61]
	v_cvt_f64_f32_e32 v[8:9], v10
	v_cvt_f64_f32_e32 v[10:11], v11
	v_fmac_f64_e32 v[40:41], v[10:11], v[60:61]
	v_fmac_f64_e32 v[68:69], v[8:9], v[60:61]
	;; [unrolled: 1-line block ×3, first 2 shown]
	v_cvt_f64_f32_e32 v[8:9], v4
	v_fmac_f64_e32 v[52:53], v[70:71], v[62:63]
	v_cvt_f64_f32_e32 v[4:5], v5
	v_fmac_f64_e32 v[26:27], v[8:9], v[54:55]
	v_fma_f64 v[26:27], -v[4:5], v[56:57], v[26:27]
	v_fmac_f64_e32 v[52:53], v[4:5], v[54:55]
	v_cvt_f64_f32_e32 v[4:5], v6
	v_cvt_f64_f32_e32 v[6:7], v7
	v_fmac_f64_e32 v[50:51], v[6:7], v[54:55]
	v_fmac_f64_e32 v[64:65], v[4:5], v[54:55]
	;; [unrolled: 1-line block ×3, first 2 shown]
	v_cvt_f64_f32_e32 v[4:5], v0
	v_fmac_f64_e32 v[48:49], v[12:13], v[62:63]
	v_cvt_f64_f32_e32 v[0:1], v1
	v_fmac_f64_e32 v[14:15], v[4:5], v[54:55]
	v_fma_f64 v[12:13], -v[10:11], v[62:63], v[68:69]
	v_fma_f64 v[62:63], -v[0:1], v[56:57], v[14:15]
	v_fmac_f64_e32 v[48:49], v[0:1], v[54:55]
	v_cvt_f64_f32_e32 v[0:1], v2
	v_cvt_f64_f32_e32 v[2:3], v3
	v_fmac_f64_e32 v[12:13], v[0:1], v[54:55]
	v_fmac_f64_e32 v[40:41], v[2:3], v[54:55]
	;; [unrolled: 1-line block ×3, first 2 shown]
	v_fma_f64 v[60:61], -v[6:7], v[56:57], v[64:65]
	v_fmac_f64_e32 v[48:49], v[4:5], v[56:57]
	v_fma_f64 v[64:65], -v[2:3], v[56:57], v[12:13]
	v_fmac_f64_e32 v[40:41], v[0:1], v[56:57]
	global_load_dwordx4 v[4:7], v[46:47], off offset:2160
	global_load_dwordx4 v[0:3], v[46:47], off offset:2144
	;; [unrolled: 1-line block ×4, first 2 shown]
	s_waitcnt vmcnt(0)
	v_cvt_f64_f32_e32 v[54:55], v12
	v_cvt_f64_f32_e32 v[12:13], v13
	v_fmac_f64_e32 v[26:27], v[54:55], v[22:23]
	v_fma_f64 v[26:27], -v[12:13], v[24:25], v[26:27]
	v_fmac_f64_e32 v[52:53], v[12:13], v[22:23]
	v_cvt_f64_f32_e32 v[12:13], v14
	v_cvt_f64_f32_e32 v[14:15], v15
	v_fmac_f64_e32 v[50:51], v[14:15], v[22:23]
	v_fmac_f64_e32 v[60:61], v[12:13], v[22:23]
	;; [unrolled: 1-line block ×3, first 2 shown]
	v_cvt_f64_f32_e32 v[12:13], v8
	v_cvt_f64_f32_e32 v[8:9], v9
	v_fmac_f64_e32 v[62:63], v[12:13], v[22:23]
	v_fmac_f64_e32 v[52:53], v[54:55], v[24:25]
	v_fma_f64 v[54:55], -v[14:15], v[24:25], v[60:61]
	v_fma_f64 v[14:15], -v[8:9], v[24:25], v[62:63]
	v_fmac_f64_e32 v[48:49], v[8:9], v[22:23]
	v_cvt_f64_f32_e32 v[8:9], v10
	v_cvt_f64_f32_e32 v[10:11], v11
	v_fmac_f64_e32 v[40:41], v[10:11], v[22:23]
	v_fmac_f64_e32 v[64:65], v[8:9], v[22:23]
	;; [unrolled: 1-line block ×3, first 2 shown]
	v_cvt_f64_f32_e32 v[8:9], v0
	v_fmac_f64_e32 v[48:49], v[12:13], v[24:25]
	v_fma_f64 v[12:13], -v[10:11], v[24:25], v[64:65]
	v_cvt_f64_f32_e32 v[10:11], v1
	v_fmac_f64_e32 v[26:27], v[8:9], v[16:17]
	v_fma_f64 v[0:1], -v[10:11], v[18:19], v[26:27]
	v_fmac_f64_e32 v[52:53], v[10:11], v[16:17]
	v_cvt_f64_f32_e32 v[10:11], v3
	v_fmac_f64_e32 v[52:53], v[8:9], v[18:19]
	v_cvt_f64_f32_e32 v[8:9], v2
	v_fmac_f64_e32 v[50:51], v[10:11], v[16:17]
	v_fmac_f64_e32 v[54:55], v[8:9], v[16:17]
	;; [unrolled: 1-line block ×3, first 2 shown]
	v_cvt_f64_f32_e32 v[8:9], v4
	v_fma_f64 v[2:3], -v[10:11], v[18:19], v[54:55]
	v_cvt_f64_f32_e32 v[10:11], v5
	v_fmac_f64_e32 v[14:15], v[8:9], v[16:17]
	v_fma_f64 v[4:5], -v[10:11], v[18:19], v[14:15]
	v_fmac_f64_e32 v[48:49], v[10:11], v[16:17]
	v_cvt_f64_f32_e32 v[10:11], v7
	v_fmac_f64_e32 v[48:49], v[8:9], v[18:19]
	v_cvt_f64_f32_e32 v[8:9], v6
	v_fmac_f64_e32 v[40:41], v[10:11], v[16:17]
	v_fmac_f64_e32 v[12:13], v[8:9], v[16:17]
	;; [unrolled: 1-line block ×3, first 2 shown]
	global_load_dwordx2 v[8:9], v[20:21], off
	v_add_co_u32_e32 v22, vcc, s5, v46
	v_addc_co_u32_e32 v23, vcc, 0, v47, vcc
	v_fma_f64 v[6:7], -v[10:11], v[18:19], v[12:13]
	s_waitcnt vmcnt(0)
	v_subrev_co_u32_e32 v54, vcc, s20, v8
	v_subb_co_u32_e32 v55, vcc, v9, v39, vcc
	v_lshlrev_b64 v[54:55], 6, v[54:55]
	v_add_co_u32_e32 v74, vcc, s4, v54
	v_addc_co_u32_e32 v75, vcc, v58, v55, vcc
	global_load_dwordx4 v[8:11], v[22:23], off
	global_load_dwordx4 v[12:15], v[22:23], off offset:48
	global_load_dwordx4 v[16:19], v[22:23], off offset:32
	;; [unrolled: 1-line block ×6, first 2 shown]
	global_load_dwordx4 v[68:71], v[74:75], off
	s_waitcnt vmcnt(7)
	v_cvt_f64_f32_e32 v[72:73], v8
	v_cvt_f64_f32_e32 v[8:9], v9
	s_waitcnt vmcnt(0)
	v_fmac_f64_e32 v[0:1], v[72:73], v[68:69]
	v_fma_f64 v[0:1], -v[8:9], v[70:71], v[0:1]
	v_fmac_f64_e32 v[52:53], v[8:9], v[68:69]
	v_cvt_f64_f32_e32 v[8:9], v10
	v_cvt_f64_f32_e32 v[10:11], v11
	v_fmac_f64_e32 v[2:3], v[8:9], v[68:69]
	v_fmac_f64_e32 v[50:51], v[10:11], v[68:69]
	v_fma_f64 v[2:3], -v[10:11], v[70:71], v[2:3]
	v_fmac_f64_e32 v[50:51], v[8:9], v[70:71]
	v_cvt_f64_f32_e32 v[8:9], v24
	v_cvt_f64_f32_e32 v[10:11], v25
	v_fmac_f64_e32 v[4:5], v[8:9], v[68:69]
	;; [unrolled: 6-line block ×3, first 2 shown]
	v_fmac_f64_e32 v[40:41], v[10:11], v[68:69]
	v_fmac_f64_e32 v[52:53], v[72:73], v[70:71]
	v_fma_f64 v[6:7], -v[10:11], v[70:71], v[6:7]
	v_fmac_f64_e32 v[40:41], v[8:9], v[70:71]
	v_cvt_f64_f32_e32 v[8:9], v16
	v_cvt_f64_f32_e32 v[10:11], v17
	v_fmac_f64_e32 v[0:1], v[8:9], v[64:65]
	v_fmac_f64_e32 v[52:53], v[10:11], v[64:65]
	v_fma_f64 v[16:17], -v[10:11], v[66:67], v[0:1]
	v_fmac_f64_e32 v[52:53], v[8:9], v[66:67]
	v_cvt_f64_f32_e32 v[0:1], v18
	v_cvt_f64_f32_e32 v[8:9], v19
	;; [unrolled: 6-line block ×4, first 2 shown]
	v_fmac_f64_e32 v[6:7], v[0:1], v[64:65]
	v_fmac_f64_e32 v[40:41], v[2:3], v[64:65]
	v_fma_f64 v[26:27], -v[2:3], v[66:67], v[6:7]
	v_fmac_f64_e32 v[40:41], v[0:1], v[66:67]
	global_load_dwordx4 v[0:3], v[22:23], off offset:112
	global_load_dwordx4 v[4:7], v[22:23], off offset:96
	;; [unrolled: 1-line block ×4, first 2 shown]
	s_waitcnt vmcnt(0)
	v_cvt_f64_f32_e32 v[64:65], v12
	v_cvt_f64_f32_e32 v[12:13], v13
	v_fmac_f64_e32 v[16:17], v[64:65], v[54:55]
	v_fma_f64 v[16:17], -v[12:13], v[56:57], v[16:17]
	v_fmac_f64_e32 v[52:53], v[12:13], v[54:55]
	v_cvt_f64_f32_e32 v[12:13], v14
	v_cvt_f64_f32_e32 v[14:15], v15
	v_fmac_f64_e32 v[50:51], v[14:15], v[54:55]
	v_fmac_f64_e32 v[18:19], v[12:13], v[54:55]
	v_fmac_f64_e32 v[50:51], v[12:13], v[56:57]
	v_cvt_f64_f32_e32 v[12:13], v8
	v_cvt_f64_f32_e32 v[8:9], v9
	v_fmac_f64_e32 v[24:25], v[12:13], v[54:55]
	v_fma_f64 v[18:19], -v[14:15], v[56:57], v[18:19]
	v_fma_f64 v[14:15], -v[8:9], v[56:57], v[24:25]
	v_fmac_f64_e32 v[48:49], v[8:9], v[54:55]
	v_cvt_f64_f32_e32 v[8:9], v10
	v_cvt_f64_f32_e32 v[10:11], v11
	v_fmac_f64_e32 v[40:41], v[10:11], v[54:55]
	v_fmac_f64_e32 v[26:27], v[8:9], v[54:55]
	;; [unrolled: 1-line block ×3, first 2 shown]
	v_cvt_f64_f32_e32 v[8:9], v4
	v_fmac_f64_e32 v[52:53], v[64:65], v[56:57]
	v_cvt_f64_f32_e32 v[4:5], v5
	v_fmac_f64_e32 v[16:17], v[8:9], v[60:61]
	v_fmac_f64_e32 v[48:49], v[12:13], v[56:57]
	v_fma_f64 v[12:13], -v[10:11], v[56:57], v[26:27]
	v_fma_f64 v[56:57], -v[4:5], v[62:63], v[16:17]
	v_fmac_f64_e32 v[52:53], v[4:5], v[60:61]
	v_cvt_f64_f32_e32 v[4:5], v6
	v_cvt_f64_f32_e32 v[6:7], v7
	v_fmac_f64_e32 v[50:51], v[6:7], v[60:61]
	v_fmac_f64_e32 v[18:19], v[4:5], v[60:61]
	;; [unrolled: 1-line block ×3, first 2 shown]
	v_cvt_f64_f32_e32 v[4:5], v0
	v_cvt_f64_f32_e32 v[0:1], v1
	v_fmac_f64_e32 v[14:15], v[4:5], v[60:61]
	v_fma_f64 v[26:27], -v[0:1], v[62:63], v[14:15]
	v_fmac_f64_e32 v[48:49], v[0:1], v[60:61]
	v_cvt_f64_f32_e32 v[0:1], v2
	v_cvt_f64_f32_e32 v[2:3], v3
	v_fmac_f64_e32 v[40:41], v[2:3], v[60:61]
	v_fmac_f64_e32 v[12:13], v[0:1], v[60:61]
	;; [unrolled: 1-line block ×3, first 2 shown]
	global_load_dwordx2 v[0:1], v[20:21], off offset:128
	v_fmac_f64_e32 v[48:49], v[4:5], v[62:63]
	v_fmac_f64_e32 v[52:53], v[8:9], v[62:63]
	v_fma_f64 v[54:55], -v[6:7], v[62:63], v[18:19]
	v_fma_f64 v[24:25], -v[2:3], v[62:63], v[12:13]
	s_waitcnt vmcnt(0)
	v_subrev_co_u32_e32 v4, vcc, s20, v0
	v_subb_co_u32_e32 v5, vcc, v1, v39, vcc
	v_lshlrev_b64 v[4:5], 6, v[4:5]
	v_add_co_u32_e32 v74, vcc, s4, v4
	global_load_dwordx4 v[0:3], v[22:23], off offset:2096
	global_load_dwordx4 v[8:11], v[22:23], off offset:2080
	;; [unrolled: 1-line block ×4, first 2 shown]
	v_addc_co_u32_e32 v75, vcc, v58, v5, vcc
	global_load_dwordx4 v[4:7], v[74:75], off offset:48
	global_load_dwordx4 v[16:19], v[74:75], off offset:32
	;; [unrolled: 1-line block ×3, first 2 shown]
	global_load_dwordx4 v[68:71], v[74:75], off
	v_add_co_u32_e32 v42, vcc, 64, v42
	v_addc_co_u32_e32 v43, vcc, 0, v43, vcc
	v_add_co_u32_e32 v20, vcc, 0x200, v20
	v_addc_co_u32_e32 v21, vcc, 0, v21, vcc
	v_cmp_ge_i64_e64 s[0:1], v[42:43], v[44:45]
	v_add_co_u32_e32 v46, vcc, 0x2000, v46
	v_addc_co_u32_e32 v47, vcc, 0, v47, vcc
	s_or_b64 s[10:11], s[0:1], s[10:11]
	s_waitcnt vmcnt(4)
	v_cvt_f64_f32_e32 v[72:73], v60
	v_cvt_f64_f32_e32 v[60:61], v61
	s_waitcnt vmcnt(0)
	v_fmac_f64_e32 v[56:57], v[72:73], v[68:69]
	v_fma_f64 v[56:57], -v[60:61], v[70:71], v[56:57]
	v_fmac_f64_e32 v[52:53], v[60:61], v[68:69]
	v_cvt_f64_f32_e32 v[60:61], v62
	v_cvt_f64_f32_e32 v[62:63], v63
	v_fmac_f64_e32 v[50:51], v[62:63], v[68:69]
	v_fmac_f64_e32 v[54:55], v[60:61], v[68:69]
	;; [unrolled: 1-line block ×3, first 2 shown]
	v_cvt_f64_f32_e32 v[60:61], v12
	v_cvt_f64_f32_e32 v[12:13], v13
	v_fmac_f64_e32 v[26:27], v[60:61], v[68:69]
	v_fma_f64 v[26:27], -v[12:13], v[70:71], v[26:27]
	v_fmac_f64_e32 v[48:49], v[12:13], v[68:69]
	v_cvt_f64_f32_e32 v[12:13], v14
	v_cvt_f64_f32_e32 v[14:15], v15
	v_fmac_f64_e32 v[40:41], v[14:15], v[68:69]
	v_fmac_f64_e32 v[24:25], v[12:13], v[68:69]
	;; [unrolled: 1-line block ×3, first 2 shown]
	v_cvt_f64_f32_e32 v[12:13], v8
	v_fmac_f64_e32 v[52:53], v[72:73], v[70:71]
	v_cvt_f64_f32_e32 v[8:9], v9
	v_fmac_f64_e32 v[56:57], v[12:13], v[64:65]
	v_fma_f64 v[56:57], -v[8:9], v[66:67], v[56:57]
	v_fmac_f64_e32 v[52:53], v[8:9], v[64:65]
	v_cvt_f64_f32_e32 v[8:9], v10
	v_cvt_f64_f32_e32 v[10:11], v11
	v_fma_f64 v[54:55], -v[62:63], v[70:71], v[54:55]
	v_fmac_f64_e32 v[50:51], v[10:11], v[64:65]
	v_fmac_f64_e32 v[54:55], v[8:9], v[64:65]
	;; [unrolled: 1-line block ×3, first 2 shown]
	v_cvt_f64_f32_e32 v[8:9], v0
	v_fmac_f64_e32 v[48:49], v[60:61], v[70:71]
	v_cvt_f64_f32_e32 v[0:1], v1
	v_fmac_f64_e32 v[26:27], v[8:9], v[64:65]
	v_fma_f64 v[24:25], -v[14:15], v[70:71], v[24:25]
	v_fma_f64 v[60:61], -v[0:1], v[66:67], v[26:27]
	v_fmac_f64_e32 v[48:49], v[0:1], v[64:65]
	v_cvt_f64_f32_e32 v[0:1], v2
	v_cvt_f64_f32_e32 v[2:3], v3
	v_fmac_f64_e32 v[24:25], v[0:1], v[64:65]
	v_fmac_f64_e32 v[40:41], v[2:3], v[64:65]
	;; [unrolled: 1-line block ×3, first 2 shown]
	v_fma_f64 v[54:55], -v[10:11], v[66:67], v[54:55]
	v_fmac_f64_e32 v[48:49], v[8:9], v[66:67]
	v_fma_f64 v[62:63], -v[2:3], v[66:67], v[24:25]
	v_fmac_f64_e32 v[40:41], v[0:1], v[66:67]
	global_load_dwordx4 v[0:3], v[22:23], off offset:2160
	global_load_dwordx4 v[8:11], v[22:23], off offset:2144
	;; [unrolled: 1-line block ×4, first 2 shown]
	s_waitcnt vmcnt(0)
	v_cvt_f64_f32_e32 v[22:23], v24
	v_cvt_f64_f32_e32 v[24:25], v25
	v_fmac_f64_e32 v[56:57], v[22:23], v[16:17]
	v_fma_f64 v[56:57], -v[24:25], v[18:19], v[56:57]
	v_fmac_f64_e32 v[52:53], v[24:25], v[16:17]
	v_cvt_f64_f32_e32 v[24:25], v27
	v_fmac_f64_e32 v[52:53], v[22:23], v[18:19]
	v_cvt_f64_f32_e32 v[22:23], v26
	v_fmac_f64_e32 v[50:51], v[24:25], v[16:17]
	v_fmac_f64_e32 v[54:55], v[22:23], v[16:17]
	;; [unrolled: 1-line block ×3, first 2 shown]
	v_cvt_f64_f32_e32 v[22:23], v12
	v_cvt_f64_f32_e32 v[12:13], v13
	v_fmac_f64_e32 v[60:61], v[22:23], v[16:17]
	v_fma_f64 v[54:55], -v[24:25], v[18:19], v[54:55]
	v_fma_f64 v[24:25], -v[12:13], v[18:19], v[60:61]
	v_fmac_f64_e32 v[48:49], v[12:13], v[16:17]
	v_cvt_f64_f32_e32 v[12:13], v14
	v_cvt_f64_f32_e32 v[14:15], v15
	v_fmac_f64_e32 v[40:41], v[14:15], v[16:17]
	v_fmac_f64_e32 v[62:63], v[12:13], v[16:17]
	;; [unrolled: 1-line block ×3, first 2 shown]
	v_cvt_f64_f32_e32 v[12:13], v8
	v_cvt_f64_f32_e32 v[8:9], v9
	v_fmac_f64_e32 v[56:57], v[12:13], v[4:5]
	v_fma_f64 v[26:27], -v[8:9], v[6:7], v[56:57]
	v_fmac_f64_e32 v[52:53], v[8:9], v[4:5]
	v_cvt_f64_f32_e32 v[8:9], v10
	v_cvt_f64_f32_e32 v[10:11], v11
	v_fmac_f64_e32 v[50:51], v[10:11], v[4:5]
	v_fmac_f64_e32 v[54:55], v[8:9], v[4:5]
	;; [unrolled: 1-line block ×3, first 2 shown]
	v_cvt_f64_f32_e32 v[8:9], v0
	v_fmac_f64_e32 v[48:49], v[22:23], v[18:19]
	v_cvt_f64_f32_e32 v[0:1], v1
	v_fmac_f64_e32 v[24:25], v[8:9], v[4:5]
	v_fma_f64 v[22:23], -v[14:15], v[18:19], v[62:63]
	v_fma_f64 v[24:25], -v[0:1], v[6:7], v[24:25]
	v_fmac_f64_e32 v[48:49], v[0:1], v[4:5]
	v_cvt_f64_f32_e32 v[0:1], v2
	v_cvt_f64_f32_e32 v[2:3], v3
	v_fmac_f64_e32 v[22:23], v[0:1], v[4:5]
	v_fmac_f64_e32 v[40:41], v[2:3], v[4:5]
	;; [unrolled: 1-line block ×3, first 2 shown]
	v_fma_f64 v[62:63], -v[10:11], v[6:7], v[54:55]
	v_fmac_f64_e32 v[48:49], v[8:9], v[6:7]
	v_fma_f64 v[16:17], -v[2:3], v[6:7], v[22:23]
	v_fmac_f64_e32 v[40:41], v[0:1], v[6:7]
	s_andn2_b64 exec, exec, s[10:11]
	s_cbranch_execnz .LBB177_37
; %bb.38:
	s_or_b64 exec, exec, s[10:11]
.LBB177_39:
	s_or_b64 exec, exec, s[8:9]
.LBB177_40:
	s_or_b64 exec, exec, s[2:3]
.LBB177_41:
	v_mov_b32_dpp v0, v26 row_shr:1 row_mask:0xf bank_mask:0xf
	v_mov_b32_dpp v1, v27 row_shr:1 row_mask:0xf bank_mask:0xf
	v_add_f64 v[0:1], v[26:27], v[0:1]
	v_mov_b32_dpp v4, v52 row_shr:1 row_mask:0xf bank_mask:0xf
	v_mov_b32_dpp v5, v53 row_shr:1 row_mask:0xf bank_mask:0xf
	;; [unrolled: 1-line block ×14, first 2 shown]
	v_add_f64 v[4:5], v[52:53], v[4:5]
	v_add_f64 v[8:9], v[62:63], v[8:9]
	;; [unrolled: 1-line block ×7, first 2 shown]
	v_mov_b32_dpp v2, v0 row_shr:2 row_mask:0xf bank_mask:0xf
	v_mov_b32_dpp v3, v1 row_shr:2 row_mask:0xf bank_mask:0xf
	;; [unrolled: 1-line block ×16, first 2 shown]
	v_add_f64 v[0:1], v[0:1], v[2:3]
	v_add_f64 v[4:5], v[4:5], v[6:7]
	;; [unrolled: 1-line block ×8, first 2 shown]
	v_mov_b32_dpp v2, v0 row_shr:4 row_mask:0xf bank_mask:0xe
	v_mov_b32_dpp v3, v1 row_shr:4 row_mask:0xf bank_mask:0xe
	;; [unrolled: 1-line block ×16, first 2 shown]
	v_add_f64 v[0:1], v[0:1], v[2:3]
	v_add_f64 v[4:5], v[4:5], v[6:7]
	;; [unrolled: 1-line block ×8, first 2 shown]
	v_mov_b32_dpp v2, v0 row_shr:8 row_mask:0xf bank_mask:0xc
	v_mov_b32_dpp v3, v1 row_shr:8 row_mask:0xf bank_mask:0xc
	;; [unrolled: 1-line block ×16, first 2 shown]
	v_cmp_eq_u32_e32 vcc, 15, v38
	s_and_b64 exec, exec, vcc
	s_cbranch_execz .LBB177_12
; %bb.42:
	s_load_dwordx2 s[2:3], s[6:7], 0x68
	v_add_f64 v[38:39], v[0:1], v[2:3]
	v_add_f64 v[0:1], v[4:5], v[6:7]
	;; [unrolled: 1-line block ×8, first 2 shown]
	v_cmp_eq_f64_e32 vcc, 0, v[28:29]
	v_cmp_eq_f64_e64 s[0:1], 0, v[30:31]
	v_mul_f64 v[12:13], v[0:1], -v[34:35]
	v_mul_f64 v[14:15], v[32:33], v[0:1]
	v_mul_f64 v[8:9], v[2:3], -v[34:35]
	v_mul_f64 v[10:11], v[32:33], v[2:3]
	;; [unrolled: 2-line block ×4, first 2 shown]
	s_and_b64 s[0:1], vcc, s[0:1]
	v_fmac_f64_e32 v[12:13], v[32:33], v[38:39]
	v_fmac_f64_e32 v[14:15], v[34:35], v[38:39]
	v_lshlrev_b64 v[16:17], 6, v[36:37]
	v_fmac_f64_e32 v[8:9], v[32:33], v[44:45]
	v_fmac_f64_e32 v[10:11], v[34:35], v[44:45]
	;; [unrolled: 1-line block ×6, first 2 shown]
	s_and_saveexec_b64 s[4:5], s[0:1]
	s_xor_b64 s[0:1], exec, s[4:5]
	s_cbranch_execz .LBB177_44
; %bb.43:
	s_waitcnt lgkmcnt(0)
	v_mov_b32_e32 v18, s3
	v_add_co_u32_e32 v16, vcc, s2, v16
	v_addc_co_u32_e32 v17, vcc, v18, v17, vcc
	global_store_dwordx4 v[16:17], v[12:15], off
	global_store_dwordx4 v[16:17], v[8:11], off offset:16
	global_store_dwordx4 v[16:17], v[4:7], off offset:32
	;; [unrolled: 1-line block ×3, first 2 shown]
                                        ; implicit-def: $vgpr28_vgpr29
                                        ; implicit-def: $vgpr30_vgpr31
                                        ; implicit-def: $vgpr12_vgpr13
                                        ; implicit-def: $vgpr16_vgpr17
                                        ; implicit-def: $vgpr8_vgpr9
                                        ; implicit-def: $vgpr4_vgpr5
                                        ; implicit-def: $vgpr0_vgpr1
.LBB177_44:
	s_andn2_saveexec_b64 s[0:1], s[0:1]
	s_cbranch_execz .LBB177_12
; %bb.45:
	s_waitcnt lgkmcnt(0)
	v_mov_b32_e32 v18, s3
	v_add_co_u32_e32 v36, vcc, s2, v16
	v_addc_co_u32_e32 v37, vcc, v18, v17, vcc
	global_load_dwordx4 v[16:19], v[36:37], off
	global_load_dwordx4 v[20:23], v[36:37], off offset:16
	global_load_dwordx4 v[24:27], v[36:37], off offset:32
	;; [unrolled: 1-line block ×3, first 2 shown]
	s_waitcnt vmcnt(3)
	v_fmac_f64_e32 v[12:13], v[28:29], v[16:17]
	v_fmac_f64_e32 v[14:15], v[30:31], v[16:17]
	s_waitcnt vmcnt(2)
	v_fmac_f64_e32 v[8:9], v[28:29], v[20:21]
	v_fmac_f64_e32 v[10:11], v[30:31], v[20:21]
	s_waitcnt vmcnt(1)
	v_fmac_f64_e32 v[4:5], v[28:29], v[24:25]
	v_fmac_f64_e32 v[6:7], v[30:31], v[24:25]
	s_waitcnt vmcnt(0)
	v_fmac_f64_e32 v[0:1], v[28:29], v[32:33]
	v_fmac_f64_e32 v[2:3], v[30:31], v[32:33]
	v_fma_f64 v[12:13], -v[30:31], v[18:19], v[12:13]
	v_fmac_f64_e32 v[14:15], v[28:29], v[18:19]
	v_fma_f64 v[8:9], -v[30:31], v[22:23], v[8:9]
	v_fmac_f64_e32 v[10:11], v[28:29], v[22:23]
	;; [unrolled: 2-line block ×4, first 2 shown]
	global_store_dwordx4 v[36:37], v[12:15], off
	global_store_dwordx4 v[36:37], v[8:11], off offset:16
	global_store_dwordx4 v[36:37], v[4:7], off offset:32
	;; [unrolled: 1-line block ×3, first 2 shown]
	s_endpgm
	.section	.rodata,"a",@progbits
	.p2align	6, 0x0
	.amdhsa_kernel _ZN9rocsparseL18bsrxmvn_4x4_kernelILj128ELj16E21rocsparse_complex_numIdEllS1_IfES2_S2_EEvT3_20rocsparse_direction_NS_24const_host_device_scalarIT1_EES4_PKS4_PKT2_SD_SA_PKT4_PKT5_S8_PT6_21rocsparse_index_base_b
		.amdhsa_group_segment_fixed_size 2048
		.amdhsa_private_segment_fixed_size 0
		.amdhsa_kernarg_size 120
		.amdhsa_user_sgpr_count 8
		.amdhsa_user_sgpr_private_segment_buffer 1
		.amdhsa_user_sgpr_dispatch_ptr 1
		.amdhsa_user_sgpr_queue_ptr 0
		.amdhsa_user_sgpr_kernarg_segment_ptr 1
		.amdhsa_user_sgpr_dispatch_id 0
		.amdhsa_user_sgpr_flat_scratch_init 0
		.amdhsa_user_sgpr_kernarg_preload_length 0
		.amdhsa_user_sgpr_kernarg_preload_offset 0
		.amdhsa_user_sgpr_private_segment_size 0
		.amdhsa_uses_dynamic_stack 0
		.amdhsa_system_sgpr_private_segment_wavefront_offset 0
		.amdhsa_system_sgpr_workgroup_id_x 1
		.amdhsa_system_sgpr_workgroup_id_y 0
		.amdhsa_system_sgpr_workgroup_id_z 0
		.amdhsa_system_sgpr_workgroup_info 0
		.amdhsa_system_vgpr_workitem_id 2
		.amdhsa_next_free_vgpr 128
		.amdhsa_next_free_sgpr 22
		.amdhsa_accum_offset 128
		.amdhsa_reserve_vcc 1
		.amdhsa_reserve_flat_scratch 0
		.amdhsa_float_round_mode_32 0
		.amdhsa_float_round_mode_16_64 0
		.amdhsa_float_denorm_mode_32 3
		.amdhsa_float_denorm_mode_16_64 3
		.amdhsa_dx10_clamp 1
		.amdhsa_ieee_mode 1
		.amdhsa_fp16_overflow 0
		.amdhsa_tg_split 0
		.amdhsa_exception_fp_ieee_invalid_op 0
		.amdhsa_exception_fp_denorm_src 0
		.amdhsa_exception_fp_ieee_div_zero 0
		.amdhsa_exception_fp_ieee_overflow 0
		.amdhsa_exception_fp_ieee_underflow 0
		.amdhsa_exception_fp_ieee_inexact 0
		.amdhsa_exception_int_div_zero 0
	.end_amdhsa_kernel
	.section	.text._ZN9rocsparseL18bsrxmvn_4x4_kernelILj128ELj16E21rocsparse_complex_numIdEllS1_IfES2_S2_EEvT3_20rocsparse_direction_NS_24const_host_device_scalarIT1_EES4_PKS4_PKT2_SD_SA_PKT4_PKT5_S8_PT6_21rocsparse_index_base_b,"axG",@progbits,_ZN9rocsparseL18bsrxmvn_4x4_kernelILj128ELj16E21rocsparse_complex_numIdEllS1_IfES2_S2_EEvT3_20rocsparse_direction_NS_24const_host_device_scalarIT1_EES4_PKS4_PKT2_SD_SA_PKT4_PKT5_S8_PT6_21rocsparse_index_base_b,comdat
.Lfunc_end177:
	.size	_ZN9rocsparseL18bsrxmvn_4x4_kernelILj128ELj16E21rocsparse_complex_numIdEllS1_IfES2_S2_EEvT3_20rocsparse_direction_NS_24const_host_device_scalarIT1_EES4_PKS4_PKT2_SD_SA_PKT4_PKT5_S8_PT6_21rocsparse_index_base_b, .Lfunc_end177-_ZN9rocsparseL18bsrxmvn_4x4_kernelILj128ELj16E21rocsparse_complex_numIdEllS1_IfES2_S2_EEvT3_20rocsparse_direction_NS_24const_host_device_scalarIT1_EES4_PKS4_PKT2_SD_SA_PKT4_PKT5_S8_PT6_21rocsparse_index_base_b
                                        ; -- End function
	.section	.AMDGPU.csdata,"",@progbits
; Kernel info:
; codeLenInByte = 8968
; NumSgprs: 26
; NumVgprs: 128
; NumAgprs: 0
; TotalNumVgprs: 128
; ScratchSize: 0
; MemoryBound: 0
; FloatMode: 240
; IeeeMode: 1
; LDSByteSize: 2048 bytes/workgroup (compile time only)
; SGPRBlocks: 3
; VGPRBlocks: 15
; NumSGPRsForWavesPerEU: 26
; NumVGPRsForWavesPerEU: 128
; AccumOffset: 128
; Occupancy: 4
; WaveLimiterHint : 1
; COMPUTE_PGM_RSRC2:SCRATCH_EN: 0
; COMPUTE_PGM_RSRC2:USER_SGPR: 8
; COMPUTE_PGM_RSRC2:TRAP_HANDLER: 0
; COMPUTE_PGM_RSRC2:TGID_X_EN: 1
; COMPUTE_PGM_RSRC2:TGID_Y_EN: 0
; COMPUTE_PGM_RSRC2:TGID_Z_EN: 0
; COMPUTE_PGM_RSRC2:TIDIG_COMP_CNT: 2
; COMPUTE_PGM_RSRC3_GFX90A:ACCUM_OFFSET: 31
; COMPUTE_PGM_RSRC3_GFX90A:TG_SPLIT: 0
	.section	.text._ZN9rocsparseL18bsrxmvn_4x4_kernelILj128ELj32E21rocsparse_complex_numIdEllS1_IfES2_S2_EEvT3_20rocsparse_direction_NS_24const_host_device_scalarIT1_EES4_PKS4_PKT2_SD_SA_PKT4_PKT5_S8_PT6_21rocsparse_index_base_b,"axG",@progbits,_ZN9rocsparseL18bsrxmvn_4x4_kernelILj128ELj32E21rocsparse_complex_numIdEllS1_IfES2_S2_EEvT3_20rocsparse_direction_NS_24const_host_device_scalarIT1_EES4_PKS4_PKT2_SD_SA_PKT4_PKT5_S8_PT6_21rocsparse_index_base_b,comdat
	.globl	_ZN9rocsparseL18bsrxmvn_4x4_kernelILj128ELj32E21rocsparse_complex_numIdEllS1_IfES2_S2_EEvT3_20rocsparse_direction_NS_24const_host_device_scalarIT1_EES4_PKS4_PKT2_SD_SA_PKT4_PKT5_S8_PT6_21rocsparse_index_base_b ; -- Begin function _ZN9rocsparseL18bsrxmvn_4x4_kernelILj128ELj32E21rocsparse_complex_numIdEllS1_IfES2_S2_EEvT3_20rocsparse_direction_NS_24const_host_device_scalarIT1_EES4_PKS4_PKT2_SD_SA_PKT4_PKT5_S8_PT6_21rocsparse_index_base_b
	.p2align	8
	.type	_ZN9rocsparseL18bsrxmvn_4x4_kernelILj128ELj32E21rocsparse_complex_numIdEllS1_IfES2_S2_EEvT3_20rocsparse_direction_NS_24const_host_device_scalarIT1_EES4_PKS4_PKT2_SD_SA_PKT4_PKT5_S8_PT6_21rocsparse_index_base_b,@function
_ZN9rocsparseL18bsrxmvn_4x4_kernelILj128ELj32E21rocsparse_complex_numIdEllS1_IfES2_S2_EEvT3_20rocsparse_direction_NS_24const_host_device_scalarIT1_EES4_PKS4_PKT2_SD_SA_PKT4_PKT5_S8_PT6_21rocsparse_index_base_b: ; @_ZN9rocsparseL18bsrxmvn_4x4_kernelILj128ELj32E21rocsparse_complex_numIdEllS1_IfES2_S2_EEvT3_20rocsparse_direction_NS_24const_host_device_scalarIT1_EES4_PKS4_PKT2_SD_SA_PKT4_PKT5_S8_PT6_21rocsparse_index_base_b
; %bb.0:
	s_load_dwordx2 s[20:21], s[6:7], 0x70
	s_load_dwordx4 s[16:19], s[6:7], 0x10
	s_load_dwordx2 s[10:11], s[4:5], 0x4
	s_load_dwordx4 s[12:15], s[6:7], 0x58
	s_mov_b64 s[2:3], src_shared_base
	v_bfe_u32 v3, v0, 10, 10
	s_waitcnt lgkmcnt(0)
	s_bitcmp1_b32 s21, 0
	s_cselect_b64 s[0:1], -1, 0
	s_and_b64 vcc, s[0:1], exec
	s_cselect_b32 s2, s3, s17
	s_lshr_b32 s4, s10, 16
	v_and_b32_e32 v2, 0x3ff, v0
	s_mul_i32 s4, s4, s11
	v_mul_u32_u24_e32 v3, s11, v3
	v_mad_u32_u24 v3, s4, v2, v3
	v_bfe_u32 v0, v0, 20, 10
	v_add_lshl_u32 v0, v3, v0, 3
	v_mov_b32_e32 v1, s16
	v_add_u32_e32 v3, 0x400, v0
	v_pk_mov_b32 v[4:5], s[16:17], s[16:17] op_sel:[0,1]
	v_pk_mov_b32 v[6:7], s[12:13], s[12:13] op_sel:[0,1]
	ds_write2st64_b64 v0, v[6:7], v[4:5] offset1:2
	v_cndmask_b32_e64 v4, v1, v3, s[0:1]
	v_mov_b32_e32 v5, s2
	flat_load_dwordx2 v[20:21], v[4:5]
	s_xor_b64 s[4:5], s[0:1], -1
	v_pk_mov_b32 v[22:23], s[18:19], s[18:19] op_sel:[0,1]
	s_cbranch_vccnz .LBB178_2
; %bb.1:
	v_pk_mov_b32 v[4:5], s[16:17], s[16:17] op_sel:[0,1]
	flat_load_dwordx2 v[22:23], v[4:5] offset:8
.LBB178_2:
	s_and_b64 s[10:11], s[0:1], exec
	s_cselect_b32 s2, s3, s13
	v_mov_b32_e32 v1, s12
	v_cndmask_b32_e64 v0, v1, v0, s[0:1]
	v_mov_b32_e32 v1, s2
	flat_load_dwordx2 v[16:17], v[0:1]
	s_andn2_b64 vcc, exec, s[4:5]
	v_pk_mov_b32 v[18:19], s[14:15], s[14:15] op_sel:[0,1]
	s_cbranch_vccnz .LBB178_4
; %bb.3:
	v_pk_mov_b32 v[0:1], s[12:13], s[12:13] op_sel:[0,1]
	flat_load_dwordx2 v[18:19], v[0:1] offset:8
.LBB178_4:
	s_waitcnt vmcnt(0) lgkmcnt(0)
	v_cmp_eq_f64_e32 vcc, 0, v[20:21]
	v_cmp_eq_f64_e64 s[0:1], 0, v[22:23]
	s_and_b64 s[4:5], vcc, s[0:1]
	s_mov_b64 s[0:1], -1
	s_and_saveexec_b64 s[2:3], s[4:5]
; %bb.5:
	v_cmp_neq_f64_e32 vcc, 1.0, v[16:17]
	v_cmp_neq_f64_e64 s[0:1], 0, v[18:19]
	s_or_b64 s[0:1], vcc, s[0:1]
	s_orn2_b64 s[0:1], s[0:1], exec
; %bb.6:
	s_or_b64 exec, exec, s[2:3]
	s_and_saveexec_b64 s[2:3], s[0:1]
	s_cbranch_execz .LBB178_12
; %bb.7:
	s_load_dwordx2 s[2:3], s[6:7], 0x28
	v_lshrrev_b32_e32 v0, 5, v2
	v_lshl_or_b32 v0, s8, 2, v0
	v_mov_b32_e32 v1, 0
	s_mov_b64 s[0:1], 0
	s_waitcnt lgkmcnt(0)
	s_cmp_lg_u64 s[2:3], 0
	s_cbranch_scc0 .LBB178_13
; %bb.8:
	s_load_dwordx2 s[4:5], s[6:7], 0x20
                                        ; implicit-def: $vgpr24_vgpr25
	s_waitcnt lgkmcnt(0)
	v_cmp_gt_i64_e32 vcc, s[4:5], v[0:1]
	s_and_saveexec_b64 s[4:5], vcc
	s_xor_b64 s[4:5], exec, s[4:5]
                                        ; implicit-def: $sgpr16_sgpr17
	s_cbranch_execz .LBB178_10
; %bb.9:
	v_lshlrev_b64 v[4:5], 3, v[0:1]
	v_mov_b32_e32 v3, s3
	v_add_co_u32_e32 v4, vcc, s2, v4
	v_addc_co_u32_e32 v5, vcc, v3, v5, vcc
	global_load_dwordx2 v[4:5], v[4:5], off
	s_mov_b64 s[0:1], exec
	s_mov_b32 s17, 0
	s_waitcnt vmcnt(0)
	v_subrev_co_u32_e32 v24, vcc, s20, v4
	v_subbrev_co_u32_e32 v25, vcc, 0, v5, vcc
.LBB178_10:
	s_or_b64 exec, exec, s[4:5]
.LBB178_11:
	s_and_b64 exec, exec, s[0:1]
	s_cbranch_execnz .LBB178_17
.LBB178_12:
	s_endpgm
.LBB178_13:
                                        ; implicit-def: $vgpr24_vgpr25
                                        ; implicit-def: $sgpr16_sgpr17
	s_cbranch_execz .LBB178_11
; %bb.14:
	s_load_dwordx2 s[2:3], s[6:7], 0x0
                                        ; implicit-def: $vgpr24_vgpr25
	s_waitcnt lgkmcnt(0)
	v_cmp_gt_i64_e32 vcc, s[2:3], v[0:1]
	s_and_saveexec_b64 s[2:3], vcc
                                        ; implicit-def: $sgpr16_sgpr17
; %bb.15:
	s_mov_b32 s17, 0
	s_or_b64 s[0:1], s[0:1], exec
	v_pk_mov_b32 v[24:25], v[0:1], v[0:1] op_sel:[0,1]
; %bb.16:
	s_or_b64 exec, exec, s[2:3]
	s_and_b64 exec, exec, s[0:1]
	s_cbranch_execz .LBB178_12
.LBB178_17:
	s_load_dwordx8 s[8:15], s[6:7], 0x30
	v_lshlrev_b64 v[0:1], 3, v[24:25]
	v_and_b32_e32 v26, 31, v2
	v_mov_b32_e32 v2, s17
	s_waitcnt lgkmcnt(0)
	v_mov_b32_e32 v3, s9
	v_add_co_u32_e32 v4, vcc, s8, v0
	v_addc_co_u32_e32 v5, vcc, v3, v1, vcc
	v_add_co_u32_e32 v3, vcc, 8, v4
	global_load_dwordx2 v[42:43], v[4:5], off
	v_addc_co_u32_e32 v4, vcc, 0, v5, vcc
	v_mov_b32_e32 v5, s11
	v_add_co_u32_e32 v0, vcc, s10, v0
	s_cmp_eq_u64 s[10:11], 0
	v_addc_co_u32_e32 v1, vcc, v5, v1, vcc
	s_cselect_b64 vcc, -1, 0
	v_cndmask_b32_e32 v1, v1, v4, vcc
	v_cndmask_b32_e32 v0, v0, v3, vcc
	global_load_dwordx2 v[0:1], v[0:1], off
	s_load_dword s0, s[6:7], 0x8
	s_load_dwordx2 s[4:5], s[6:7], 0x50
	v_mov_b32_e32 v3, s15
	s_waitcnt lgkmcnt(0)
	s_cmp_eq_u32 s0, 1
	s_waitcnt vmcnt(1)
	v_subrev_co_u32_e32 v4, vcc, s20, v42
	v_subb_co_u32_e32 v5, vcc, v43, v2, vcc
	v_add_co_u32_e32 v32, vcc, v4, v26
	v_addc_co_u32_e32 v33, vcc, 0, v5, vcc
	s_waitcnt vmcnt(0)
	v_subrev_co_u32_e32 v34, vcc, s20, v0
	v_subb_co_u32_e32 v35, vcc, v1, v2, vcc
	v_lshlrev_b64 v[0:1], 7, v[32:33]
	v_add_co_u32_e32 v36, vcc, s14, v0
	v_addc_co_u32_e32 v37, vcc, v3, v1, vcc
	v_cmp_lt_i64_e64 s[0:1], v[32:33], v[34:35]
	s_cbranch_scc1 .LBB178_29
; %bb.18:
	v_pk_mov_b32 v[40:41], 0, 0
	s_mov_b64 s[8:9], 0
	v_pk_mov_b32 v[54:55], v[40:41], v[40:41] op_sel:[0,1]
	v_pk_mov_b32 v[38:39], v[40:41], v[40:41] op_sel:[0,1]
	;; [unrolled: 1-line block ×7, first 2 shown]
	s_and_saveexec_b64 s[10:11], s[0:1]
	s_cbranch_execz .LBB178_28
; %bb.19:
	v_or_b32_e32 v0, 32, v26
	v_mov_b32_e32 v1, s17
	v_subrev_co_u32_e32 v0, vcc, s20, v0
	v_subb_co_u32_e32 v1, vcc, 0, v1, vcc
	v_add_co_u32_e32 v0, vcc, v0, v42
	v_addc_co_u32_e32 v1, vcc, v1, v43, vcc
	v_cmp_gt_i64_e32 vcc, v[0:1], v[34:35]
	v_cndmask_b32_e32 v1, v35, v1, vcc
	v_cndmask_b32_e32 v0, v34, v0, vcc
	v_mov_b32_e32 v4, s17
	v_sub_co_u32_e32 v5, vcc, s20, v26
	v_not_b32_e32 v3, v42
	v_subbrev_co_u32_e32 v4, vcc, 0, v4, vcc
	v_not_b32_e32 v2, v43
	v_add_co_u32_e32 v3, vcc, v5, v3
	v_addc_co_u32_e32 v2, vcc, v4, v2, vcc
	v_add_co_u32_e32 v8, vcc, v3, v0
	v_lshrrev_b32_e32 v0, 5, v8
	v_add_u32_e32 v0, 1, v0
	v_addc_co_u32_e32 v9, vcc, v2, v1, vcc
	v_and_b32_e32 v0, 3, v0
	v_pk_mov_b32 v[52:53], 0, 0
	v_cmp_ne_u32_e32 vcc, 0, v0
	s_mov_b64 s[18:19], 0
	v_pk_mov_b32 v[28:29], v[52:53], v[52:53] op_sel:[0,1]
	v_pk_mov_b32 v[50:51], v[52:53], v[52:53] op_sel:[0,1]
	;; [unrolled: 1-line block ×9, first 2 shown]
	s_and_saveexec_b64 s[14:15], vcc
	s_cbranch_execz .LBB178_23
; %bb.20:
	v_lshlrev_b64 v[2:3], 3, v[32:33]
	v_mov_b32_e32 v1, s13
	v_add_co_u32_e32 v12, vcc, s12, v2
	v_pk_mov_b32 v[40:41], 0, 0
	v_mov_b32_e32 v11, 0
	v_addc_co_u32_e32 v13, vcc, v1, v3, vcc
	v_lshlrev_b32_e32 v10, 3, v0
	s_movk_i32 s16, 0x1000
	v_mov_b32_e32 v27, s17
	v_mov_b32_e32 v48, s5
	v_pk_mov_b32 v[46:47], v[32:33], v[32:33] op_sel:[0,1]
	v_pk_mov_b32 v[44:45], v[36:37], v[36:37] op_sel:[0,1]
	;; [unrolled: 1-line block ×9, first 2 shown]
.LBB178_21:                             ; =>This Inner Loop Header: Depth=1
	global_load_dwordx2 v[14:15], v[12:13], off
	global_load_dwordx4 v[4:7], v[44:45], off
	global_load_dwordx4 v[0:3], v[44:45], off offset:32
	global_load_dwordx4 v[58:61], v[44:45], off offset:64
	;; [unrolled: 1-line block ×7, first 2 shown]
	v_add_co_u32_e32 v44, vcc, s16, v44
	v_addc_co_u32_e32 v45, vcc, 0, v45, vcc
	v_add_co_u32_e32 v12, vcc, 0x100, v12
	v_addc_co_u32_e32 v13, vcc, 0, v13, vcc
	v_add_co_u32_e64 v46, s[2:3], 32, v46
	v_addc_co_u32_e64 v47, s[2:3], 0, v47, s[2:3]
	v_add_co_u32_e64 v10, s[2:3], -8, v10
	v_addc_co_u32_e64 v11, s[2:3], -1, v11, s[2:3]
	v_cmp_eq_u64_e64 s[2:3], 0, v[10:11]
	s_or_b64 s[18:19], s[2:3], s[18:19]
	s_waitcnt vmcnt(8)
	v_subrev_co_u32_e32 v14, vcc, s20, v14
	v_subb_co_u32_e32 v15, vcc, v15, v27, vcc
	s_waitcnt vmcnt(7)
	v_cvt_f64_f32_e32 v[90:91], v4
	v_cvt_f64_f32_e32 v[92:93], v5
	v_lshlrev_b64 v[4:5], 6, v[14:15]
	v_add_co_u32_e32 v14, vcc, s4, v4
	v_addc_co_u32_e32 v15, vcc, v48, v5, vcc
	v_cvt_f64_f32_e32 v[94:95], v6
	v_cvt_f64_f32_e32 v[96:97], v7
	s_waitcnt vmcnt(3)
	v_cvt_f64_f32_e32 v[104:105], v66
	v_cvt_f64_f32_e32 v[106:107], v67
	;; [unrolled: 1-line block ×4, first 2 shown]
	global_load_dwordx4 v[4:7], v[14:15], off
	global_load_dwordx4 v[66:69], v[14:15], off offset:16
	global_load_dwordx4 v[82:85], v[14:15], off offset:32
	;; [unrolled: 1-line block ×3, first 2 shown]
	v_cvt_f64_f32_e32 v[98:99], v0
	v_cvt_f64_f32_e32 v[0:1], v1
	;; [unrolled: 1-line block ×12, first 2 shown]
	s_waitcnt vmcnt(6)
	v_cvt_f64_f32_e32 v[14:15], v70
	v_cvt_f64_f32_e32 v[70:71], v71
	s_waitcnt vmcnt(5)
	v_cvt_f64_f32_e32 v[120:121], v74
	v_cvt_f64_f32_e32 v[74:75], v75
	;; [unrolled: 3-line block ×3, first 2 shown]
	v_cvt_f64_f32_e32 v[114:115], v72
	v_cvt_f64_f32_e32 v[72:73], v73
	;; [unrolled: 1-line block ×6, first 2 shown]
	s_waitcnt vmcnt(3)
	v_fmac_f64_e32 v[54:55], v[90:91], v[4:5]
	v_fmac_f64_e32 v[40:41], v[92:93], v[4:5]
	v_fmac_f64_e32 v[56:57], v[98:99], v[4:5]
	v_fmac_f64_e32 v[38:39], v[0:1], v[4:5]
	v_fmac_f64_e32 v[50:51], v[100:101], v[4:5]
	v_fmac_f64_e32 v[30:31], v[58:59], v[4:5]
	v_fmac_f64_e32 v[52:53], v[102:103], v[4:5]
	v_fmac_f64_e32 v[28:29], v[62:63], v[4:5]
	v_fma_f64 v[4:5], -v[92:93], v[6:7], v[54:55]
	v_fmac_f64_e32 v[40:41], v[90:91], v[6:7]
	v_fma_f64 v[0:1], -v[0:1], v[6:7], v[56:57]
	v_fmac_f64_e32 v[38:39], v[98:99], v[6:7]
	v_fma_f64 v[50:51], -v[58:59], v[6:7], v[50:51]
	v_fmac_f64_e32 v[30:31], v[100:101], v[6:7]
	v_fma_f64 v[52:53], -v[62:63], v[6:7], v[52:53]
	v_fmac_f64_e32 v[28:29], v[102:103], v[6:7]
	s_waitcnt vmcnt(2)
	v_fmac_f64_e32 v[4:5], v[94:95], v[66:67]
	v_fmac_f64_e32 v[40:41], v[96:97], v[66:67]
	v_fmac_f64_e32 v[0:1], v[112:113], v[66:67]
	v_fmac_f64_e32 v[38:39], v[2:3], v[66:67]
	v_fmac_f64_e32 v[50:51], v[116:117], v[66:67]
	v_fmac_f64_e32 v[30:31], v[60:61], v[66:67]
	v_fmac_f64_e32 v[52:53], v[118:119], v[66:67]
	v_fmac_f64_e32 v[28:29], v[64:65], v[66:67]
	v_fma_f64 v[4:5], -v[96:97], v[68:69], v[4:5]
	v_fmac_f64_e32 v[40:41], v[94:95], v[68:69]
	v_fma_f64 v[0:1], -v[2:3], v[68:69], v[0:1]
	v_fmac_f64_e32 v[38:39], v[112:113], v[68:69]
	v_fma_f64 v[2:3], -v[60:61], v[68:69], v[50:51]
	v_fmac_f64_e32 v[30:31], v[116:117], v[68:69]
	v_fma_f64 v[6:7], -v[64:65], v[68:69], v[52:53]
	v_fmac_f64_e32 v[28:29], v[118:119], v[68:69]
	;; [unrolled: 17-line block ×4, first 2 shown]
	s_andn2_b64 exec, exec, s[18:19]
	s_cbranch_execnz .LBB178_21
; %bb.22:
	s_or_b64 exec, exec, s[18:19]
.LBB178_23:
	s_or_b64 exec, exec, s[14:15]
	s_mov_b64 s[2:3], 0x5f
	v_cmp_lt_u64_e32 vcc, s[2:3], v[8:9]
	s_and_saveexec_b64 s[14:15], vcc
	s_cbranch_execz .LBB178_27
; %bb.24:
	v_lshlrev_b64 v[0:1], 3, v[46:47]
	v_mov_b32_e32 v2, s13
	v_add_co_u32_e32 v0, vcc, s12, v0
	v_addc_co_u32_e32 v1, vcc, v1, v2, vcc
	v_add_co_u32_e32 v48, vcc, 0x200, v0
	v_addc_co_u32_e32 v49, vcc, 0, v1, vcc
	s_mov_b64 s[18:19], 0
	v_mov_b32_e32 v27, s17
	v_mov_b32_e32 v60, s5
	s_movk_i32 s16, 0x1000
	s_movk_i32 s21, 0x2000
	;; [unrolled: 1-line block ×3, first 2 shown]
.LBB178_25:                             ; =>This Inner Loop Header: Depth=1
	global_load_dwordx2 v[0:1], v[48:49], off offset:-512
	global_load_dwordx4 v[62:65], v[44:45], off offset:48
	global_load_dwordx4 v[66:69], v[44:45], off offset:32
	;; [unrolled: 1-line block ×3, first 2 shown]
	global_load_dwordx4 v[74:77], v[44:45], off
	s_waitcnt vmcnt(4)
	v_subrev_co_u32_e32 v0, vcc, s20, v0
	v_subb_co_u32_e32 v1, vcc, v1, v27, vcc
	v_lshlrev_b64 v[0:1], 6, v[0:1]
	v_add_co_u32_e32 v78, vcc, s4, v0
	v_addc_co_u32_e32 v79, vcc, v60, v1, vcc
	global_load_dwordx4 v[0:3], v[78:79], off offset:48
	global_load_dwordx4 v[4:7], v[78:79], off offset:32
	;; [unrolled: 1-line block ×3, first 2 shown]
	global_load_dwordx4 v[12:15], v[78:79], off
	s_waitcnt vmcnt(4)
	v_cvt_f64_f32_e32 v[58:59], v74
	v_cvt_f64_f32_e32 v[74:75], v75
	v_add_co_u32_e32 v80, vcc, s16, v44
	v_addc_co_u32_e32 v81, vcc, 0, v45, vcc
	s_waitcnt vmcnt(0)
	v_fmac_f64_e32 v[54:55], v[58:59], v[12:13]
	v_fmac_f64_e32 v[40:41], v[74:75], v[12:13]
	v_fma_f64 v[54:55], -v[74:75], v[14:15], v[54:55]
	v_fmac_f64_e32 v[40:41], v[58:59], v[14:15]
	v_cvt_f64_f32_e32 v[58:59], v76
	v_cvt_f64_f32_e32 v[74:75], v77
	v_fmac_f64_e32 v[54:55], v[58:59], v[8:9]
	v_fmac_f64_e32 v[40:41], v[74:75], v[8:9]
	v_fma_f64 v[54:55], -v[74:75], v[10:11], v[54:55]
	v_fmac_f64_e32 v[40:41], v[58:59], v[10:11]
	v_cvt_f64_f32_e32 v[58:59], v70
	v_cvt_f64_f32_e32 v[70:71], v71
	;; [unrolled: 6-line block ×3, first 2 shown]
	v_fmac_f64_e32 v[40:41], v[70:71], v[0:1]
	v_fmac_f64_e32 v[54:55], v[58:59], v[0:1]
	;; [unrolled: 1-line block ×3, first 2 shown]
	v_cvt_f64_f32_e32 v[58:59], v66
	v_cvt_f64_f32_e32 v[66:67], v67
	v_fmac_f64_e32 v[56:57], v[58:59], v[12:13]
	v_fmac_f64_e32 v[38:39], v[66:67], v[12:13]
	v_fma_f64 v[56:57], -v[66:67], v[14:15], v[56:57]
	v_fmac_f64_e32 v[38:39], v[58:59], v[14:15]
	v_cvt_f64_f32_e32 v[58:59], v68
	v_cvt_f64_f32_e32 v[66:67], v69
	v_fmac_f64_e32 v[56:57], v[58:59], v[8:9]
	v_fmac_f64_e32 v[38:39], v[66:67], v[8:9]
	v_fma_f64 v[56:57], -v[66:67], v[10:11], v[56:57]
	v_fmac_f64_e32 v[38:39], v[58:59], v[10:11]
	;; [unrolled: 6-line block ×3, first 2 shown]
	v_cvt_f64_f32_e32 v[58:59], v64
	v_cvt_f64_f32_e32 v[62:63], v65
	v_fmac_f64_e32 v[56:57], v[58:59], v[0:1]
	v_fma_f64 v[54:55], -v[70:71], v[2:3], v[54:55]
	v_fma_f64 v[56:57], -v[62:63], v[2:3], v[56:57]
	v_fmac_f64_e32 v[38:39], v[62:63], v[0:1]
	global_load_dwordx4 v[62:65], v[44:45], off offset:112
	global_load_dwordx4 v[66:69], v[44:45], off offset:96
	;; [unrolled: 1-line block ×4, first 2 shown]
	v_fmac_f64_e32 v[38:39], v[58:59], v[2:3]
	s_waitcnt vmcnt(0)
	v_cvt_f64_f32_e32 v[58:59], v74
	v_cvt_f64_f32_e32 v[74:75], v75
	v_fmac_f64_e32 v[50:51], v[58:59], v[12:13]
	v_fmac_f64_e32 v[30:31], v[74:75], v[12:13]
	v_fma_f64 v[50:51], -v[74:75], v[14:15], v[50:51]
	v_fmac_f64_e32 v[30:31], v[58:59], v[14:15]
	v_cvt_f64_f32_e32 v[58:59], v76
	v_cvt_f64_f32_e32 v[74:75], v77
	v_fmac_f64_e32 v[50:51], v[58:59], v[8:9]
	v_fmac_f64_e32 v[30:31], v[74:75], v[8:9]
	v_fma_f64 v[50:51], -v[74:75], v[10:11], v[50:51]
	v_fmac_f64_e32 v[30:31], v[58:59], v[10:11]
	v_cvt_f64_f32_e32 v[58:59], v70
	v_cvt_f64_f32_e32 v[70:71], v71
	v_fmac_f64_e32 v[50:51], v[58:59], v[4:5]
	v_fmac_f64_e32 v[30:31], v[70:71], v[4:5]
	v_fma_f64 v[50:51], -v[70:71], v[6:7], v[50:51]
	v_fmac_f64_e32 v[30:31], v[58:59], v[6:7]
	v_cvt_f64_f32_e32 v[58:59], v72
	v_cvt_f64_f32_e32 v[70:71], v73
	v_fmac_f64_e32 v[50:51], v[58:59], v[0:1]
	v_fmac_f64_e32 v[30:31], v[70:71], v[0:1]
	v_fma_f64 v[78:79], -v[70:71], v[2:3], v[50:51]
	v_fmac_f64_e32 v[30:31], v[58:59], v[2:3]
	v_cvt_f64_f32_e32 v[50:51], v66
	v_cvt_f64_f32_e32 v[58:59], v67
	v_fmac_f64_e32 v[52:53], v[50:51], v[12:13]
	v_fmac_f64_e32 v[28:29], v[58:59], v[12:13]
	v_fma_f64 v[52:53], -v[58:59], v[14:15], v[52:53]
	v_fmac_f64_e32 v[28:29], v[50:51], v[14:15]
	v_cvt_f64_f32_e32 v[12:13], v68
	v_cvt_f64_f32_e32 v[14:15], v69
	v_fmac_f64_e32 v[52:53], v[12:13], v[8:9]
	v_fmac_f64_e32 v[28:29], v[14:15], v[8:9]
	v_fma_f64 v[50:51], -v[14:15], v[10:11], v[52:53]
	v_fmac_f64_e32 v[28:29], v[12:13], v[10:11]
	v_cvt_f64_f32_e32 v[8:9], v62
	v_cvt_f64_f32_e32 v[10:11], v63
	v_fmac_f64_e32 v[50:51], v[8:9], v[4:5]
	v_fmac_f64_e32 v[28:29], v[10:11], v[4:5]
	v_fma_f64 v[12:13], -v[10:11], v[6:7], v[50:51]
	v_fmac_f64_e32 v[28:29], v[8:9], v[6:7]
	v_cvt_f64_f32_e32 v[4:5], v64
	v_cvt_f64_f32_e32 v[6:7], v65
	v_fmac_f64_e32 v[12:13], v[4:5], v[0:1]
	v_fmac_f64_e32 v[28:29], v[6:7], v[0:1]
	global_load_dwordx2 v[0:1], v[48:49], off offset:-256
	v_fma_f64 v[58:59], -v[6:7], v[2:3], v[12:13]
	v_fmac_f64_e32 v[28:29], v[4:5], v[2:3]
	s_waitcnt vmcnt(0)
	v_subrev_co_u32_e32 v14, vcc, s20, v0
	v_subb_co_u32_e32 v15, vcc, v1, v27, vcc
	v_add_co_u32_e32 v0, vcc, s21, v44
	v_addc_co_u32_e32 v1, vcc, 0, v45, vcc
	v_lshlrev_b64 v[14:15], 6, v[14:15]
	v_add_co_u32_e32 v14, vcc, s4, v14
	v_addc_co_u32_e32 v15, vcc, v60, v15, vcc
	global_load_dwordx4 v[2:5], v[0:1], off offset:-4096
	global_load_dwordx4 v[6:9], v[80:81], off offset:48
	global_load_dwordx4 v[10:13], v[80:81], off offset:32
	;; [unrolled: 1-line block ×6, first 2 shown]
	global_load_dwordx4 v[74:77], v[14:15], off
	s_waitcnt vmcnt(7)
	v_cvt_f64_f32_e32 v[82:83], v2
	v_cvt_f64_f32_e32 v[2:3], v3
	s_waitcnt vmcnt(0)
	v_fmac_f64_e32 v[54:55], v[82:83], v[74:75]
	v_fmac_f64_e32 v[40:41], v[2:3], v[74:75]
	v_fma_f64 v[14:15], -v[2:3], v[76:77], v[54:55]
	v_fmac_f64_e32 v[40:41], v[82:83], v[76:77]
	v_cvt_f64_f32_e32 v[2:3], v4
	v_cvt_f64_f32_e32 v[4:5], v5
	v_fmac_f64_e32 v[14:15], v[2:3], v[70:71]
	v_fmac_f64_e32 v[40:41], v[4:5], v[70:71]
	v_fma_f64 v[14:15], -v[4:5], v[72:73], v[14:15]
	v_fmac_f64_e32 v[40:41], v[2:3], v[72:73]
	v_cvt_f64_f32_e32 v[4:5], v51
	v_cvt_f64_f32_e32 v[2:3], v50
	v_fmac_f64_e32 v[40:41], v[4:5], v[66:67]
	v_fmac_f64_e32 v[14:15], v[2:3], v[66:67]
	;; [unrolled: 1-line block ×3, first 2 shown]
	v_cvt_f64_f32_e32 v[50:51], v53
	v_fma_f64 v[14:15], -v[4:5], v[68:69], v[14:15]
	v_cvt_f64_f32_e32 v[4:5], v52
	v_fmac_f64_e32 v[40:41], v[50:51], v[62:63]
	v_fmac_f64_e32 v[14:15], v[4:5], v[62:63]
	;; [unrolled: 1-line block ×3, first 2 shown]
	v_cvt_f64_f32_e32 v[4:5], v10
	v_cvt_f64_f32_e32 v[10:11], v11
	v_fmac_f64_e32 v[56:57], v[4:5], v[74:75]
	v_fmac_f64_e32 v[38:39], v[10:11], v[74:75]
	v_fma_f64 v[2:3], -v[50:51], v[64:65], v[14:15]
	v_fma_f64 v[14:15], -v[10:11], v[76:77], v[56:57]
	v_fmac_f64_e32 v[38:39], v[4:5], v[76:77]
	v_cvt_f64_f32_e32 v[4:5], v12
	v_cvt_f64_f32_e32 v[10:11], v13
	v_fmac_f64_e32 v[14:15], v[4:5], v[70:71]
	v_fmac_f64_e32 v[38:39], v[10:11], v[70:71]
	v_fma_f64 v[12:13], -v[10:11], v[72:73], v[14:15]
	v_fmac_f64_e32 v[38:39], v[4:5], v[72:73]
	v_cvt_f64_f32_e32 v[4:5], v6
	v_cvt_f64_f32_e32 v[6:7], v7
	v_fmac_f64_e32 v[12:13], v[4:5], v[66:67]
	v_fma_f64 v[10:11], -v[6:7], v[68:69], v[12:13]
	v_fmac_f64_e32 v[38:39], v[6:7], v[66:67]
	v_cvt_f64_f32_e32 v[6:7], v8
	v_fmac_f64_e32 v[38:39], v[4:5], v[68:69]
	v_cvt_f64_f32_e32 v[8:9], v9
	v_fmac_f64_e32 v[10:11], v[6:7], v[62:63]
	v_fma_f64 v[4:5], -v[8:9], v[64:65], v[10:11]
	v_fmac_f64_e32 v[38:39], v[8:9], v[62:63]
	global_load_dwordx4 v[8:11], v[80:81], off offset:112
	global_load_dwordx4 v[12:15], v[80:81], off offset:96
	;; [unrolled: 1-line block ×4, first 2 shown]
	v_fmac_f64_e32 v[38:39], v[6:7], v[64:65]
	s_waitcnt vmcnt(0)
	v_cvt_f64_f32_e32 v[6:7], v54
	v_cvt_f64_f32_e32 v[54:55], v55
	v_fmac_f64_e32 v[78:79], v[6:7], v[74:75]
	v_fmac_f64_e32 v[30:31], v[54:55], v[74:75]
	v_fma_f64 v[78:79], -v[54:55], v[76:77], v[78:79]
	v_fmac_f64_e32 v[30:31], v[6:7], v[76:77]
	v_cvt_f64_f32_e32 v[6:7], v56
	v_cvt_f64_f32_e32 v[54:55], v57
	v_fmac_f64_e32 v[78:79], v[6:7], v[70:71]
	v_fmac_f64_e32 v[30:31], v[54:55], v[70:71]
	v_fma_f64 v[56:57], -v[54:55], v[72:73], v[78:79]
	v_fmac_f64_e32 v[30:31], v[6:7], v[72:73]
	;; [unrolled: 6-line block ×3, first 2 shown]
	v_cvt_f64_f32_e32 v[50:51], v52
	v_cvt_f64_f32_e32 v[52:53], v53
	v_fmac_f64_e32 v[30:31], v[52:53], v[62:63]
	v_fmac_f64_e32 v[54:55], v[50:51], v[62:63]
	;; [unrolled: 1-line block ×3, first 2 shown]
	v_cvt_f64_f32_e32 v[50:51], v12
	v_cvt_f64_f32_e32 v[12:13], v13
	v_fmac_f64_e32 v[58:59], v[50:51], v[74:75]
	v_fmac_f64_e32 v[28:29], v[12:13], v[74:75]
	v_fma_f64 v[6:7], -v[52:53], v[64:65], v[54:55]
	v_fma_f64 v[52:53], -v[12:13], v[76:77], v[58:59]
	v_fmac_f64_e32 v[28:29], v[50:51], v[76:77]
	v_cvt_f64_f32_e32 v[12:13], v14
	v_cvt_f64_f32_e32 v[14:15], v15
	v_fmac_f64_e32 v[52:53], v[12:13], v[70:71]
	v_fmac_f64_e32 v[28:29], v[14:15], v[70:71]
	v_fma_f64 v[50:51], -v[14:15], v[72:73], v[52:53]
	v_fmac_f64_e32 v[28:29], v[12:13], v[72:73]
	v_cvt_f64_f32_e32 v[12:13], v8
	v_cvt_f64_f32_e32 v[8:9], v9
	v_fmac_f64_e32 v[50:51], v[12:13], v[66:67]
	v_fmac_f64_e32 v[28:29], v[8:9], v[66:67]
	v_fma_f64 v[14:15], -v[8:9], v[68:69], v[50:51]
	v_fmac_f64_e32 v[28:29], v[12:13], v[68:69]
	v_cvt_f64_f32_e32 v[12:13], v10
	v_cvt_f64_f32_e32 v[10:11], v11
	v_fmac_f64_e32 v[14:15], v[12:13], v[62:63]
	v_fma_f64 v[8:9], -v[10:11], v[64:65], v[14:15]
	v_fmac_f64_e32 v[28:29], v[10:11], v[62:63]
	global_load_dwordx2 v[10:11], v[48:49], off
	v_fmac_f64_e32 v[28:29], v[12:13], v[64:65]
	s_waitcnt vmcnt(0)
	v_subrev_co_u32_e32 v14, vcc, s20, v10
	v_subb_co_u32_e32 v15, vcc, v11, v27, vcc
	v_lshlrev_b64 v[14:15], 6, v[14:15]
	v_add_co_u32_e32 v14, vcc, s4, v14
	v_addc_co_u32_e32 v15, vcc, v60, v15, vcc
	global_load_dwordx4 v[10:13], v[0:1], off
	global_load_dwordx4 v[50:53], v[0:1], off offset:48
	global_load_dwordx4 v[56:59], v[0:1], off offset:32
	;; [unrolled: 1-line block ×6, first 2 shown]
	global_load_dwordx4 v[78:81], v[14:15], off
	s_waitcnt vmcnt(7)
	v_cvt_f64_f32_e32 v[54:55], v10
	v_cvt_f64_f32_e32 v[10:11], v11
	s_waitcnt vmcnt(0)
	v_fmac_f64_e32 v[2:3], v[54:55], v[78:79]
	v_fmac_f64_e32 v[40:41], v[10:11], v[78:79]
	v_fma_f64 v[2:3], -v[10:11], v[80:81], v[2:3]
	v_fmac_f64_e32 v[40:41], v[54:55], v[80:81]
	v_cvt_f64_f32_e32 v[10:11], v12
	v_cvt_f64_f32_e32 v[12:13], v13
	v_fmac_f64_e32 v[2:3], v[10:11], v[74:75]
	v_fmac_f64_e32 v[40:41], v[12:13], v[74:75]
	v_fma_f64 v[2:3], -v[12:13], v[76:77], v[2:3]
	v_fmac_f64_e32 v[40:41], v[10:11], v[76:77]
	v_cvt_f64_f32_e32 v[10:11], v62
	v_cvt_f64_f32_e32 v[12:13], v63
	;; [unrolled: 6-line block ×7, first 2 shown]
	v_fmac_f64_e32 v[4:5], v[2:3], v[66:67]
	v_fmac_f64_e32 v[38:39], v[10:11], v[66:67]
	v_fma_f64 v[56:57], -v[10:11], v[68:69], v[4:5]
	v_fmac_f64_e32 v[38:39], v[2:3], v[68:69]
	global_load_dwordx4 v[2:5], v[0:1], off offset:112
	global_load_dwordx4 v[10:13], v[0:1], off offset:96
	;; [unrolled: 1-line block ×4, first 2 shown]
	s_waitcnt vmcnt(0)
	v_cvt_f64_f32_e32 v[0:1], v62
	v_cvt_f64_f32_e32 v[14:15], v63
	v_fmac_f64_e32 v[6:7], v[0:1], v[78:79]
	v_fmac_f64_e32 v[30:31], v[14:15], v[78:79]
	v_fma_f64 v[6:7], -v[14:15], v[80:81], v[6:7]
	v_fmac_f64_e32 v[30:31], v[0:1], v[80:81]
	v_cvt_f64_f32_e32 v[0:1], v64
	v_cvt_f64_f32_e32 v[14:15], v65
	v_fmac_f64_e32 v[6:7], v[0:1], v[74:75]
	v_fmac_f64_e32 v[30:31], v[14:15], v[74:75]
	v_fma_f64 v[6:7], -v[14:15], v[76:77], v[6:7]
	v_fmac_f64_e32 v[30:31], v[0:1], v[76:77]
	;; [unrolled: 6-line block ×7, first 2 shown]
	v_cvt_f64_f32_e32 v[2:3], v5
	v_cvt_f64_f32_e32 v[0:1], v4
	v_fmac_f64_e32 v[28:29], v[2:3], v[66:67]
	v_fmac_f64_e32 v[6:7], v[0:1], v[66:67]
	;; [unrolled: 1-line block ×3, first 2 shown]
	global_load_dwordx2 v[0:1], v[48:49], off offset:256
	v_fma_f64 v[52:53], -v[2:3], v[68:69], v[6:7]
	s_waitcnt vmcnt(0)
	v_subrev_co_u32_e32 v0, vcc, s20, v0
	v_subb_co_u32_e32 v1, vcc, v1, v27, vcc
	v_add_co_u32_e32 v58, vcc, s22, v44
	v_addc_co_u32_e32 v59, vcc, 0, v45, vcc
	v_lshlrev_b64 v[0:1], 6, v[0:1]
	v_add_co_u32_e32 v80, vcc, s4, v0
	v_addc_co_u32_e32 v81, vcc, v60, v1, vcc
	global_load_dwordx4 v[62:65], v[58:59], off
	global_load_dwordx4 v[66:69], v[58:59], off offset:48
	global_load_dwordx4 v[70:73], v[58:59], off offset:32
	;; [unrolled: 1-line block ×6, first 2 shown]
	global_load_dwordx4 v[12:15], v[80:81], off
	v_add_co_u32_e32 v46, vcc, 0x80, v46
	v_addc_co_u32_e32 v47, vcc, 0, v47, vcc
	v_add_co_u32_e32 v48, vcc, 0x400, v48
	v_addc_co_u32_e32 v49, vcc, 0, v49, vcc
	v_cmp_ge_i64_e64 s[2:3], v[46:47], v[34:35]
	v_add_co_u32_e32 v44, vcc, 0x4000, v44
	v_addc_co_u32_e32 v45, vcc, 0, v45, vcc
	s_or_b64 s[18:19], s[2:3], s[18:19]
	s_waitcnt vmcnt(7)
	v_cvt_f64_f32_e32 v[78:79], v62
	v_cvt_f64_f32_e32 v[62:63], v63
	s_waitcnt vmcnt(0)
	v_fmac_f64_e32 v[54:55], v[78:79], v[12:13]
	v_fmac_f64_e32 v[40:41], v[62:63], v[12:13]
	v_fma_f64 v[54:55], -v[62:63], v[14:15], v[54:55]
	v_fmac_f64_e32 v[40:41], v[78:79], v[14:15]
	v_cvt_f64_f32_e32 v[62:63], v64
	v_cvt_f64_f32_e32 v[64:65], v65
	v_fmac_f64_e32 v[54:55], v[62:63], v[8:9]
	v_fmac_f64_e32 v[40:41], v[64:65], v[8:9]
	v_fma_f64 v[54:55], -v[64:65], v[10:11], v[54:55]
	v_fmac_f64_e32 v[40:41], v[62:63], v[10:11]
	v_cvt_f64_f32_e32 v[62:63], v74
	v_cvt_f64_f32_e32 v[64:65], v75
	;; [unrolled: 6-line block ×7, first 2 shown]
	v_fmac_f64_e32 v[56:57], v[62:63], v[0:1]
	v_fmac_f64_e32 v[38:39], v[64:65], v[0:1]
	v_fma_f64 v[56:57], -v[64:65], v[2:3], v[56:57]
	v_fmac_f64_e32 v[38:39], v[62:63], v[2:3]
	global_load_dwordx4 v[62:65], v[58:59], off offset:112
	global_load_dwordx4 v[66:69], v[58:59], off offset:96
	;; [unrolled: 1-line block ×4, first 2 shown]
	s_waitcnt vmcnt(0)
	v_cvt_f64_f32_e32 v[58:59], v74
	v_cvt_f64_f32_e32 v[74:75], v75
	v_fmac_f64_e32 v[50:51], v[58:59], v[12:13]
	v_fmac_f64_e32 v[30:31], v[74:75], v[12:13]
	v_fma_f64 v[50:51], -v[74:75], v[14:15], v[50:51]
	v_fmac_f64_e32 v[30:31], v[58:59], v[14:15]
	v_cvt_f64_f32_e32 v[58:59], v76
	v_cvt_f64_f32_e32 v[74:75], v77
	v_fmac_f64_e32 v[50:51], v[58:59], v[8:9]
	v_fmac_f64_e32 v[30:31], v[74:75], v[8:9]
	v_fma_f64 v[50:51], -v[74:75], v[10:11], v[50:51]
	v_fmac_f64_e32 v[30:31], v[58:59], v[10:11]
	;; [unrolled: 6-line block ×3, first 2 shown]
	v_cvt_f64_f32_e32 v[70:71], v73
	v_cvt_f64_f32_e32 v[58:59], v72
	v_fmac_f64_e32 v[30:31], v[70:71], v[0:1]
	v_fmac_f64_e32 v[50:51], v[58:59], v[0:1]
	;; [unrolled: 1-line block ×3, first 2 shown]
	v_cvt_f64_f32_e32 v[58:59], v66
	v_cvt_f64_f32_e32 v[66:67], v67
	v_fmac_f64_e32 v[52:53], v[58:59], v[12:13]
	v_fmac_f64_e32 v[28:29], v[66:67], v[12:13]
	v_fma_f64 v[52:53], -v[66:67], v[14:15], v[52:53]
	v_fmac_f64_e32 v[28:29], v[58:59], v[14:15]
	v_cvt_f64_f32_e32 v[12:13], v68
	v_cvt_f64_f32_e32 v[14:15], v69
	v_fmac_f64_e32 v[52:53], v[12:13], v[8:9]
	v_fmac_f64_e32 v[28:29], v[14:15], v[8:9]
	v_fma_f64 v[52:53], -v[14:15], v[10:11], v[52:53]
	v_fmac_f64_e32 v[28:29], v[12:13], v[10:11]
	;; [unrolled: 6-line block ×3, first 2 shown]
	v_cvt_f64_f32_e32 v[4:5], v64
	v_cvt_f64_f32_e32 v[6:7], v65
	v_fmac_f64_e32 v[12:13], v[4:5], v[0:1]
	v_fmac_f64_e32 v[28:29], v[6:7], v[0:1]
	v_fma_f64 v[50:51], -v[70:71], v[2:3], v[50:51]
	v_fma_f64 v[52:53], -v[6:7], v[2:3], v[12:13]
	v_fmac_f64_e32 v[28:29], v[4:5], v[2:3]
	s_andn2_b64 exec, exec, s[18:19]
	s_cbranch_execnz .LBB178_25
; %bb.26:
	s_or_b64 exec, exec, s[18:19]
.LBB178_27:
	s_or_b64 exec, exec, s[14:15]
.LBB178_28:
	s_or_b64 exec, exec, s[10:11]
	s_andn2_b64 vcc, exec, s[8:9]
	s_cbranch_vccz .LBB178_30
	s_branch .LBB178_41
.LBB178_29:
                                        ; implicit-def: $vgpr40_vgpr41
                                        ; implicit-def: $vgpr54_vgpr55
                                        ; implicit-def: $vgpr38_vgpr39
                                        ; implicit-def: $vgpr56_vgpr57
                                        ; implicit-def: $vgpr30_vgpr31
                                        ; implicit-def: $vgpr50_vgpr51
                                        ; implicit-def: $vgpr28_vgpr29
                                        ; implicit-def: $vgpr52_vgpr53
.LBB178_30:
	v_pk_mov_b32 v[40:41], 0, 0
	v_pk_mov_b32 v[54:55], v[40:41], v[40:41] op_sel:[0,1]
	v_pk_mov_b32 v[38:39], v[40:41], v[40:41] op_sel:[0,1]
	;; [unrolled: 1-line block ×7, first 2 shown]
	s_and_saveexec_b64 s[2:3], s[0:1]
	s_cbranch_execz .LBB178_40
; %bb.31:
	v_or_b32_e32 v0, 32, v26
	v_mov_b32_e32 v1, s17
	v_subrev_co_u32_e32 v0, vcc, s20, v0
	v_subb_co_u32_e32 v1, vcc, 0, v1, vcc
	v_add_co_u32_e32 v0, vcc, v0, v42
	v_addc_co_u32_e32 v1, vcc, v1, v43, vcc
	v_cmp_gt_i64_e32 vcc, v[0:1], v[34:35]
	v_cndmask_b32_e32 v1, v35, v1, vcc
	v_cndmask_b32_e32 v0, v34, v0, vcc
	v_mov_b32_e32 v4, s17
	v_sub_co_u32_e32 v5, vcc, s20, v26
	v_not_b32_e32 v3, v42
	v_subbrev_co_u32_e32 v4, vcc, 0, v4, vcc
	v_not_b32_e32 v2, v43
	v_add_co_u32_e32 v3, vcc, v5, v3
	v_addc_co_u32_e32 v2, vcc, v4, v2, vcc
	v_add_co_u32_e32 v42, vcc, v3, v0
	v_lshrrev_b32_e32 v0, 5, v42
	v_add_u32_e32 v0, 1, v0
	v_addc_co_u32_e32 v43, vcc, v2, v1, vcc
	v_and_b32_e32 v0, 3, v0
	v_pk_mov_b32 v[52:53], 0, 0
	v_cmp_ne_u32_e32 vcc, 0, v0
	s_mov_b64 s[10:11], 0
	v_pk_mov_b32 v[28:29], v[52:53], v[52:53] op_sel:[0,1]
	v_pk_mov_b32 v[50:51], v[52:53], v[52:53] op_sel:[0,1]
	;; [unrolled: 1-line block ×7, first 2 shown]
	s_and_saveexec_b64 s[8:9], vcc
	s_cbranch_execz .LBB178_35
; %bb.32:
	v_lshlrev_b64 v[2:3], 3, v[32:33]
	v_mov_b32_e32 v1, s13
	v_add_co_u32_e32 v46, vcc, s12, v2
	v_pk_mov_b32 v[40:41], 0, 0
	v_mov_b32_e32 v45, 0
	v_addc_co_u32_e32 v47, vcc, v1, v3, vcc
	v_lshlrev_b32_e32 v44, 3, v0
	s_movk_i32 s14, 0x1000
	v_mov_b32_e32 v27, s17
	v_mov_b32_e32 v58, s5
	v_pk_mov_b32 v[54:55], v[40:41], v[40:41] op_sel:[0,1]
	v_pk_mov_b32 v[38:39], v[40:41], v[40:41] op_sel:[0,1]
	;; [unrolled: 1-line block ×7, first 2 shown]
.LBB178_33:                             ; =>This Inner Loop Header: Depth=1
	global_load_dwordx2 v[48:49], v[46:47], off
	global_load_dwordx4 v[12:15], v[36:37], off
	global_load_dwordx4 v[8:11], v[36:37], off offset:16
	global_load_dwordx4 v[4:7], v[36:37], off offset:32
	;; [unrolled: 1-line block ×7, first 2 shown]
	v_add_co_u32_e32 v36, vcc, s14, v36
	v_addc_co_u32_e32 v37, vcc, 0, v37, vcc
	v_add_co_u32_e32 v46, vcc, 0x100, v46
	v_addc_co_u32_e32 v47, vcc, 0, v47, vcc
	v_add_co_u32_e64 v32, s[0:1], 32, v32
	v_addc_co_u32_e64 v33, s[0:1], 0, v33, s[0:1]
	v_add_co_u32_e64 v44, s[0:1], -8, v44
	v_addc_co_u32_e64 v45, s[0:1], -1, v45, s[0:1]
	v_cmp_eq_u64_e64 s[0:1], 0, v[44:45]
	s_or_b64 s[10:11], s[0:1], s[10:11]
	s_waitcnt vmcnt(8)
	v_subrev_co_u32_e32 v48, vcc, s20, v48
	v_subb_co_u32_e32 v49, vcc, v49, v27, vcc
	s_waitcnt vmcnt(5)
	v_cvt_f64_f32_e32 v[96:97], v4
	v_cvt_f64_f32_e32 v[98:99], v5
	v_lshlrev_b64 v[4:5], 6, v[48:49]
	v_add_co_u32_e32 v48, vcc, s4, v4
	v_addc_co_u32_e32 v49, vcc, v58, v5, vcc
	v_cvt_f64_f32_e32 v[80:81], v12
	v_cvt_f64_f32_e32 v[82:83], v13
	;; [unrolled: 1-line block ×10, first 2 shown]
	global_load_dwordx4 v[4:7], v[48:49], off
	global_load_dwordx4 v[8:11], v[48:49], off offset:16
	global_load_dwordx4 v[12:15], v[48:49], off offset:32
	;; [unrolled: 1-line block ×3, first 2 shown]
	s_waitcnt vmcnt(8)
	v_cvt_f64_f32_e32 v[104:105], v0
	v_cvt_f64_f32_e32 v[0:1], v1
	v_cvt_f64_f32_e32 v[106:107], v2
	v_cvt_f64_f32_e32 v[2:3], v3
	s_waitcnt vmcnt(7)
	v_cvt_f64_f32_e32 v[48:49], v60
	v_cvt_f64_f32_e32 v[60:61], v61
	v_cvt_f64_f32_e32 v[108:109], v62
	v_cvt_f64_f32_e32 v[62:63], v63
	;; [unrolled: 5-line block ×5, first 2 shown]
	s_waitcnt vmcnt(3)
	v_fmac_f64_e32 v[54:55], v[80:81], v[4:5]
	v_fmac_f64_e32 v[40:41], v[82:83], v[4:5]
	v_fmac_f64_e32 v[56:57], v[84:85], v[4:5]
	v_fmac_f64_e32 v[38:39], v[86:87], v[4:5]
	v_fmac_f64_e32 v[50:51], v[88:89], v[4:5]
	v_fmac_f64_e32 v[30:31], v[90:91], v[4:5]
	v_fmac_f64_e32 v[52:53], v[92:93], v[4:5]
	v_fmac_f64_e32 v[28:29], v[94:95], v[4:5]
	v_fma_f64 v[4:5], -v[82:83], v[6:7], v[54:55]
	v_fmac_f64_e32 v[40:41], v[80:81], v[6:7]
	v_fma_f64 v[54:55], -v[86:87], v[6:7], v[56:57]
	v_fmac_f64_e32 v[38:39], v[84:85], v[6:7]
	v_fma_f64 v[50:51], -v[90:91], v[6:7], v[50:51]
	v_fmac_f64_e32 v[30:31], v[88:89], v[6:7]
	v_fma_f64 v[52:53], -v[94:95], v[6:7], v[52:53]
	v_fmac_f64_e32 v[28:29], v[92:93], v[6:7]
	s_waitcnt vmcnt(2)
	v_fmac_f64_e32 v[4:5], v[96:97], v[8:9]
	v_fmac_f64_e32 v[40:41], v[98:99], v[8:9]
	v_fmac_f64_e32 v[54:55], v[100:101], v[8:9]
	v_fmac_f64_e32 v[38:39], v[102:103], v[8:9]
	v_fmac_f64_e32 v[50:51], v[104:105], v[8:9]
	v_fmac_f64_e32 v[30:31], v[0:1], v[8:9]
	v_fmac_f64_e32 v[52:53], v[106:107], v[8:9]
	v_fmac_f64_e32 v[28:29], v[2:3], v[8:9]
	v_fma_f64 v[4:5], -v[98:99], v[10:11], v[4:5]
	v_fmac_f64_e32 v[40:41], v[96:97], v[10:11]
	v_fma_f64 v[6:7], -v[102:103], v[10:11], v[54:55]
	v_fmac_f64_e32 v[38:39], v[100:101], v[10:11]
	v_fma_f64 v[0:1], -v[0:1], v[10:11], v[50:51]
	v_fmac_f64_e32 v[30:31], v[104:105], v[10:11]
	v_fma_f64 v[2:3], -v[2:3], v[10:11], v[52:53]
	v_fmac_f64_e32 v[28:29], v[106:107], v[10:11]
	s_waitcnt vmcnt(1)
	v_fmac_f64_e32 v[4:5], v[48:49], v[12:13]
	v_fmac_f64_e32 v[40:41], v[60:61], v[12:13]
	v_fmac_f64_e32 v[6:7], v[108:109], v[12:13]
	v_fmac_f64_e32 v[38:39], v[62:63], v[12:13]
	v_fmac_f64_e32 v[0:1], v[110:111], v[12:13]
	v_fmac_f64_e32 v[30:31], v[64:65], v[12:13]
	v_fmac_f64_e32 v[2:3], v[112:113], v[12:13]
	v_fmac_f64_e32 v[28:29], v[66:67], v[12:13]
	v_fma_f64 v[4:5], -v[60:61], v[14:15], v[4:5]
	v_fmac_f64_e32 v[40:41], v[48:49], v[14:15]
	v_fma_f64 v[6:7], -v[62:63], v[14:15], v[6:7]
	v_fmac_f64_e32 v[38:39], v[108:109], v[14:15]
	v_fma_f64 v[0:1], -v[64:65], v[14:15], v[0:1]
	v_fmac_f64_e32 v[30:31], v[110:111], v[14:15]
	v_fma_f64 v[2:3], -v[66:67], v[14:15], v[2:3]
	v_fmac_f64_e32 v[28:29], v[112:113], v[14:15]
	s_waitcnt vmcnt(0)
	v_fmac_f64_e32 v[4:5], v[114:115], v[76:77]
	v_fmac_f64_e32 v[40:41], v[68:69], v[76:77]
	v_fmac_f64_e32 v[6:7], v[116:117], v[76:77]
	v_fmac_f64_e32 v[38:39], v[70:71], v[76:77]
	v_fmac_f64_e32 v[0:1], v[118:119], v[76:77]
	v_fmac_f64_e32 v[30:31], v[72:73], v[76:77]
	v_fmac_f64_e32 v[2:3], v[120:121], v[76:77]
	v_fmac_f64_e32 v[28:29], v[74:75], v[76:77]
	v_fma_f64 v[54:55], -v[68:69], v[78:79], v[4:5]
	v_fmac_f64_e32 v[40:41], v[114:115], v[78:79]
	v_fma_f64 v[56:57], -v[70:71], v[78:79], v[6:7]
	v_fmac_f64_e32 v[38:39], v[116:117], v[78:79]
	v_fma_f64 v[50:51], -v[72:73], v[78:79], v[0:1]
	v_fmac_f64_e32 v[30:31], v[118:119], v[78:79]
	v_fma_f64 v[52:53], -v[74:75], v[78:79], v[2:3]
	v_fmac_f64_e32 v[28:29], v[120:121], v[78:79]
	s_andn2_b64 exec, exec, s[10:11]
	s_cbranch_execnz .LBB178_33
; %bb.34:
	s_or_b64 exec, exec, s[10:11]
.LBB178_35:
	s_or_b64 exec, exec, s[8:9]
	s_mov_b64 s[0:1], 0x5f
	v_cmp_lt_u64_e32 vcc, s[0:1], v[42:43]
	s_and_saveexec_b64 s[8:9], vcc
	s_cbranch_execz .LBB178_39
; %bb.36:
	v_lshlrev_b64 v[0:1], 3, v[32:33]
	v_mov_b32_e32 v2, s13
	v_add_co_u32_e32 v0, vcc, s12, v0
	v_addc_co_u32_e32 v1, vcc, v1, v2, vcc
	v_add_co_u32_e32 v8, vcc, 0x200, v0
	v_addc_co_u32_e32 v9, vcc, 0, v1, vcc
	s_mov_b64 s[10:11], 0
	v_mov_b32_e32 v27, s17
	v_mov_b32_e32 v46, s5
	s_movk_i32 s5, 0x1000
	s_movk_i32 s12, 0x2000
	;; [unrolled: 1-line block ×3, first 2 shown]
.LBB178_37:                             ; =>This Inner Loop Header: Depth=1
	global_load_dwordx2 v[0:1], v[8:9], off offset:-512
	global_load_dwordx4 v[10:13], v[36:37], off offset:48
	global_load_dwordx4 v[42:45], v[36:37], off offset:32
	;; [unrolled: 1-line block ×3, first 2 shown]
	global_load_dwordx4 v[62:65], v[36:37], off
	s_waitcnt vmcnt(4)
	v_subrev_co_u32_e32 v0, vcc, s20, v0
	v_subb_co_u32_e32 v1, vcc, v1, v27, vcc
	v_lshlrev_b64 v[0:1], 6, v[0:1]
	s_waitcnt vmcnt(0)
	v_cvt_f64_f32_e32 v[14:15], v62
	v_add_co_u32_e32 v62, vcc, s4, v0
	v_cvt_f64_f32_e32 v[48:49], v63
	v_addc_co_u32_e32 v63, vcc, v46, v1, vcc
	global_load_dwordx4 v[0:3], v[62:63], off offset:48
	global_load_dwordx4 v[4:7], v[62:63], off offset:32
	;; [unrolled: 1-line block ×3, first 2 shown]
	global_load_dwordx4 v[70:73], v[62:63], off
	s_waitcnt vmcnt(0)
	v_fmac_f64_e32 v[54:55], v[14:15], v[70:71]
	v_fma_f64 v[54:55], -v[48:49], v[72:73], v[54:55]
	v_fmac_f64_e32 v[40:41], v[48:49], v[70:71]
	v_cvt_f64_f32_e32 v[48:49], v65
	v_fmac_f64_e32 v[40:41], v[14:15], v[72:73]
	v_cvt_f64_f32_e32 v[14:15], v64
	v_fmac_f64_e32 v[38:39], v[48:49], v[70:71]
	v_fmac_f64_e32 v[56:57], v[14:15], v[70:71]
	;; [unrolled: 1-line block ×3, first 2 shown]
	v_cvt_f64_f32_e32 v[14:15], v58
	v_fma_f64 v[56:57], -v[48:49], v[72:73], v[56:57]
	v_cvt_f64_f32_e32 v[48:49], v59
	v_fmac_f64_e32 v[50:51], v[14:15], v[70:71]
	v_fma_f64 v[50:51], -v[48:49], v[72:73], v[50:51]
	v_fmac_f64_e32 v[30:31], v[48:49], v[70:71]
	v_cvt_f64_f32_e32 v[48:49], v61
	v_fmac_f64_e32 v[30:31], v[14:15], v[72:73]
	v_cvt_f64_f32_e32 v[14:15], v60
	v_fmac_f64_e32 v[28:29], v[48:49], v[70:71]
	v_fmac_f64_e32 v[52:53], v[14:15], v[70:71]
	;; [unrolled: 1-line block ×3, first 2 shown]
	v_cvt_f64_f32_e32 v[14:15], v42
	v_cvt_f64_f32_e32 v[42:43], v43
	v_fmac_f64_e32 v[54:55], v[14:15], v[66:67]
	v_fma_f64 v[58:59], -v[42:43], v[68:69], v[54:55]
	v_fmac_f64_e32 v[40:41], v[42:43], v[66:67]
	v_cvt_f64_f32_e32 v[42:43], v45
	v_fmac_f64_e32 v[40:41], v[14:15], v[68:69]
	v_cvt_f64_f32_e32 v[14:15], v44
	v_fmac_f64_e32 v[38:39], v[42:43], v[66:67]
	v_fmac_f64_e32 v[56:57], v[14:15], v[66:67]
	;; [unrolled: 1-line block ×3, first 2 shown]
	v_cvt_f64_f32_e32 v[14:15], v10
	v_cvt_f64_f32_e32 v[10:11], v11
	v_fmac_f64_e32 v[50:51], v[14:15], v[66:67]
	v_fma_f64 v[52:53], -v[48:49], v[72:73], v[52:53]
	v_fma_f64 v[60:61], -v[10:11], v[68:69], v[50:51]
	v_fmac_f64_e32 v[30:31], v[10:11], v[66:67]
	v_cvt_f64_f32_e32 v[10:11], v12
	v_cvt_f64_f32_e32 v[12:13], v13
	v_fmac_f64_e32 v[52:53], v[10:11], v[66:67]
	v_fmac_f64_e32 v[28:29], v[12:13], v[66:67]
	v_fma_f64 v[56:57], -v[42:43], v[68:69], v[56:57]
	v_fmac_f64_e32 v[30:31], v[14:15], v[68:69]
	v_fma_f64 v[14:15], -v[12:13], v[68:69], v[52:53]
	v_fmac_f64_e32 v[28:29], v[10:11], v[68:69]
	global_load_dwordx4 v[10:13], v[36:37], off offset:112
	global_load_dwordx4 v[42:45], v[36:37], off offset:96
	;; [unrolled: 1-line block ×4, first 2 shown]
	s_waitcnt vmcnt(0)
	v_cvt_f64_f32_e32 v[62:63], v52
	v_cvt_f64_f32_e32 v[52:53], v53
	v_fmac_f64_e32 v[58:59], v[62:63], v[4:5]
	v_fma_f64 v[58:59], -v[52:53], v[6:7], v[58:59]
	v_fmac_f64_e32 v[40:41], v[52:53], v[4:5]
	v_cvt_f64_f32_e32 v[52:53], v54
	v_cvt_f64_f32_e32 v[54:55], v55
	v_fmac_f64_e32 v[38:39], v[54:55], v[4:5]
	v_fmac_f64_e32 v[56:57], v[52:53], v[4:5]
	;; [unrolled: 1-line block ×3, first 2 shown]
	v_cvt_f64_f32_e32 v[52:53], v48
	v_cvt_f64_f32_e32 v[48:49], v49
	v_fmac_f64_e32 v[60:61], v[52:53], v[4:5]
	v_fma_f64 v[56:57], -v[54:55], v[6:7], v[56:57]
	v_fma_f64 v[54:55], -v[48:49], v[6:7], v[60:61]
	v_fmac_f64_e32 v[30:31], v[48:49], v[4:5]
	v_cvt_f64_f32_e32 v[48:49], v50
	v_cvt_f64_f32_e32 v[50:51], v51
	v_fmac_f64_e32 v[14:15], v[48:49], v[4:5]
	v_fmac_f64_e32 v[28:29], v[50:51], v[4:5]
	;; [unrolled: 1-line block ×4, first 2 shown]
	v_fma_f64 v[14:15], -v[50:51], v[6:7], v[14:15]
	v_fmac_f64_e32 v[28:29], v[48:49], v[6:7]
	v_cvt_f64_f32_e32 v[4:5], v42
	v_cvt_f64_f32_e32 v[6:7], v43
	v_fmac_f64_e32 v[58:59], v[4:5], v[0:1]
	v_fmac_f64_e32 v[40:41], v[6:7], v[0:1]
	v_fma_f64 v[68:69], -v[6:7], v[2:3], v[58:59]
	v_fmac_f64_e32 v[40:41], v[4:5], v[2:3]
	v_cvt_f64_f32_e32 v[4:5], v44
	v_cvt_f64_f32_e32 v[6:7], v45
	v_fmac_f64_e32 v[56:57], v[4:5], v[0:1]
	v_fmac_f64_e32 v[38:39], v[6:7], v[0:1]
	;; [unrolled: 6-line block ×4, first 2 shown]
	global_load_dwordx2 v[0:1], v[8:9], off offset:-256
	v_fma_f64 v[14:15], -v[6:7], v[2:3], v[14:15]
	v_add_co_u32_e32 v6, vcc, s5, v36
	v_addc_co_u32_e32 v7, vcc, 0, v37, vcc
	v_fmac_f64_e32 v[28:29], v[4:5], v[2:3]
	s_waitcnt vmcnt(0)
	v_subrev_co_u32_e32 v52, vcc, s20, v0
	v_subb_co_u32_e32 v53, vcc, v1, v27, vcc
	v_add_co_u32_e32 v0, vcc, s12, v36
	v_addc_co_u32_e32 v1, vcc, 0, v37, vcc
	v_lshlrev_b64 v[52:53], 6, v[52:53]
	v_add_co_u32_e32 v76, vcc, s4, v52
	v_addc_co_u32_e32 v77, vcc, v46, v53, vcc
	global_load_dwordx4 v[2:5], v[0:1], off offset:-4096
	global_load_dwordx4 v[10:13], v[6:7], off offset:48
	global_load_dwordx4 v[42:45], v[6:7], off offset:32
	;; [unrolled: 1-line block ×6, first 2 shown]
	global_load_dwordx4 v[64:67], v[76:77], off
	s_waitcnt vmcnt(7)
	v_cvt_f64_f32_e32 v[74:75], v2
	v_cvt_f64_f32_e32 v[2:3], v3
	s_waitcnt vmcnt(0)
	v_fmac_f64_e32 v[68:69], v[74:75], v[64:65]
	v_fma_f64 v[68:69], -v[2:3], v[66:67], v[68:69]
	v_fmac_f64_e32 v[40:41], v[2:3], v[64:65]
	v_cvt_f64_f32_e32 v[2:3], v4
	v_cvt_f64_f32_e32 v[4:5], v5
	v_fmac_f64_e32 v[70:71], v[2:3], v[64:65]
	v_fmac_f64_e32 v[38:39], v[4:5], v[64:65]
	v_fma_f64 v[70:71], -v[4:5], v[66:67], v[70:71]
	v_fmac_f64_e32 v[38:39], v[2:3], v[66:67]
	v_cvt_f64_f32_e32 v[2:3], v48
	v_cvt_f64_f32_e32 v[4:5], v49
	v_fmac_f64_e32 v[72:73], v[2:3], v[64:65]
	v_fmac_f64_e32 v[30:31], v[4:5], v[64:65]
	v_fma_f64 v[48:49], -v[4:5], v[66:67], v[72:73]
	v_fmac_f64_e32 v[30:31], v[2:3], v[66:67]
	v_cvt_f64_f32_e32 v[2:3], v50
	v_cvt_f64_f32_e32 v[4:5], v51
	v_fmac_f64_e32 v[14:15], v[2:3], v[64:65]
	v_fmac_f64_e32 v[28:29], v[4:5], v[64:65]
	v_fmac_f64_e32 v[40:41], v[74:75], v[66:67]
	v_fma_f64 v[14:15], -v[4:5], v[66:67], v[14:15]
	v_fmac_f64_e32 v[28:29], v[2:3], v[66:67]
	v_cvt_f64_f32_e32 v[2:3], v42
	v_cvt_f64_f32_e32 v[4:5], v43
	v_fmac_f64_e32 v[68:69], v[2:3], v[60:61]
	v_fmac_f64_e32 v[40:41], v[4:5], v[60:61]
	v_fma_f64 v[64:65], -v[4:5], v[62:63], v[68:69]
	v_fmac_f64_e32 v[40:41], v[2:3], v[62:63]
	v_cvt_f64_f32_e32 v[2:3], v44
	v_cvt_f64_f32_e32 v[4:5], v45
	;; [unrolled: 6-line block ×4, first 2 shown]
	v_fmac_f64_e32 v[14:15], v[2:3], v[60:61]
	v_fmac_f64_e32 v[28:29], v[4:5], v[60:61]
	v_fma_f64 v[14:15], -v[4:5], v[62:63], v[14:15]
	v_fmac_f64_e32 v[28:29], v[2:3], v[62:63]
	global_load_dwordx4 v[10:13], v[6:7], off offset:112
	global_load_dwordx4 v[2:5], v[6:7], off offset:96
	;; [unrolled: 1-line block ×4, first 2 shown]
	s_waitcnt vmcnt(0)
	v_cvt_f64_f32_e32 v[6:7], v48
	v_cvt_f64_f32_e32 v[48:49], v49
	v_fmac_f64_e32 v[64:65], v[6:7], v[56:57]
	v_fma_f64 v[60:61], -v[48:49], v[58:59], v[64:65]
	v_fmac_f64_e32 v[40:41], v[48:49], v[56:57]
	v_cvt_f64_f32_e32 v[48:49], v51
	v_fmac_f64_e32 v[40:41], v[6:7], v[58:59]
	v_cvt_f64_f32_e32 v[6:7], v50
	v_fmac_f64_e32 v[38:39], v[48:49], v[56:57]
	v_fmac_f64_e32 v[66:67], v[6:7], v[56:57]
	;; [unrolled: 1-line block ×3, first 2 shown]
	v_cvt_f64_f32_e32 v[6:7], v42
	v_cvt_f64_f32_e32 v[42:43], v43
	v_fmac_f64_e32 v[30:31], v[42:43], v[56:57]
	v_fmac_f64_e32 v[68:69], v[6:7], v[56:57]
	;; [unrolled: 1-line block ×3, first 2 shown]
	v_cvt_f64_f32_e32 v[6:7], v44
	v_fma_f64 v[50:51], -v[48:49], v[58:59], v[66:67]
	v_fma_f64 v[48:49], -v[42:43], v[58:59], v[68:69]
	v_cvt_f64_f32_e32 v[42:43], v45
	v_fmac_f64_e32 v[14:15], v[6:7], v[56:57]
	v_fma_f64 v[14:15], -v[42:43], v[58:59], v[14:15]
	v_fmac_f64_e32 v[28:29], v[42:43], v[56:57]
	v_cvt_f64_f32_e32 v[42:43], v3
	v_fmac_f64_e32 v[28:29], v[6:7], v[58:59]
	v_cvt_f64_f32_e32 v[6:7], v2
	v_fmac_f64_e32 v[40:41], v[42:43], v[52:53]
	v_fmac_f64_e32 v[60:61], v[6:7], v[52:53]
	v_fmac_f64_e32 v[40:41], v[6:7], v[54:55]
	v_cvt_f64_f32_e32 v[6:7], v4
	v_fma_f64 v[2:3], -v[42:43], v[54:55], v[60:61]
	v_cvt_f64_f32_e32 v[42:43], v5
	v_fmac_f64_e32 v[50:51], v[6:7], v[52:53]
	v_fma_f64 v[4:5], -v[42:43], v[54:55], v[50:51]
	v_fmac_f64_e32 v[38:39], v[42:43], v[52:53]
	v_cvt_f64_f32_e32 v[42:43], v10
	v_cvt_f64_f32_e32 v[10:11], v11
	v_fmac_f64_e32 v[30:31], v[10:11], v[52:53]
	v_fmac_f64_e32 v[48:49], v[42:43], v[52:53]
	;; [unrolled: 1-line block ×3, first 2 shown]
	v_cvt_f64_f32_e32 v[42:43], v12
	v_cvt_f64_f32_e32 v[12:13], v13
	v_fmac_f64_e32 v[14:15], v[42:43], v[52:53]
	v_fmac_f64_e32 v[38:39], v[6:7], v[54:55]
	v_fma_f64 v[6:7], -v[10:11], v[54:55], v[48:49]
	v_fma_f64 v[10:11], -v[12:13], v[54:55], v[14:15]
	v_fmac_f64_e32 v[28:29], v[12:13], v[52:53]
	global_load_dwordx2 v[12:13], v[8:9], off
	v_fmac_f64_e32 v[28:29], v[42:43], v[54:55]
	s_waitcnt vmcnt(0)
	v_subrev_co_u32_e32 v56, vcc, s20, v12
	v_subb_co_u32_e32 v57, vcc, v13, v27, vcc
	v_lshlrev_b64 v[56:57], 6, v[56:57]
	v_add_co_u32_e32 v74, vcc, s4, v56
	v_addc_co_u32_e32 v75, vcc, v46, v57, vcc
	global_load_dwordx4 v[12:15], v[0:1], off
	global_load_dwordx4 v[42:45], v[0:1], off offset:48
	global_load_dwordx4 v[48:51], v[0:1], off offset:32
	;; [unrolled: 1-line block ×6, first 2 shown]
	global_load_dwordx4 v[68:71], v[74:75], off
	s_waitcnt vmcnt(7)
	v_cvt_f64_f32_e32 v[72:73], v12
	v_cvt_f64_f32_e32 v[12:13], v13
	s_waitcnt vmcnt(0)
	v_fmac_f64_e32 v[2:3], v[72:73], v[68:69]
	v_fma_f64 v[2:3], -v[12:13], v[70:71], v[2:3]
	v_fmac_f64_e32 v[40:41], v[12:13], v[68:69]
	v_cvt_f64_f32_e32 v[12:13], v14
	v_cvt_f64_f32_e32 v[14:15], v15
	v_fmac_f64_e32 v[4:5], v[12:13], v[68:69]
	v_fmac_f64_e32 v[38:39], v[14:15], v[68:69]
	v_fma_f64 v[4:5], -v[14:15], v[70:71], v[4:5]
	v_fmac_f64_e32 v[38:39], v[12:13], v[70:71]
	v_cvt_f64_f32_e32 v[12:13], v52
	v_cvt_f64_f32_e32 v[14:15], v53
	v_fmac_f64_e32 v[6:7], v[12:13], v[68:69]
	;; [unrolled: 6-line block ×3, first 2 shown]
	v_fmac_f64_e32 v[28:29], v[14:15], v[68:69]
	v_fmac_f64_e32 v[40:41], v[72:73], v[70:71]
	v_fma_f64 v[10:11], -v[14:15], v[70:71], v[10:11]
	v_fmac_f64_e32 v[28:29], v[12:13], v[70:71]
	v_cvt_f64_f32_e32 v[12:13], v48
	v_cvt_f64_f32_e32 v[14:15], v49
	v_fmac_f64_e32 v[2:3], v[12:13], v[64:65]
	v_fmac_f64_e32 v[40:41], v[14:15], v[64:65]
	v_fma_f64 v[52:53], -v[14:15], v[66:67], v[2:3]
	v_fmac_f64_e32 v[40:41], v[12:13], v[66:67]
	v_cvt_f64_f32_e32 v[2:3], v50
	v_cvt_f64_f32_e32 v[12:13], v51
	;; [unrolled: 6-line block ×4, first 2 shown]
	v_fmac_f64_e32 v[10:11], v[2:3], v[64:65]
	v_fmac_f64_e32 v[28:29], v[4:5], v[64:65]
	v_fma_f64 v[54:55], -v[4:5], v[66:67], v[10:11]
	v_fmac_f64_e32 v[28:29], v[2:3], v[66:67]
	global_load_dwordx4 v[2:5], v[0:1], off offset:112
	global_load_dwordx4 v[10:13], v[0:1], off offset:96
	global_load_dwordx4 v[42:45], v[0:1], off offset:80
	global_load_dwordx4 v[48:51], v[0:1], off offset:64
	s_waitcnt vmcnt(0)
	v_cvt_f64_f32_e32 v[0:1], v48
	v_cvt_f64_f32_e32 v[48:49], v49
	v_fmac_f64_e32 v[52:53], v[0:1], v[60:61]
	v_fma_f64 v[52:53], -v[48:49], v[62:63], v[52:53]
	v_fmac_f64_e32 v[40:41], v[48:49], v[60:61]
	v_cvt_f64_f32_e32 v[48:49], v51
	v_fmac_f64_e32 v[40:41], v[0:1], v[62:63]
	v_cvt_f64_f32_e32 v[0:1], v50
	v_fmac_f64_e32 v[38:39], v[48:49], v[60:61]
	v_fmac_f64_e32 v[14:15], v[0:1], v[60:61]
	;; [unrolled: 1-line block ×3, first 2 shown]
	v_cvt_f64_f32_e32 v[0:1], v42
	v_cvt_f64_f32_e32 v[42:43], v43
	v_fmac_f64_e32 v[6:7], v[0:1], v[60:61]
	v_fma_f64 v[6:7], -v[42:43], v[62:63], v[6:7]
	v_fmac_f64_e32 v[30:31], v[42:43], v[60:61]
	v_cvt_f64_f32_e32 v[42:43], v45
	v_fmac_f64_e32 v[30:31], v[0:1], v[62:63]
	v_cvt_f64_f32_e32 v[0:1], v44
	v_fmac_f64_e32 v[28:29], v[42:43], v[60:61]
	v_fmac_f64_e32 v[54:55], v[0:1], v[60:61]
	;; [unrolled: 1-line block ×3, first 2 shown]
	v_cvt_f64_f32_e32 v[0:1], v10
	v_cvt_f64_f32_e32 v[10:11], v11
	v_fmac_f64_e32 v[52:53], v[0:1], v[56:57]
	v_fma_f64 v[44:45], -v[42:43], v[62:63], v[54:55]
	v_fma_f64 v[42:43], -v[10:11], v[58:59], v[52:53]
	v_fmac_f64_e32 v[40:41], v[10:11], v[56:57]
	v_cvt_f64_f32_e32 v[10:11], v13
	v_fma_f64 v[14:15], -v[48:49], v[62:63], v[14:15]
	v_fmac_f64_e32 v[40:41], v[0:1], v[58:59]
	v_cvt_f64_f32_e32 v[0:1], v12
	v_fmac_f64_e32 v[38:39], v[10:11], v[56:57]
	v_fmac_f64_e32 v[14:15], v[0:1], v[56:57]
	;; [unrolled: 1-line block ×3, first 2 shown]
	v_cvt_f64_f32_e32 v[0:1], v2
	v_cvt_f64_f32_e32 v[2:3], v3
	v_fmac_f64_e32 v[6:7], v[0:1], v[56:57]
	v_fma_f64 v[12:13], -v[2:3], v[58:59], v[6:7]
	v_fmac_f64_e32 v[30:31], v[2:3], v[56:57]
	v_cvt_f64_f32_e32 v[2:3], v5
	v_fmac_f64_e32 v[30:31], v[0:1], v[58:59]
	v_cvt_f64_f32_e32 v[0:1], v4
	v_fmac_f64_e32 v[28:29], v[2:3], v[56:57]
	v_fmac_f64_e32 v[44:45], v[0:1], v[56:57]
	;; [unrolled: 1-line block ×3, first 2 shown]
	global_load_dwordx2 v[0:1], v[8:9], off offset:256
	v_fma_f64 v[14:15], -v[10:11], v[58:59], v[14:15]
	v_fma_f64 v[10:11], -v[2:3], v[58:59], v[44:45]
	s_waitcnt vmcnt(0)
	v_subrev_co_u32_e32 v0, vcc, s20, v0
	v_subb_co_u32_e32 v1, vcc, v1, v27, vcc
	v_add_co_u32_e32 v44, vcc, s13, v36
	v_addc_co_u32_e32 v45, vcc, 0, v37, vcc
	v_lshlrev_b64 v[0:1], 6, v[0:1]
	v_add_co_u32_e32 v74, vcc, s4, v0
	v_addc_co_u32_e32 v75, vcc, v46, v1, vcc
	global_load_dwordx4 v[48:51], v[44:45], off
	global_load_dwordx4 v[52:55], v[44:45], off offset:48
	global_load_dwordx4 v[56:59], v[44:45], off offset:32
	;; [unrolled: 1-line block ×6, first 2 shown]
	global_load_dwordx4 v[68:71], v[74:75], off
	v_add_co_u32_e32 v32, vcc, 0x80, v32
	v_addc_co_u32_e32 v33, vcc, 0, v33, vcc
	v_add_co_u32_e32 v8, vcc, 0x400, v8
	v_addc_co_u32_e32 v9, vcc, 0, v9, vcc
	v_cmp_ge_i64_e64 s[0:1], v[32:33], v[34:35]
	v_add_co_u32_e32 v36, vcc, 0x4000, v36
	v_addc_co_u32_e32 v37, vcc, 0, v37, vcc
	s_or_b64 s[10:11], s[0:1], s[10:11]
	s_waitcnt vmcnt(7)
	v_cvt_f64_f32_e32 v[72:73], v48
	v_cvt_f64_f32_e32 v[48:49], v49
	s_waitcnt vmcnt(0)
	v_fmac_f64_e32 v[42:43], v[72:73], v[68:69]
	v_fma_f64 v[42:43], -v[48:49], v[70:71], v[42:43]
	v_fmac_f64_e32 v[40:41], v[48:49], v[68:69]
	v_cvt_f64_f32_e32 v[48:49], v50
	v_cvt_f64_f32_e32 v[50:51], v51
	v_fmac_f64_e32 v[14:15], v[48:49], v[68:69]
	v_fmac_f64_e32 v[38:39], v[50:51], v[68:69]
	v_fma_f64 v[14:15], -v[50:51], v[70:71], v[14:15]
	v_fmac_f64_e32 v[38:39], v[48:49], v[70:71]
	v_cvt_f64_f32_e32 v[48:49], v60
	v_cvt_f64_f32_e32 v[50:51], v61
	v_fmac_f64_e32 v[12:13], v[48:49], v[68:69]
	;; [unrolled: 6-line block ×3, first 2 shown]
	v_fmac_f64_e32 v[28:29], v[50:51], v[68:69]
	v_fmac_f64_e32 v[40:41], v[72:73], v[70:71]
	v_fma_f64 v[10:11], -v[50:51], v[70:71], v[10:11]
	v_fmac_f64_e32 v[28:29], v[48:49], v[70:71]
	v_cvt_f64_f32_e32 v[48:49], v56
	v_cvt_f64_f32_e32 v[50:51], v57
	v_fmac_f64_e32 v[42:43], v[48:49], v[64:65]
	v_fmac_f64_e32 v[40:41], v[50:51], v[64:65]
	v_fma_f64 v[42:43], -v[50:51], v[66:67], v[42:43]
	v_fmac_f64_e32 v[40:41], v[48:49], v[66:67]
	v_cvt_f64_f32_e32 v[48:49], v58
	v_cvt_f64_f32_e32 v[50:51], v59
	;; [unrolled: 6-line block ×4, first 2 shown]
	v_fmac_f64_e32 v[10:11], v[12:13], v[64:65]
	v_fmac_f64_e32 v[28:29], v[48:49], v[64:65]
	v_fma_f64 v[62:63], -v[48:49], v[66:67], v[10:11]
	v_fmac_f64_e32 v[28:29], v[12:13], v[66:67]
	global_load_dwordx4 v[10:13], v[44:45], off offset:112
	global_load_dwordx4 v[48:51], v[44:45], off offset:96
	global_load_dwordx4 v[52:55], v[44:45], off offset:80
	global_load_dwordx4 v[56:59], v[44:45], off offset:64
	s_waitcnt vmcnt(0)
	v_cvt_f64_f32_e32 v[44:45], v56
	v_cvt_f64_f32_e32 v[56:57], v57
	v_fmac_f64_e32 v[42:43], v[44:45], v[4:5]
	v_fma_f64 v[42:43], -v[56:57], v[6:7], v[42:43]
	v_fmac_f64_e32 v[40:41], v[56:57], v[4:5]
	v_cvt_f64_f32_e32 v[56:57], v59
	v_fmac_f64_e32 v[40:41], v[44:45], v[6:7]
	v_cvt_f64_f32_e32 v[44:45], v58
	v_fmac_f64_e32 v[38:39], v[56:57], v[4:5]
	v_fmac_f64_e32 v[14:15], v[44:45], v[4:5]
	;; [unrolled: 1-line block ×3, first 2 shown]
	v_cvt_f64_f32_e32 v[44:45], v52
	v_cvt_f64_f32_e32 v[52:53], v53
	v_fmac_f64_e32 v[60:61], v[44:45], v[4:5]
	v_fmac_f64_e32 v[30:31], v[52:53], v[4:5]
	v_fma_f64 v[58:59], -v[52:53], v[6:7], v[60:61]
	v_fmac_f64_e32 v[30:31], v[44:45], v[6:7]
	v_cvt_f64_f32_e32 v[44:45], v54
	v_cvt_f64_f32_e32 v[52:53], v55
	v_fmac_f64_e32 v[62:63], v[44:45], v[4:5]
	v_fmac_f64_e32 v[28:29], v[52:53], v[4:5]
	v_fma_f64 v[14:15], -v[56:57], v[6:7], v[14:15]
	v_fma_f64 v[60:61], -v[52:53], v[6:7], v[62:63]
	v_fmac_f64_e32 v[28:29], v[44:45], v[6:7]
	v_cvt_f64_f32_e32 v[4:5], v48
	v_cvt_f64_f32_e32 v[6:7], v49
	v_fmac_f64_e32 v[42:43], v[4:5], v[0:1]
	v_fmac_f64_e32 v[40:41], v[6:7], v[0:1]
	v_fma_f64 v[54:55], -v[6:7], v[2:3], v[42:43]
	v_fmac_f64_e32 v[40:41], v[4:5], v[2:3]
	v_cvt_f64_f32_e32 v[4:5], v50
	v_cvt_f64_f32_e32 v[6:7], v51
	v_fmac_f64_e32 v[14:15], v[4:5], v[0:1]
	v_fmac_f64_e32 v[38:39], v[6:7], v[0:1]
	;; [unrolled: 6-line block ×4, first 2 shown]
	v_fma_f64 v[52:53], -v[6:7], v[2:3], v[60:61]
	v_fmac_f64_e32 v[28:29], v[4:5], v[2:3]
	s_andn2_b64 exec, exec, s[10:11]
	s_cbranch_execnz .LBB178_37
; %bb.38:
	s_or_b64 exec, exec, s[10:11]
.LBB178_39:
	s_or_b64 exec, exec, s[8:9]
.LBB178_40:
	s_or_b64 exec, exec, s[2:3]
.LBB178_41:
	v_mov_b32_dpp v12, v38 row_shr:1 row_mask:0xf bank_mask:0xf
	v_mov_b32_dpp v13, v39 row_shr:1 row_mask:0xf bank_mask:0xf
	;; [unrolled: 1-line block ×8, first 2 shown]
	v_add_f64 v[12:13], v[38:39], v[12:13]
	v_mov_b32_dpp v32, v50 row_shr:1 row_mask:0xf bank_mask:0xf
	v_mov_b32_dpp v33, v51 row_shr:1 row_mask:0xf bank_mask:0xf
	;; [unrolled: 1-line block ×8, first 2 shown]
	v_add_f64 v[0:1], v[54:55], v[0:1]
	v_add_f64 v[4:5], v[40:41], v[4:5]
	v_add_f64 v[8:9], v[56:57], v[8:9]
	v_add_f64 v[32:33], v[50:51], v[32:33]
	v_add_f64 v[30:31], v[30:31], v[36:37]
	v_add_f64 v[38:39], v[52:53], v[38:39]
	v_add_f64 v[28:29], v[28:29], v[42:43]
	v_mov_b32_dpp v2, v0 row_shr:2 row_mask:0xf bank_mask:0xf
	v_mov_b32_dpp v3, v1 row_shr:2 row_mask:0xf bank_mask:0xf
	v_mov_b32_dpp v6, v4 row_shr:2 row_mask:0xf bank_mask:0xf
	v_mov_b32_dpp v7, v5 row_shr:2 row_mask:0xf bank_mask:0xf
	v_mov_b32_dpp v10, v8 row_shr:2 row_mask:0xf bank_mask:0xf
	v_mov_b32_dpp v11, v9 row_shr:2 row_mask:0xf bank_mask:0xf
	v_mov_b32_dpp v14, v12 row_shr:2 row_mask:0xf bank_mask:0xf
	v_mov_b32_dpp v15, v13 row_shr:2 row_mask:0xf bank_mask:0xf
	v_mov_b32_dpp v34, v32 row_shr:2 row_mask:0xf bank_mask:0xf
	v_mov_b32_dpp v35, v33 row_shr:2 row_mask:0xf bank_mask:0xf
	v_mov_b32_dpp v36, v30 row_shr:2 row_mask:0xf bank_mask:0xf
	v_mov_b32_dpp v37, v31 row_shr:2 row_mask:0xf bank_mask:0xf
	v_mov_b32_dpp v40, v38 row_shr:2 row_mask:0xf bank_mask:0xf
	v_mov_b32_dpp v41, v39 row_shr:2 row_mask:0xf bank_mask:0xf
	v_mov_b32_dpp v42, v28 row_shr:2 row_mask:0xf bank_mask:0xf
	v_mov_b32_dpp v43, v29 row_shr:2 row_mask:0xf bank_mask:0xf
	v_add_f64 v[0:1], v[0:1], v[2:3]
	v_add_f64 v[4:5], v[4:5], v[6:7]
	v_add_f64 v[8:9], v[8:9], v[10:11]
	v_add_f64 v[12:13], v[12:13], v[14:15]
	v_add_f64 v[32:33], v[32:33], v[34:35]
	v_add_f64 v[30:31], v[30:31], v[36:37]
	v_add_f64 v[38:39], v[38:39], v[40:41]
	v_add_f64 v[28:29], v[28:29], v[42:43]
	v_mov_b32_dpp v2, v0 row_shr:4 row_mask:0xf bank_mask:0xe
	v_mov_b32_dpp v3, v1 row_shr:4 row_mask:0xf bank_mask:0xe
	v_mov_b32_dpp v6, v4 row_shr:4 row_mask:0xf bank_mask:0xe
	v_mov_b32_dpp v7, v5 row_shr:4 row_mask:0xf bank_mask:0xe
	v_mov_b32_dpp v10, v8 row_shr:4 row_mask:0xf bank_mask:0xe
	v_mov_b32_dpp v11, v9 row_shr:4 row_mask:0xf bank_mask:0xe
	v_mov_b32_dpp v14, v12 row_shr:4 row_mask:0xf bank_mask:0xe
	v_mov_b32_dpp v15, v13 row_shr:4 row_mask:0xf bank_mask:0xe
	v_mov_b32_dpp v34, v32 row_shr:4 row_mask:0xf bank_mask:0xe
	v_mov_b32_dpp v35, v33 row_shr:4 row_mask:0xf bank_mask:0xe
	v_mov_b32_dpp v36, v30 row_shr:4 row_mask:0xf bank_mask:0xe
	v_mov_b32_dpp v37, v31 row_shr:4 row_mask:0xf bank_mask:0xe
	v_mov_b32_dpp v40, v38 row_shr:4 row_mask:0xf bank_mask:0xe
	v_mov_b32_dpp v41, v39 row_shr:4 row_mask:0xf bank_mask:0xe
	v_mov_b32_dpp v42, v28 row_shr:4 row_mask:0xf bank_mask:0xe
	v_mov_b32_dpp v43, v29 row_shr:4 row_mask:0xf bank_mask:0xe
	v_add_f64 v[0:1], v[0:1], v[2:3]
	;; [unrolled: 24-line block ×3, first 2 shown]
	v_add_f64 v[4:5], v[4:5], v[6:7]
	v_add_f64 v[8:9], v[8:9], v[10:11]
	;; [unrolled: 1-line block ×7, first 2 shown]
	v_mov_b32_dpp v2, v0 row_bcast:15 row_mask:0xa bank_mask:0xf
	v_mov_b32_dpp v3, v1 row_bcast:15 row_mask:0xa bank_mask:0xf
	;; [unrolled: 1-line block ×16, first 2 shown]
	v_cmp_eq_u32_e32 vcc, 31, v26
	s_and_b64 exec, exec, vcc
	s_cbranch_execz .LBB178_12
; %bb.42:
	s_load_dwordx2 s[2:3], s[6:7], 0x68
	v_add_f64 v[26:27], v[0:1], v[2:3]
	v_add_f64 v[0:1], v[4:5], v[6:7]
	;; [unrolled: 1-line block ×8, first 2 shown]
	v_cmp_eq_f64_e32 vcc, 0, v[16:17]
	v_cmp_eq_f64_e64 s[0:1], 0, v[18:19]
	v_mul_f64 v[12:13], v[0:1], -v[22:23]
	v_mul_f64 v[14:15], v[20:21], v[0:1]
	v_mul_f64 v[8:9], v[2:3], -v[22:23]
	v_mul_f64 v[10:11], v[20:21], v[2:3]
	;; [unrolled: 2-line block ×4, first 2 shown]
	s_and_b64 s[0:1], vcc, s[0:1]
	v_fmac_f64_e32 v[12:13], v[20:21], v[26:27]
	v_fmac_f64_e32 v[14:15], v[22:23], v[26:27]
	v_lshlrev_b64 v[24:25], 6, v[24:25]
	v_fmac_f64_e32 v[8:9], v[20:21], v[44:45]
	v_fmac_f64_e32 v[10:11], v[22:23], v[44:45]
	;; [unrolled: 1-line block ×6, first 2 shown]
	s_and_saveexec_b64 s[4:5], s[0:1]
	s_xor_b64 s[0:1], exec, s[4:5]
	s_cbranch_execz .LBB178_44
; %bb.43:
	s_waitcnt lgkmcnt(0)
	v_mov_b32_e32 v17, s3
	v_add_co_u32_e32 v16, vcc, s2, v24
	v_addc_co_u32_e32 v17, vcc, v17, v25, vcc
	global_store_dwordx4 v[16:17], v[12:15], off
	global_store_dwordx4 v[16:17], v[8:11], off offset:16
	global_store_dwordx4 v[16:17], v[4:7], off offset:32
	;; [unrolled: 1-line block ×3, first 2 shown]
                                        ; implicit-def: $vgpr16_vgpr17
                                        ; implicit-def: $vgpr18_vgpr19
                                        ; implicit-def: $vgpr12_vgpr13
                                        ; implicit-def: $vgpr24_vgpr25
                                        ; implicit-def: $vgpr8_vgpr9
                                        ; implicit-def: $vgpr4_vgpr5
                                        ; implicit-def: $vgpr0_vgpr1
.LBB178_44:
	s_andn2_saveexec_b64 s[0:1], s[0:1]
	s_cbranch_execz .LBB178_12
; %bb.45:
	s_waitcnt lgkmcnt(0)
	v_mov_b32_e32 v20, s3
	v_add_co_u32_e32 v36, vcc, s2, v24
	v_addc_co_u32_e32 v37, vcc, v20, v25, vcc
	global_load_dwordx4 v[20:23], v[36:37], off
	global_load_dwordx4 v[24:27], v[36:37], off offset:16
	global_load_dwordx4 v[28:31], v[36:37], off offset:32
	;; [unrolled: 1-line block ×3, first 2 shown]
	s_waitcnt vmcnt(3)
	v_fmac_f64_e32 v[12:13], v[16:17], v[20:21]
	v_fmac_f64_e32 v[14:15], v[18:19], v[20:21]
	s_waitcnt vmcnt(2)
	v_fmac_f64_e32 v[8:9], v[16:17], v[24:25]
	v_fmac_f64_e32 v[10:11], v[18:19], v[24:25]
	;; [unrolled: 3-line block ×4, first 2 shown]
	v_fma_f64 v[12:13], -v[18:19], v[22:23], v[12:13]
	v_fmac_f64_e32 v[14:15], v[16:17], v[22:23]
	v_fma_f64 v[8:9], -v[18:19], v[26:27], v[8:9]
	v_fmac_f64_e32 v[10:11], v[16:17], v[26:27]
	;; [unrolled: 2-line block ×4, first 2 shown]
	global_store_dwordx4 v[36:37], v[12:15], off
	global_store_dwordx4 v[36:37], v[8:11], off offset:16
	global_store_dwordx4 v[36:37], v[4:7], off offset:32
	global_store_dwordx4 v[36:37], v[0:3], off offset:48
	s_endpgm
	.section	.rodata,"a",@progbits
	.p2align	6, 0x0
	.amdhsa_kernel _ZN9rocsparseL18bsrxmvn_4x4_kernelILj128ELj32E21rocsparse_complex_numIdEllS1_IfES2_S2_EEvT3_20rocsparse_direction_NS_24const_host_device_scalarIT1_EES4_PKS4_PKT2_SD_SA_PKT4_PKT5_S8_PT6_21rocsparse_index_base_b
		.amdhsa_group_segment_fixed_size 2048
		.amdhsa_private_segment_fixed_size 0
		.amdhsa_kernarg_size 120
		.amdhsa_user_sgpr_count 8
		.amdhsa_user_sgpr_private_segment_buffer 1
		.amdhsa_user_sgpr_dispatch_ptr 1
		.amdhsa_user_sgpr_queue_ptr 0
		.amdhsa_user_sgpr_kernarg_segment_ptr 1
		.amdhsa_user_sgpr_dispatch_id 0
		.amdhsa_user_sgpr_flat_scratch_init 0
		.amdhsa_user_sgpr_kernarg_preload_length 0
		.amdhsa_user_sgpr_kernarg_preload_offset 0
		.amdhsa_user_sgpr_private_segment_size 0
		.amdhsa_uses_dynamic_stack 0
		.amdhsa_system_sgpr_private_segment_wavefront_offset 0
		.amdhsa_system_sgpr_workgroup_id_x 1
		.amdhsa_system_sgpr_workgroup_id_y 0
		.amdhsa_system_sgpr_workgroup_id_z 0
		.amdhsa_system_sgpr_workgroup_info 0
		.amdhsa_system_vgpr_workitem_id 2
		.amdhsa_next_free_vgpr 128
		.amdhsa_next_free_sgpr 23
		.amdhsa_accum_offset 128
		.amdhsa_reserve_vcc 1
		.amdhsa_reserve_flat_scratch 0
		.amdhsa_float_round_mode_32 0
		.amdhsa_float_round_mode_16_64 0
		.amdhsa_float_denorm_mode_32 3
		.amdhsa_float_denorm_mode_16_64 3
		.amdhsa_dx10_clamp 1
		.amdhsa_ieee_mode 1
		.amdhsa_fp16_overflow 0
		.amdhsa_tg_split 0
		.amdhsa_exception_fp_ieee_invalid_op 0
		.amdhsa_exception_fp_denorm_src 0
		.amdhsa_exception_fp_ieee_div_zero 0
		.amdhsa_exception_fp_ieee_overflow 0
		.amdhsa_exception_fp_ieee_underflow 0
		.amdhsa_exception_fp_ieee_inexact 0
		.amdhsa_exception_int_div_zero 0
	.end_amdhsa_kernel
	.section	.text._ZN9rocsparseL18bsrxmvn_4x4_kernelILj128ELj32E21rocsparse_complex_numIdEllS1_IfES2_S2_EEvT3_20rocsparse_direction_NS_24const_host_device_scalarIT1_EES4_PKS4_PKT2_SD_SA_PKT4_PKT5_S8_PT6_21rocsparse_index_base_b,"axG",@progbits,_ZN9rocsparseL18bsrxmvn_4x4_kernelILj128ELj32E21rocsparse_complex_numIdEllS1_IfES2_S2_EEvT3_20rocsparse_direction_NS_24const_host_device_scalarIT1_EES4_PKS4_PKT2_SD_SA_PKT4_PKT5_S8_PT6_21rocsparse_index_base_b,comdat
.Lfunc_end178:
	.size	_ZN9rocsparseL18bsrxmvn_4x4_kernelILj128ELj32E21rocsparse_complex_numIdEllS1_IfES2_S2_EEvT3_20rocsparse_direction_NS_24const_host_device_scalarIT1_EES4_PKS4_PKT2_SD_SA_PKT4_PKT5_S8_PT6_21rocsparse_index_base_b, .Lfunc_end178-_ZN9rocsparseL18bsrxmvn_4x4_kernelILj128ELj32E21rocsparse_complex_numIdEllS1_IfES2_S2_EEvT3_20rocsparse_direction_NS_24const_host_device_scalarIT1_EES4_PKS4_PKT2_SD_SA_PKT4_PKT5_S8_PT6_21rocsparse_index_base_b
                                        ; -- End function
	.section	.AMDGPU.csdata,"",@progbits
; Kernel info:
; codeLenInByte = 9228
; NumSgprs: 27
; NumVgprs: 128
; NumAgprs: 0
; TotalNumVgprs: 128
; ScratchSize: 0
; MemoryBound: 0
; FloatMode: 240
; IeeeMode: 1
; LDSByteSize: 2048 bytes/workgroup (compile time only)
; SGPRBlocks: 3
; VGPRBlocks: 15
; NumSGPRsForWavesPerEU: 27
; NumVGPRsForWavesPerEU: 128
; AccumOffset: 128
; Occupancy: 4
; WaveLimiterHint : 1
; COMPUTE_PGM_RSRC2:SCRATCH_EN: 0
; COMPUTE_PGM_RSRC2:USER_SGPR: 8
; COMPUTE_PGM_RSRC2:TRAP_HANDLER: 0
; COMPUTE_PGM_RSRC2:TGID_X_EN: 1
; COMPUTE_PGM_RSRC2:TGID_Y_EN: 0
; COMPUTE_PGM_RSRC2:TGID_Z_EN: 0
; COMPUTE_PGM_RSRC2:TIDIG_COMP_CNT: 2
; COMPUTE_PGM_RSRC3_GFX90A:ACCUM_OFFSET: 31
; COMPUTE_PGM_RSRC3_GFX90A:TG_SPLIT: 0
	.section	.text._ZN9rocsparseL18bsrxmvn_4x4_kernelILj128ELj64E21rocsparse_complex_numIdEllS1_IfES2_S2_EEvT3_20rocsparse_direction_NS_24const_host_device_scalarIT1_EES4_PKS4_PKT2_SD_SA_PKT4_PKT5_S8_PT6_21rocsparse_index_base_b,"axG",@progbits,_ZN9rocsparseL18bsrxmvn_4x4_kernelILj128ELj64E21rocsparse_complex_numIdEllS1_IfES2_S2_EEvT3_20rocsparse_direction_NS_24const_host_device_scalarIT1_EES4_PKS4_PKT2_SD_SA_PKT4_PKT5_S8_PT6_21rocsparse_index_base_b,comdat
	.globl	_ZN9rocsparseL18bsrxmvn_4x4_kernelILj128ELj64E21rocsparse_complex_numIdEllS1_IfES2_S2_EEvT3_20rocsparse_direction_NS_24const_host_device_scalarIT1_EES4_PKS4_PKT2_SD_SA_PKT4_PKT5_S8_PT6_21rocsparse_index_base_b ; -- Begin function _ZN9rocsparseL18bsrxmvn_4x4_kernelILj128ELj64E21rocsparse_complex_numIdEllS1_IfES2_S2_EEvT3_20rocsparse_direction_NS_24const_host_device_scalarIT1_EES4_PKS4_PKT2_SD_SA_PKT4_PKT5_S8_PT6_21rocsparse_index_base_b
	.p2align	8
	.type	_ZN9rocsparseL18bsrxmvn_4x4_kernelILj128ELj64E21rocsparse_complex_numIdEllS1_IfES2_S2_EEvT3_20rocsparse_direction_NS_24const_host_device_scalarIT1_EES4_PKS4_PKT2_SD_SA_PKT4_PKT5_S8_PT6_21rocsparse_index_base_b,@function
_ZN9rocsparseL18bsrxmvn_4x4_kernelILj128ELj64E21rocsparse_complex_numIdEllS1_IfES2_S2_EEvT3_20rocsparse_direction_NS_24const_host_device_scalarIT1_EES4_PKS4_PKT2_SD_SA_PKT4_PKT5_S8_PT6_21rocsparse_index_base_b: ; @_ZN9rocsparseL18bsrxmvn_4x4_kernelILj128ELj64E21rocsparse_complex_numIdEllS1_IfES2_S2_EEvT3_20rocsparse_direction_NS_24const_host_device_scalarIT1_EES4_PKS4_PKT2_SD_SA_PKT4_PKT5_S8_PT6_21rocsparse_index_base_b
; %bb.0:
	s_load_dwordx2 s[20:21], s[6:7], 0x70
	s_load_dwordx4 s[16:19], s[6:7], 0x10
	s_load_dwordx2 s[10:11], s[4:5], 0x4
	s_load_dwordx4 s[12:15], s[6:7], 0x58
	s_mov_b64 s[2:3], src_shared_base
	v_bfe_u32 v3, v0, 10, 10
	s_waitcnt lgkmcnt(0)
	s_bitcmp1_b32 s21, 0
	s_cselect_b64 s[0:1], -1, 0
	s_and_b64 vcc, s[0:1], exec
	s_cselect_b32 s2, s3, s17
	s_lshr_b32 s4, s10, 16
	v_and_b32_e32 v2, 0x3ff, v0
	s_mul_i32 s4, s4, s11
	v_mul_u32_u24_e32 v3, s11, v3
	v_mad_u32_u24 v3, s4, v2, v3
	v_bfe_u32 v0, v0, 20, 10
	v_add_lshl_u32 v0, v3, v0, 3
	v_mov_b32_e32 v1, s16
	v_add_u32_e32 v3, 0x400, v0
	v_pk_mov_b32 v[4:5], s[16:17], s[16:17] op_sel:[0,1]
	v_pk_mov_b32 v[6:7], s[12:13], s[12:13] op_sel:[0,1]
	ds_write2st64_b64 v0, v[6:7], v[4:5] offset1:2
	v_cndmask_b32_e64 v4, v1, v3, s[0:1]
	v_mov_b32_e32 v5, s2
	flat_load_dwordx2 v[20:21], v[4:5]
	s_xor_b64 s[4:5], s[0:1], -1
	v_pk_mov_b32 v[22:23], s[18:19], s[18:19] op_sel:[0,1]
	s_cbranch_vccnz .LBB179_2
; %bb.1:
	v_pk_mov_b32 v[4:5], s[16:17], s[16:17] op_sel:[0,1]
	flat_load_dwordx2 v[22:23], v[4:5] offset:8
.LBB179_2:
	s_and_b64 s[10:11], s[0:1], exec
	s_cselect_b32 s2, s3, s13
	v_mov_b32_e32 v1, s12
	v_cndmask_b32_e64 v0, v1, v0, s[0:1]
	v_mov_b32_e32 v1, s2
	flat_load_dwordx2 v[16:17], v[0:1]
	s_andn2_b64 vcc, exec, s[4:5]
	v_pk_mov_b32 v[18:19], s[14:15], s[14:15] op_sel:[0,1]
	s_cbranch_vccnz .LBB179_4
; %bb.3:
	v_pk_mov_b32 v[0:1], s[12:13], s[12:13] op_sel:[0,1]
	flat_load_dwordx2 v[18:19], v[0:1] offset:8
.LBB179_4:
	s_waitcnt vmcnt(0) lgkmcnt(0)
	v_cmp_eq_f64_e32 vcc, 0, v[20:21]
	v_cmp_eq_f64_e64 s[0:1], 0, v[22:23]
	s_and_b64 s[4:5], vcc, s[0:1]
	s_mov_b64 s[0:1], -1
	s_and_saveexec_b64 s[2:3], s[4:5]
; %bb.5:
	v_cmp_neq_f64_e32 vcc, 1.0, v[16:17]
	v_cmp_neq_f64_e64 s[0:1], 0, v[18:19]
	s_or_b64 s[0:1], vcc, s[0:1]
	s_orn2_b64 s[0:1], s[0:1], exec
; %bb.6:
	s_or_b64 exec, exec, s[2:3]
	s_and_saveexec_b64 s[2:3], s[0:1]
	s_cbranch_execz .LBB179_12
; %bb.7:
	s_load_dwordx2 s[2:3], s[6:7], 0x28
	v_lshrrev_b32_e32 v0, 6, v2
	v_lshl_or_b32 v0, s8, 1, v0
	v_mov_b32_e32 v1, 0
	s_mov_b64 s[0:1], 0
	s_waitcnt lgkmcnt(0)
	s_cmp_lg_u64 s[2:3], 0
	s_cbranch_scc0 .LBB179_13
; %bb.8:
	s_load_dwordx2 s[4:5], s[6:7], 0x20
                                        ; implicit-def: $vgpr24_vgpr25
	s_waitcnt lgkmcnt(0)
	v_cmp_gt_i64_e32 vcc, s[4:5], v[0:1]
	s_and_saveexec_b64 s[4:5], vcc
	s_xor_b64 s[4:5], exec, s[4:5]
                                        ; implicit-def: $sgpr16_sgpr17
	s_cbranch_execz .LBB179_10
; %bb.9:
	v_lshlrev_b64 v[4:5], 3, v[0:1]
	v_mov_b32_e32 v3, s3
	v_add_co_u32_e32 v4, vcc, s2, v4
	v_addc_co_u32_e32 v5, vcc, v3, v5, vcc
	global_load_dwordx2 v[4:5], v[4:5], off
	s_mov_b64 s[0:1], exec
	s_mov_b32 s17, 0
	s_waitcnt vmcnt(0)
	v_subrev_co_u32_e32 v24, vcc, s20, v4
	v_subbrev_co_u32_e32 v25, vcc, 0, v5, vcc
.LBB179_10:
	s_or_b64 exec, exec, s[4:5]
.LBB179_11:
	s_and_b64 exec, exec, s[0:1]
	s_cbranch_execnz .LBB179_17
.LBB179_12:
	s_endpgm
.LBB179_13:
                                        ; implicit-def: $vgpr24_vgpr25
                                        ; implicit-def: $sgpr16_sgpr17
	s_cbranch_execz .LBB179_11
; %bb.14:
	s_load_dwordx2 s[2:3], s[6:7], 0x0
                                        ; implicit-def: $vgpr24_vgpr25
	s_waitcnt lgkmcnt(0)
	v_cmp_gt_i64_e32 vcc, s[2:3], v[0:1]
	s_and_saveexec_b64 s[2:3], vcc
                                        ; implicit-def: $sgpr16_sgpr17
; %bb.15:
	s_mov_b32 s17, 0
	s_or_b64 s[0:1], s[0:1], exec
	v_pk_mov_b32 v[24:25], v[0:1], v[0:1] op_sel:[0,1]
; %bb.16:
	s_or_b64 exec, exec, s[2:3]
	s_and_b64 exec, exec, s[0:1]
	s_cbranch_execz .LBB179_12
.LBB179_17:
	s_load_dwordx8 s[8:15], s[6:7], 0x30
	v_lshlrev_b64 v[0:1], 3, v[24:25]
	v_and_b32_e32 v26, 63, v2
	v_mov_b32_e32 v2, s17
	s_waitcnt lgkmcnt(0)
	v_mov_b32_e32 v3, s9
	v_add_co_u32_e32 v4, vcc, s8, v0
	v_addc_co_u32_e32 v5, vcc, v3, v1, vcc
	v_add_co_u32_e32 v3, vcc, 8, v4
	global_load_dwordx2 v[42:43], v[4:5], off
	v_addc_co_u32_e32 v4, vcc, 0, v5, vcc
	v_mov_b32_e32 v5, s11
	v_add_co_u32_e32 v0, vcc, s10, v0
	s_cmp_eq_u64 s[10:11], 0
	v_addc_co_u32_e32 v1, vcc, v5, v1, vcc
	s_cselect_b64 vcc, -1, 0
	v_cndmask_b32_e32 v1, v1, v4, vcc
	v_cndmask_b32_e32 v0, v0, v3, vcc
	global_load_dwordx2 v[0:1], v[0:1], off
	s_load_dword s0, s[6:7], 0x8
	s_load_dwordx2 s[4:5], s[6:7], 0x50
	v_mov_b32_e32 v3, s15
	s_waitcnt lgkmcnt(0)
	s_cmp_eq_u32 s0, 1
	s_waitcnt vmcnt(1)
	v_subrev_co_u32_e32 v4, vcc, s20, v42
	v_subb_co_u32_e32 v5, vcc, v43, v2, vcc
	v_add_co_u32_e32 v32, vcc, v4, v26
	v_addc_co_u32_e32 v33, vcc, 0, v5, vcc
	s_waitcnt vmcnt(0)
	v_subrev_co_u32_e32 v34, vcc, s20, v0
	v_subb_co_u32_e32 v35, vcc, v1, v2, vcc
	v_lshlrev_b64 v[0:1], 7, v[32:33]
	v_add_co_u32_e32 v36, vcc, s14, v0
	v_addc_co_u32_e32 v37, vcc, v3, v1, vcc
	v_cmp_lt_i64_e64 s[0:1], v[32:33], v[34:35]
	s_cbranch_scc1 .LBB179_29
; %bb.18:
	v_pk_mov_b32 v[40:41], 0, 0
	s_mov_b64 s[8:9], 0
	v_pk_mov_b32 v[54:55], v[40:41], v[40:41] op_sel:[0,1]
	v_pk_mov_b32 v[38:39], v[40:41], v[40:41] op_sel:[0,1]
	;; [unrolled: 1-line block ×7, first 2 shown]
	s_and_saveexec_b64 s[10:11], s[0:1]
	s_cbranch_execz .LBB179_28
; %bb.19:
	v_or_b32_e32 v0, 64, v26
	v_mov_b32_e32 v1, s17
	v_subrev_co_u32_e32 v0, vcc, s20, v0
	v_subb_co_u32_e32 v1, vcc, 0, v1, vcc
	v_add_co_u32_e32 v0, vcc, v0, v42
	v_addc_co_u32_e32 v1, vcc, v1, v43, vcc
	v_cmp_gt_i64_e32 vcc, v[0:1], v[34:35]
	v_cndmask_b32_e32 v1, v35, v1, vcc
	v_cndmask_b32_e32 v0, v34, v0, vcc
	v_mov_b32_e32 v4, s17
	v_sub_co_u32_e32 v5, vcc, s20, v26
	v_not_b32_e32 v3, v42
	v_subbrev_co_u32_e32 v4, vcc, 0, v4, vcc
	v_not_b32_e32 v2, v43
	v_add_co_u32_e32 v3, vcc, v5, v3
	v_addc_co_u32_e32 v2, vcc, v4, v2, vcc
	v_add_co_u32_e32 v8, vcc, v3, v0
	v_lshrrev_b32_e32 v0, 6, v8
	v_add_u32_e32 v0, 1, v0
	v_addc_co_u32_e32 v9, vcc, v2, v1, vcc
	v_and_b32_e32 v0, 3, v0
	v_pk_mov_b32 v[52:53], 0, 0
	v_cmp_ne_u32_e32 vcc, 0, v0
	s_mov_b64 s[18:19], 0
	v_pk_mov_b32 v[28:29], v[52:53], v[52:53] op_sel:[0,1]
	v_pk_mov_b32 v[50:51], v[52:53], v[52:53] op_sel:[0,1]
	;; [unrolled: 1-line block ×9, first 2 shown]
	s_and_saveexec_b64 s[14:15], vcc
	s_cbranch_execz .LBB179_23
; %bb.20:
	v_lshlrev_b64 v[2:3], 3, v[32:33]
	v_mov_b32_e32 v1, s13
	v_add_co_u32_e32 v12, vcc, s12, v2
	v_pk_mov_b32 v[40:41], 0, 0
	v_mov_b32_e32 v11, 0
	v_addc_co_u32_e32 v13, vcc, v1, v3, vcc
	v_lshlrev_b32_e32 v10, 3, v0
	s_movk_i32 s16, 0x2000
	v_mov_b32_e32 v27, s17
	v_mov_b32_e32 v48, s5
	v_pk_mov_b32 v[46:47], v[32:33], v[32:33] op_sel:[0,1]
	v_pk_mov_b32 v[44:45], v[36:37], v[36:37] op_sel:[0,1]
	;; [unrolled: 1-line block ×9, first 2 shown]
.LBB179_21:                             ; =>This Inner Loop Header: Depth=1
	global_load_dwordx2 v[14:15], v[12:13], off
	global_load_dwordx4 v[4:7], v[44:45], off
	global_load_dwordx4 v[0:3], v[44:45], off offset:32
	global_load_dwordx4 v[58:61], v[44:45], off offset:64
	;; [unrolled: 1-line block ×7, first 2 shown]
	v_add_co_u32_e32 v44, vcc, s16, v44
	v_addc_co_u32_e32 v45, vcc, 0, v45, vcc
	v_add_co_u32_e32 v12, vcc, 0x200, v12
	v_addc_co_u32_e32 v13, vcc, 0, v13, vcc
	v_add_co_u32_e64 v46, s[2:3], 64, v46
	v_addc_co_u32_e64 v47, s[2:3], 0, v47, s[2:3]
	v_add_co_u32_e64 v10, s[2:3], -8, v10
	v_addc_co_u32_e64 v11, s[2:3], -1, v11, s[2:3]
	v_cmp_eq_u64_e64 s[2:3], 0, v[10:11]
	s_or_b64 s[18:19], s[2:3], s[18:19]
	s_waitcnt vmcnt(8)
	v_subrev_co_u32_e32 v14, vcc, s20, v14
	v_subb_co_u32_e32 v15, vcc, v15, v27, vcc
	s_waitcnt vmcnt(7)
	v_cvt_f64_f32_e32 v[90:91], v4
	v_cvt_f64_f32_e32 v[92:93], v5
	v_lshlrev_b64 v[4:5], 6, v[14:15]
	v_add_co_u32_e32 v14, vcc, s4, v4
	v_addc_co_u32_e32 v15, vcc, v48, v5, vcc
	v_cvt_f64_f32_e32 v[94:95], v6
	v_cvt_f64_f32_e32 v[96:97], v7
	s_waitcnt vmcnt(3)
	v_cvt_f64_f32_e32 v[104:105], v66
	v_cvt_f64_f32_e32 v[106:107], v67
	;; [unrolled: 1-line block ×4, first 2 shown]
	global_load_dwordx4 v[4:7], v[14:15], off
	global_load_dwordx4 v[66:69], v[14:15], off offset:16
	global_load_dwordx4 v[82:85], v[14:15], off offset:32
	;; [unrolled: 1-line block ×3, first 2 shown]
	v_cvt_f64_f32_e32 v[98:99], v0
	v_cvt_f64_f32_e32 v[0:1], v1
	;; [unrolled: 1-line block ×12, first 2 shown]
	s_waitcnt vmcnt(6)
	v_cvt_f64_f32_e32 v[14:15], v70
	v_cvt_f64_f32_e32 v[70:71], v71
	s_waitcnt vmcnt(5)
	v_cvt_f64_f32_e32 v[120:121], v74
	v_cvt_f64_f32_e32 v[74:75], v75
	s_waitcnt vmcnt(4)
	v_cvt_f64_f32_e32 v[124:125], v78
	v_cvt_f64_f32_e32 v[78:79], v79
	v_cvt_f64_f32_e32 v[114:115], v72
	v_cvt_f64_f32_e32 v[72:73], v73
	;; [unrolled: 1-line block ×6, first 2 shown]
	s_waitcnt vmcnt(3)
	v_fmac_f64_e32 v[54:55], v[90:91], v[4:5]
	v_fmac_f64_e32 v[40:41], v[92:93], v[4:5]
	v_fmac_f64_e32 v[56:57], v[98:99], v[4:5]
	v_fmac_f64_e32 v[38:39], v[0:1], v[4:5]
	v_fmac_f64_e32 v[50:51], v[100:101], v[4:5]
	v_fmac_f64_e32 v[30:31], v[58:59], v[4:5]
	v_fmac_f64_e32 v[52:53], v[102:103], v[4:5]
	v_fmac_f64_e32 v[28:29], v[62:63], v[4:5]
	v_fma_f64 v[4:5], -v[92:93], v[6:7], v[54:55]
	v_fmac_f64_e32 v[40:41], v[90:91], v[6:7]
	v_fma_f64 v[0:1], -v[0:1], v[6:7], v[56:57]
	v_fmac_f64_e32 v[38:39], v[98:99], v[6:7]
	v_fma_f64 v[50:51], -v[58:59], v[6:7], v[50:51]
	v_fmac_f64_e32 v[30:31], v[100:101], v[6:7]
	v_fma_f64 v[52:53], -v[62:63], v[6:7], v[52:53]
	v_fmac_f64_e32 v[28:29], v[102:103], v[6:7]
	s_waitcnt vmcnt(2)
	v_fmac_f64_e32 v[4:5], v[94:95], v[66:67]
	v_fmac_f64_e32 v[40:41], v[96:97], v[66:67]
	v_fmac_f64_e32 v[0:1], v[112:113], v[66:67]
	v_fmac_f64_e32 v[38:39], v[2:3], v[66:67]
	v_fmac_f64_e32 v[50:51], v[116:117], v[66:67]
	v_fmac_f64_e32 v[30:31], v[60:61], v[66:67]
	v_fmac_f64_e32 v[52:53], v[118:119], v[66:67]
	v_fmac_f64_e32 v[28:29], v[64:65], v[66:67]
	v_fma_f64 v[4:5], -v[96:97], v[68:69], v[4:5]
	v_fmac_f64_e32 v[40:41], v[94:95], v[68:69]
	v_fma_f64 v[0:1], -v[2:3], v[68:69], v[0:1]
	v_fmac_f64_e32 v[38:39], v[112:113], v[68:69]
	v_fma_f64 v[2:3], -v[60:61], v[68:69], v[50:51]
	v_fmac_f64_e32 v[30:31], v[116:117], v[68:69]
	v_fma_f64 v[6:7], -v[64:65], v[68:69], v[52:53]
	v_fmac_f64_e32 v[28:29], v[118:119], v[68:69]
	;; [unrolled: 17-line block ×4, first 2 shown]
	s_andn2_b64 exec, exec, s[18:19]
	s_cbranch_execnz .LBB179_21
; %bb.22:
	s_or_b64 exec, exec, s[18:19]
.LBB179_23:
	s_or_b64 exec, exec, s[14:15]
	s_mov_b64 s[2:3], 0xbf
	v_cmp_lt_u64_e32 vcc, s[2:3], v[8:9]
	s_and_saveexec_b64 s[14:15], vcc
	s_cbranch_execz .LBB179_27
; %bb.24:
	v_lshlrev_b64 v[0:1], 3, v[46:47]
	v_mov_b32_e32 v2, s13
	v_add_co_u32_e32 v0, vcc, s12, v0
	v_addc_co_u32_e32 v1, vcc, v1, v2, vcc
	v_add_co_u32_e32 v48, vcc, 0x400, v0
	v_addc_co_u32_e32 v49, vcc, 0, v1, vcc
	s_mov_b64 s[18:19], 0
	v_mov_b32_e32 v27, s17
	v_mov_b32_e32 v60, s5
	s_movk_i32 s16, 0x2000
	s_movk_i32 s21, 0x4000
	;; [unrolled: 1-line block ×3, first 2 shown]
.LBB179_25:                             ; =>This Inner Loop Header: Depth=1
	global_load_dwordx2 v[0:1], v[48:49], off offset:-1024
	global_load_dwordx4 v[62:65], v[44:45], off offset:48
	global_load_dwordx4 v[66:69], v[44:45], off offset:32
	;; [unrolled: 1-line block ×3, first 2 shown]
	global_load_dwordx4 v[74:77], v[44:45], off
	s_waitcnt vmcnt(4)
	v_subrev_co_u32_e32 v0, vcc, s20, v0
	v_subb_co_u32_e32 v1, vcc, v1, v27, vcc
	v_lshlrev_b64 v[0:1], 6, v[0:1]
	v_add_co_u32_e32 v78, vcc, s4, v0
	v_addc_co_u32_e32 v79, vcc, v60, v1, vcc
	global_load_dwordx4 v[0:3], v[78:79], off offset:48
	global_load_dwordx4 v[4:7], v[78:79], off offset:32
	;; [unrolled: 1-line block ×3, first 2 shown]
	global_load_dwordx4 v[12:15], v[78:79], off
	s_waitcnt vmcnt(4)
	v_cvt_f64_f32_e32 v[58:59], v74
	v_cvt_f64_f32_e32 v[74:75], v75
	v_add_co_u32_e32 v80, vcc, s16, v44
	v_addc_co_u32_e32 v81, vcc, 0, v45, vcc
	s_waitcnt vmcnt(0)
	v_fmac_f64_e32 v[54:55], v[58:59], v[12:13]
	v_fmac_f64_e32 v[40:41], v[74:75], v[12:13]
	v_fma_f64 v[54:55], -v[74:75], v[14:15], v[54:55]
	v_fmac_f64_e32 v[40:41], v[58:59], v[14:15]
	v_cvt_f64_f32_e32 v[58:59], v76
	v_cvt_f64_f32_e32 v[74:75], v77
	v_fmac_f64_e32 v[54:55], v[58:59], v[8:9]
	v_fmac_f64_e32 v[40:41], v[74:75], v[8:9]
	v_fma_f64 v[54:55], -v[74:75], v[10:11], v[54:55]
	v_fmac_f64_e32 v[40:41], v[58:59], v[10:11]
	v_cvt_f64_f32_e32 v[58:59], v70
	v_cvt_f64_f32_e32 v[70:71], v71
	;; [unrolled: 6-line block ×3, first 2 shown]
	v_fmac_f64_e32 v[40:41], v[70:71], v[0:1]
	v_fmac_f64_e32 v[54:55], v[58:59], v[0:1]
	;; [unrolled: 1-line block ×3, first 2 shown]
	v_cvt_f64_f32_e32 v[58:59], v66
	v_cvt_f64_f32_e32 v[66:67], v67
	v_fmac_f64_e32 v[56:57], v[58:59], v[12:13]
	v_fmac_f64_e32 v[38:39], v[66:67], v[12:13]
	v_fma_f64 v[56:57], -v[66:67], v[14:15], v[56:57]
	v_fmac_f64_e32 v[38:39], v[58:59], v[14:15]
	v_cvt_f64_f32_e32 v[58:59], v68
	v_cvt_f64_f32_e32 v[66:67], v69
	v_fmac_f64_e32 v[56:57], v[58:59], v[8:9]
	v_fmac_f64_e32 v[38:39], v[66:67], v[8:9]
	v_fma_f64 v[56:57], -v[66:67], v[10:11], v[56:57]
	v_fmac_f64_e32 v[38:39], v[58:59], v[10:11]
	;; [unrolled: 6-line block ×3, first 2 shown]
	v_cvt_f64_f32_e32 v[58:59], v64
	v_cvt_f64_f32_e32 v[62:63], v65
	v_fmac_f64_e32 v[56:57], v[58:59], v[0:1]
	v_fma_f64 v[54:55], -v[70:71], v[2:3], v[54:55]
	v_fma_f64 v[56:57], -v[62:63], v[2:3], v[56:57]
	v_fmac_f64_e32 v[38:39], v[62:63], v[0:1]
	global_load_dwordx4 v[62:65], v[44:45], off offset:112
	global_load_dwordx4 v[66:69], v[44:45], off offset:96
	;; [unrolled: 1-line block ×4, first 2 shown]
	v_fmac_f64_e32 v[38:39], v[58:59], v[2:3]
	s_waitcnt vmcnt(0)
	v_cvt_f64_f32_e32 v[58:59], v74
	v_cvt_f64_f32_e32 v[74:75], v75
	v_fmac_f64_e32 v[50:51], v[58:59], v[12:13]
	v_fmac_f64_e32 v[30:31], v[74:75], v[12:13]
	v_fma_f64 v[50:51], -v[74:75], v[14:15], v[50:51]
	v_fmac_f64_e32 v[30:31], v[58:59], v[14:15]
	v_cvt_f64_f32_e32 v[58:59], v76
	v_cvt_f64_f32_e32 v[74:75], v77
	v_fmac_f64_e32 v[50:51], v[58:59], v[8:9]
	v_fmac_f64_e32 v[30:31], v[74:75], v[8:9]
	v_fma_f64 v[50:51], -v[74:75], v[10:11], v[50:51]
	v_fmac_f64_e32 v[30:31], v[58:59], v[10:11]
	v_cvt_f64_f32_e32 v[58:59], v70
	v_cvt_f64_f32_e32 v[70:71], v71
	v_fmac_f64_e32 v[50:51], v[58:59], v[4:5]
	v_fmac_f64_e32 v[30:31], v[70:71], v[4:5]
	v_fma_f64 v[50:51], -v[70:71], v[6:7], v[50:51]
	v_fmac_f64_e32 v[30:31], v[58:59], v[6:7]
	v_cvt_f64_f32_e32 v[58:59], v72
	v_cvt_f64_f32_e32 v[70:71], v73
	v_fmac_f64_e32 v[50:51], v[58:59], v[0:1]
	v_fmac_f64_e32 v[30:31], v[70:71], v[0:1]
	v_fma_f64 v[78:79], -v[70:71], v[2:3], v[50:51]
	v_fmac_f64_e32 v[30:31], v[58:59], v[2:3]
	v_cvt_f64_f32_e32 v[50:51], v66
	v_cvt_f64_f32_e32 v[58:59], v67
	v_fmac_f64_e32 v[52:53], v[50:51], v[12:13]
	v_fmac_f64_e32 v[28:29], v[58:59], v[12:13]
	v_fma_f64 v[52:53], -v[58:59], v[14:15], v[52:53]
	v_fmac_f64_e32 v[28:29], v[50:51], v[14:15]
	v_cvt_f64_f32_e32 v[12:13], v68
	v_cvt_f64_f32_e32 v[14:15], v69
	v_fmac_f64_e32 v[52:53], v[12:13], v[8:9]
	v_fmac_f64_e32 v[28:29], v[14:15], v[8:9]
	v_fma_f64 v[50:51], -v[14:15], v[10:11], v[52:53]
	v_fmac_f64_e32 v[28:29], v[12:13], v[10:11]
	v_cvt_f64_f32_e32 v[8:9], v62
	v_cvt_f64_f32_e32 v[10:11], v63
	v_fmac_f64_e32 v[50:51], v[8:9], v[4:5]
	v_fmac_f64_e32 v[28:29], v[10:11], v[4:5]
	v_fma_f64 v[12:13], -v[10:11], v[6:7], v[50:51]
	v_fmac_f64_e32 v[28:29], v[8:9], v[6:7]
	v_cvt_f64_f32_e32 v[4:5], v64
	v_cvt_f64_f32_e32 v[6:7], v65
	v_fmac_f64_e32 v[12:13], v[4:5], v[0:1]
	v_fmac_f64_e32 v[28:29], v[6:7], v[0:1]
	global_load_dwordx2 v[0:1], v[48:49], off offset:-512
	v_fma_f64 v[58:59], -v[6:7], v[2:3], v[12:13]
	v_fmac_f64_e32 v[28:29], v[4:5], v[2:3]
	s_waitcnt vmcnt(0)
	v_subrev_co_u32_e32 v50, vcc, s20, v0
	v_subb_co_u32_e32 v51, vcc, v1, v27, vcc
	v_lshlrev_b64 v[50:51], 6, v[50:51]
	v_add_co_u32_e32 v76, vcc, s4, v50
	v_addc_co_u32_e32 v77, vcc, v60, v51, vcc
	global_load_dwordx4 v[0:3], v[80:81], off
	global_load_dwordx4 v[4:7], v[80:81], off offset:48
	global_load_dwordx4 v[8:11], v[80:81], off offset:32
	;; [unrolled: 1-line block ×6, first 2 shown]
	global_load_dwordx4 v[70:73], v[76:77], off
	s_waitcnt vmcnt(7)
	v_cvt_f64_f32_e32 v[74:75], v0
	v_cvt_f64_f32_e32 v[0:1], v1
	s_waitcnt vmcnt(0)
	v_fmac_f64_e32 v[54:55], v[74:75], v[70:71]
	v_fmac_f64_e32 v[40:41], v[0:1], v[70:71]
	v_fma_f64 v[54:55], -v[0:1], v[72:73], v[54:55]
	v_fmac_f64_e32 v[40:41], v[74:75], v[72:73]
	v_cvt_f64_f32_e32 v[0:1], v2
	v_cvt_f64_f32_e32 v[2:3], v3
	v_fmac_f64_e32 v[54:55], v[0:1], v[66:67]
	v_fmac_f64_e32 v[40:41], v[2:3], v[66:67]
	v_fma_f64 v[54:55], -v[2:3], v[68:69], v[54:55]
	v_fmac_f64_e32 v[40:41], v[0:1], v[68:69]
	v_cvt_f64_f32_e32 v[0:1], v12
	v_cvt_f64_f32_e32 v[2:3], v13
	;; [unrolled: 6-line block ×3, first 2 shown]
	v_fmac_f64_e32 v[40:41], v[14:15], v[50:51]
	v_fmac_f64_e32 v[12:13], v[2:3], v[50:51]
	;; [unrolled: 1-line block ×3, first 2 shown]
	v_cvt_f64_f32_e32 v[2:3], v8
	v_cvt_f64_f32_e32 v[8:9], v9
	v_fmac_f64_e32 v[56:57], v[2:3], v[70:71]
	v_fmac_f64_e32 v[38:39], v[8:9], v[70:71]
	v_fma_f64 v[0:1], -v[14:15], v[52:53], v[12:13]
	v_fma_f64 v[12:13], -v[8:9], v[72:73], v[56:57]
	v_fmac_f64_e32 v[38:39], v[2:3], v[72:73]
	v_cvt_f64_f32_e32 v[2:3], v10
	v_cvt_f64_f32_e32 v[8:9], v11
	v_fmac_f64_e32 v[12:13], v[2:3], v[66:67]
	v_fmac_f64_e32 v[38:39], v[8:9], v[66:67]
	v_fma_f64 v[10:11], -v[8:9], v[68:69], v[12:13]
	v_fmac_f64_e32 v[38:39], v[2:3], v[68:69]
	v_cvt_f64_f32_e32 v[2:3], v4
	v_cvt_f64_f32_e32 v[4:5], v5
	v_fmac_f64_e32 v[10:11], v[2:3], v[62:63]
	v_fma_f64 v[8:9], -v[4:5], v[64:65], v[10:11]
	v_fmac_f64_e32 v[38:39], v[4:5], v[62:63]
	v_cvt_f64_f32_e32 v[4:5], v6
	v_fmac_f64_e32 v[38:39], v[2:3], v[64:65]
	v_cvt_f64_f32_e32 v[6:7], v7
	v_fmac_f64_e32 v[8:9], v[4:5], v[50:51]
	v_fma_f64 v[2:3], -v[6:7], v[52:53], v[8:9]
	v_fmac_f64_e32 v[38:39], v[6:7], v[50:51]
	global_load_dwordx4 v[6:9], v[80:81], off offset:112
	global_load_dwordx4 v[10:13], v[80:81], off offset:96
	global_load_dwordx4 v[54:57], v[80:81], off offset:80
	global_load_dwordx4 v[74:77], v[80:81], off offset:64
	v_fmac_f64_e32 v[38:39], v[4:5], v[52:53]
	s_waitcnt vmcnt(0)
	v_cvt_f64_f32_e32 v[4:5], v74
	v_cvt_f64_f32_e32 v[14:15], v75
	v_fmac_f64_e32 v[78:79], v[4:5], v[70:71]
	v_fmac_f64_e32 v[30:31], v[14:15], v[70:71]
	v_fma_f64 v[74:75], -v[14:15], v[72:73], v[78:79]
	v_fmac_f64_e32 v[30:31], v[4:5], v[72:73]
	v_cvt_f64_f32_e32 v[4:5], v76
	v_cvt_f64_f32_e32 v[14:15], v77
	v_fmac_f64_e32 v[74:75], v[4:5], v[66:67]
	v_fmac_f64_e32 v[30:31], v[14:15], v[66:67]
	v_fma_f64 v[74:75], -v[14:15], v[68:69], v[74:75]
	v_fmac_f64_e32 v[30:31], v[4:5], v[68:69]
	v_cvt_f64_f32_e32 v[4:5], v54
	v_cvt_f64_f32_e32 v[14:15], v55
	v_fmac_f64_e32 v[74:75], v[4:5], v[62:63]
	v_fmac_f64_e32 v[30:31], v[14:15], v[62:63]
	v_fma_f64 v[54:55], -v[14:15], v[64:65], v[74:75]
	v_fmac_f64_e32 v[30:31], v[4:5], v[64:65]
	v_cvt_f64_f32_e32 v[14:15], v56
	v_cvt_f64_f32_e32 v[56:57], v57
	v_fmac_f64_e32 v[30:31], v[56:57], v[50:51]
	v_fmac_f64_e32 v[54:55], v[14:15], v[50:51]
	;; [unrolled: 1-line block ×3, first 2 shown]
	v_cvt_f64_f32_e32 v[14:15], v10
	v_cvt_f64_f32_e32 v[10:11], v11
	v_fmac_f64_e32 v[58:59], v[14:15], v[70:71]
	v_fmac_f64_e32 v[28:29], v[10:11], v[70:71]
	v_fma_f64 v[4:5], -v[56:57], v[52:53], v[54:55]
	v_fma_f64 v[54:55], -v[10:11], v[72:73], v[58:59]
	v_fmac_f64_e32 v[28:29], v[14:15], v[72:73]
	v_cvt_f64_f32_e32 v[10:11], v12
	v_cvt_f64_f32_e32 v[12:13], v13
	v_fmac_f64_e32 v[54:55], v[10:11], v[66:67]
	v_fmac_f64_e32 v[28:29], v[12:13], v[66:67]
	v_fma_f64 v[14:15], -v[12:13], v[68:69], v[54:55]
	v_fmac_f64_e32 v[28:29], v[10:11], v[68:69]
	v_cvt_f64_f32_e32 v[10:11], v6
	v_cvt_f64_f32_e32 v[6:7], v7
	v_fmac_f64_e32 v[14:15], v[10:11], v[62:63]
	v_fmac_f64_e32 v[28:29], v[6:7], v[62:63]
	v_fma_f64 v[12:13], -v[6:7], v[64:65], v[14:15]
	v_fmac_f64_e32 v[28:29], v[10:11], v[64:65]
	v_cvt_f64_f32_e32 v[10:11], v8
	v_cvt_f64_f32_e32 v[8:9], v9
	v_fmac_f64_e32 v[12:13], v[10:11], v[50:51]
	v_fma_f64 v[6:7], -v[8:9], v[52:53], v[12:13]
	v_fmac_f64_e32 v[28:29], v[8:9], v[50:51]
	global_load_dwordx2 v[8:9], v[48:49], off
	v_fmac_f64_e32 v[28:29], v[10:11], v[52:53]
	s_waitcnt vmcnt(0)
	v_subrev_co_u32_e32 v58, vcc, s20, v8
	v_subb_co_u32_e32 v59, vcc, v9, v27, vcc
	v_add_co_u32_e32 v78, vcc, s21, v44
	v_addc_co_u32_e32 v79, vcc, 0, v45, vcc
	v_lshlrev_b64 v[58:59], 6, v[58:59]
	v_add_co_u32_e32 v58, vcc, s4, v58
	v_addc_co_u32_e32 v59, vcc, v60, v59, vcc
	global_load_dwordx4 v[8:11], v[78:79], off
	global_load_dwordx4 v[12:15], v[78:79], off offset:48
	global_load_dwordx4 v[50:53], v[78:79], off offset:32
	;; [unrolled: 1-line block ×6, first 2 shown]
	global_load_dwordx4 v[74:77], v[58:59], off
	s_waitcnt vmcnt(7)
	v_cvt_f64_f32_e32 v[80:81], v8
	v_cvt_f64_f32_e32 v[8:9], v9
	s_waitcnt vmcnt(0)
	v_fmac_f64_e32 v[0:1], v[80:81], v[74:75]
	v_fmac_f64_e32 v[40:41], v[8:9], v[74:75]
	v_fma_f64 v[0:1], -v[8:9], v[76:77], v[0:1]
	v_fmac_f64_e32 v[40:41], v[80:81], v[76:77]
	v_cvt_f64_f32_e32 v[8:9], v10
	v_cvt_f64_f32_e32 v[10:11], v11
	v_fmac_f64_e32 v[0:1], v[8:9], v[70:71]
	v_fmac_f64_e32 v[40:41], v[10:11], v[70:71]
	v_fma_f64 v[0:1], -v[10:11], v[72:73], v[0:1]
	v_fmac_f64_e32 v[40:41], v[8:9], v[72:73]
	v_cvt_f64_f32_e32 v[8:9], v54
	v_cvt_f64_f32_e32 v[10:11], v55
	v_fmac_f64_e32 v[0:1], v[8:9], v[66:67]
	v_fmac_f64_e32 v[40:41], v[10:11], v[66:67]
	v_fma_f64 v[0:1], -v[10:11], v[68:69], v[0:1]
	v_fmac_f64_e32 v[40:41], v[8:9], v[68:69]
	v_cvt_f64_f32_e32 v[8:9], v56
	v_cvt_f64_f32_e32 v[10:11], v57
	v_fmac_f64_e32 v[0:1], v[8:9], v[62:63]
	v_fmac_f64_e32 v[40:41], v[10:11], v[62:63]
	v_fma_f64 v[54:55], -v[10:11], v[64:65], v[0:1]
	v_fmac_f64_e32 v[40:41], v[8:9], v[64:65]
	v_cvt_f64_f32_e32 v[0:1], v50
	v_cvt_f64_f32_e32 v[8:9], v51
	v_fmac_f64_e32 v[2:3], v[0:1], v[74:75]
	v_fmac_f64_e32 v[38:39], v[8:9], v[74:75]
	v_fma_f64 v[2:3], -v[8:9], v[76:77], v[2:3]
	v_fmac_f64_e32 v[38:39], v[0:1], v[76:77]
	v_cvt_f64_f32_e32 v[0:1], v52
	v_cvt_f64_f32_e32 v[8:9], v53
	v_fmac_f64_e32 v[2:3], v[0:1], v[70:71]
	v_fmac_f64_e32 v[38:39], v[8:9], v[70:71]
	v_fma_f64 v[2:3], -v[8:9], v[72:73], v[2:3]
	v_fmac_f64_e32 v[38:39], v[0:1], v[72:73]
	v_cvt_f64_f32_e32 v[0:1], v12
	v_cvt_f64_f32_e32 v[8:9], v13
	v_fmac_f64_e32 v[2:3], v[0:1], v[66:67]
	v_fmac_f64_e32 v[38:39], v[8:9], v[66:67]
	v_fma_f64 v[2:3], -v[8:9], v[68:69], v[2:3]
	v_fmac_f64_e32 v[38:39], v[0:1], v[68:69]
	v_cvt_f64_f32_e32 v[0:1], v14
	v_cvt_f64_f32_e32 v[8:9], v15
	v_fmac_f64_e32 v[2:3], v[0:1], v[62:63]
	v_fmac_f64_e32 v[38:39], v[8:9], v[62:63]
	v_fma_f64 v[56:57], -v[8:9], v[64:65], v[2:3]
	v_fmac_f64_e32 v[38:39], v[0:1], v[64:65]
	global_load_dwordx4 v[0:3], v[78:79], off offset:112
	global_load_dwordx4 v[8:11], v[78:79], off offset:96
	;; [unrolled: 1-line block ×4, first 2 shown]
	s_waitcnt vmcnt(0)
	v_cvt_f64_f32_e32 v[58:59], v50
	v_cvt_f64_f32_e32 v[50:51], v51
	v_fmac_f64_e32 v[4:5], v[58:59], v[74:75]
	v_fmac_f64_e32 v[30:31], v[50:51], v[74:75]
	v_fma_f64 v[4:5], -v[50:51], v[76:77], v[4:5]
	v_fmac_f64_e32 v[30:31], v[58:59], v[76:77]
	v_cvt_f64_f32_e32 v[50:51], v52
	v_cvt_f64_f32_e32 v[52:53], v53
	v_fmac_f64_e32 v[4:5], v[50:51], v[70:71]
	v_fmac_f64_e32 v[30:31], v[52:53], v[70:71]
	v_fma_f64 v[4:5], -v[52:53], v[72:73], v[4:5]
	v_fmac_f64_e32 v[30:31], v[50:51], v[72:73]
	v_cvt_f64_f32_e32 v[50:51], v12
	v_cvt_f64_f32_e32 v[12:13], v13
	v_fmac_f64_e32 v[4:5], v[50:51], v[66:67]
	v_fma_f64 v[4:5], -v[12:13], v[68:69], v[4:5]
	v_fmac_f64_e32 v[30:31], v[12:13], v[66:67]
	v_cvt_f64_f32_e32 v[12:13], v14
	v_cvt_f64_f32_e32 v[14:15], v15
	v_fmac_f64_e32 v[4:5], v[12:13], v[62:63]
	v_fmac_f64_e32 v[30:31], v[50:51], v[68:69]
	v_fma_f64 v[50:51], -v[14:15], v[64:65], v[4:5]
	v_cvt_f64_f32_e32 v[4:5], v8
	v_cvt_f64_f32_e32 v[8:9], v9
	v_fmac_f64_e32 v[6:7], v[4:5], v[74:75]
	v_fmac_f64_e32 v[28:29], v[8:9], v[74:75]
	v_fma_f64 v[6:7], -v[8:9], v[76:77], v[6:7]
	v_fmac_f64_e32 v[28:29], v[4:5], v[76:77]
	v_cvt_f64_f32_e32 v[4:5], v10
	v_cvt_f64_f32_e32 v[8:9], v11
	v_fmac_f64_e32 v[6:7], v[4:5], v[70:71]
	v_fmac_f64_e32 v[28:29], v[8:9], v[70:71]
	v_fma_f64 v[6:7], -v[8:9], v[72:73], v[6:7]
	v_fmac_f64_e32 v[28:29], v[4:5], v[72:73]
	;; [unrolled: 6-line block ×3, first 2 shown]
	v_cvt_f64_f32_e32 v[0:1], v2
	v_cvt_f64_f32_e32 v[2:3], v3
	v_fmac_f64_e32 v[28:29], v[2:3], v[62:63]
	v_fmac_f64_e32 v[6:7], v[0:1], v[62:63]
	;; [unrolled: 1-line block ×3, first 2 shown]
	global_load_dwordx2 v[0:1], v[48:49], off offset:512
	v_fmac_f64_e32 v[30:31], v[14:15], v[62:63]
	v_fmac_f64_e32 v[30:31], v[12:13], v[64:65]
	v_fma_f64 v[52:53], -v[2:3], v[64:65], v[6:7]
	s_waitcnt vmcnt(0)
	v_subrev_co_u32_e32 v0, vcc, s20, v0
	v_subb_co_u32_e32 v1, vcc, v1, v27, vcc
	v_add_co_u32_e32 v58, vcc, s22, v44
	v_addc_co_u32_e32 v59, vcc, 0, v45, vcc
	v_lshlrev_b64 v[0:1], 6, v[0:1]
	v_add_co_u32_e32 v80, vcc, s4, v0
	v_addc_co_u32_e32 v81, vcc, v60, v1, vcc
	global_load_dwordx4 v[62:65], v[58:59], off
	global_load_dwordx4 v[66:69], v[58:59], off offset:48
	global_load_dwordx4 v[70:73], v[58:59], off offset:32
	;; [unrolled: 1-line block ×6, first 2 shown]
	global_load_dwordx4 v[12:15], v[80:81], off
	v_add_co_u32_e32 v46, vcc, 0x100, v46
	v_addc_co_u32_e32 v47, vcc, 0, v47, vcc
	v_add_co_u32_e32 v48, vcc, 0x800, v48
	v_addc_co_u32_e32 v49, vcc, 0, v49, vcc
	v_cmp_ge_i64_e64 s[2:3], v[46:47], v[34:35]
	v_add_co_u32_e32 v44, vcc, 0x8000, v44
	v_addc_co_u32_e32 v45, vcc, 0, v45, vcc
	s_or_b64 s[18:19], s[2:3], s[18:19]
	s_waitcnt vmcnt(7)
	v_cvt_f64_f32_e32 v[78:79], v62
	v_cvt_f64_f32_e32 v[62:63], v63
	s_waitcnt vmcnt(0)
	v_fmac_f64_e32 v[54:55], v[78:79], v[12:13]
	v_fmac_f64_e32 v[40:41], v[62:63], v[12:13]
	v_fma_f64 v[54:55], -v[62:63], v[14:15], v[54:55]
	v_fmac_f64_e32 v[40:41], v[78:79], v[14:15]
	v_cvt_f64_f32_e32 v[62:63], v64
	v_cvt_f64_f32_e32 v[64:65], v65
	v_fmac_f64_e32 v[54:55], v[62:63], v[8:9]
	v_fmac_f64_e32 v[40:41], v[64:65], v[8:9]
	v_fma_f64 v[54:55], -v[64:65], v[10:11], v[54:55]
	v_fmac_f64_e32 v[40:41], v[62:63], v[10:11]
	v_cvt_f64_f32_e32 v[62:63], v74
	v_cvt_f64_f32_e32 v[64:65], v75
	v_fmac_f64_e32 v[54:55], v[62:63], v[4:5]
	v_fmac_f64_e32 v[40:41], v[64:65], v[4:5]
	v_fma_f64 v[54:55], -v[64:65], v[6:7], v[54:55]
	v_fmac_f64_e32 v[40:41], v[62:63], v[6:7]
	v_cvt_f64_f32_e32 v[62:63], v76
	v_cvt_f64_f32_e32 v[64:65], v77
	v_fmac_f64_e32 v[54:55], v[62:63], v[0:1]
	v_fmac_f64_e32 v[40:41], v[64:65], v[0:1]
	v_fma_f64 v[54:55], -v[64:65], v[2:3], v[54:55]
	v_fmac_f64_e32 v[40:41], v[62:63], v[2:3]
	v_cvt_f64_f32_e32 v[62:63], v70
	v_cvt_f64_f32_e32 v[64:65], v71
	v_fmac_f64_e32 v[56:57], v[62:63], v[12:13]
	v_fmac_f64_e32 v[38:39], v[64:65], v[12:13]
	v_fma_f64 v[56:57], -v[64:65], v[14:15], v[56:57]
	v_fmac_f64_e32 v[38:39], v[62:63], v[14:15]
	v_cvt_f64_f32_e32 v[62:63], v72
	v_cvt_f64_f32_e32 v[64:65], v73
	v_fmac_f64_e32 v[56:57], v[62:63], v[8:9]
	v_fmac_f64_e32 v[38:39], v[64:65], v[8:9]
	v_fma_f64 v[56:57], -v[64:65], v[10:11], v[56:57]
	v_fmac_f64_e32 v[38:39], v[62:63], v[10:11]
	v_cvt_f64_f32_e32 v[62:63], v66
	v_cvt_f64_f32_e32 v[64:65], v67
	v_fmac_f64_e32 v[56:57], v[62:63], v[4:5]
	v_fmac_f64_e32 v[38:39], v[64:65], v[4:5]
	v_fma_f64 v[56:57], -v[64:65], v[6:7], v[56:57]
	v_fmac_f64_e32 v[38:39], v[62:63], v[6:7]
	v_cvt_f64_f32_e32 v[62:63], v68
	v_cvt_f64_f32_e32 v[64:65], v69
	v_fmac_f64_e32 v[56:57], v[62:63], v[0:1]
	v_fmac_f64_e32 v[38:39], v[64:65], v[0:1]
	v_fma_f64 v[56:57], -v[64:65], v[2:3], v[56:57]
	v_fmac_f64_e32 v[38:39], v[62:63], v[2:3]
	global_load_dwordx4 v[62:65], v[58:59], off offset:112
	global_load_dwordx4 v[66:69], v[58:59], off offset:96
	;; [unrolled: 1-line block ×4, first 2 shown]
	s_waitcnt vmcnt(0)
	v_cvt_f64_f32_e32 v[58:59], v74
	v_cvt_f64_f32_e32 v[74:75], v75
	v_fmac_f64_e32 v[50:51], v[58:59], v[12:13]
	v_fmac_f64_e32 v[30:31], v[74:75], v[12:13]
	v_fma_f64 v[50:51], -v[74:75], v[14:15], v[50:51]
	v_fmac_f64_e32 v[30:31], v[58:59], v[14:15]
	v_cvt_f64_f32_e32 v[58:59], v76
	v_cvt_f64_f32_e32 v[74:75], v77
	v_fmac_f64_e32 v[50:51], v[58:59], v[8:9]
	v_fmac_f64_e32 v[30:31], v[74:75], v[8:9]
	v_fma_f64 v[50:51], -v[74:75], v[10:11], v[50:51]
	v_fmac_f64_e32 v[30:31], v[58:59], v[10:11]
	;; [unrolled: 6-line block ×3, first 2 shown]
	v_cvt_f64_f32_e32 v[70:71], v73
	v_cvt_f64_f32_e32 v[58:59], v72
	v_fmac_f64_e32 v[30:31], v[70:71], v[0:1]
	v_fmac_f64_e32 v[50:51], v[58:59], v[0:1]
	;; [unrolled: 1-line block ×3, first 2 shown]
	v_cvt_f64_f32_e32 v[58:59], v66
	v_cvt_f64_f32_e32 v[66:67], v67
	v_fmac_f64_e32 v[52:53], v[58:59], v[12:13]
	v_fmac_f64_e32 v[28:29], v[66:67], v[12:13]
	v_fma_f64 v[52:53], -v[66:67], v[14:15], v[52:53]
	v_fmac_f64_e32 v[28:29], v[58:59], v[14:15]
	v_cvt_f64_f32_e32 v[12:13], v68
	v_cvt_f64_f32_e32 v[14:15], v69
	v_fmac_f64_e32 v[52:53], v[12:13], v[8:9]
	v_fmac_f64_e32 v[28:29], v[14:15], v[8:9]
	v_fma_f64 v[52:53], -v[14:15], v[10:11], v[52:53]
	v_fmac_f64_e32 v[28:29], v[12:13], v[10:11]
	v_cvt_f64_f32_e32 v[8:9], v62
	v_cvt_f64_f32_e32 v[10:11], v63
	v_fmac_f64_e32 v[52:53], v[8:9], v[4:5]
	v_fmac_f64_e32 v[28:29], v[10:11], v[4:5]
	v_fma_f64 v[12:13], -v[10:11], v[6:7], v[52:53]
	v_fmac_f64_e32 v[28:29], v[8:9], v[6:7]
	v_cvt_f64_f32_e32 v[4:5], v64
	v_cvt_f64_f32_e32 v[6:7], v65
	v_fmac_f64_e32 v[12:13], v[4:5], v[0:1]
	v_fmac_f64_e32 v[28:29], v[6:7], v[0:1]
	v_fma_f64 v[50:51], -v[70:71], v[2:3], v[50:51]
	v_fma_f64 v[52:53], -v[6:7], v[2:3], v[12:13]
	v_fmac_f64_e32 v[28:29], v[4:5], v[2:3]
	s_andn2_b64 exec, exec, s[18:19]
	s_cbranch_execnz .LBB179_25
; %bb.26:
	s_or_b64 exec, exec, s[18:19]
.LBB179_27:
	s_or_b64 exec, exec, s[14:15]
.LBB179_28:
	s_or_b64 exec, exec, s[10:11]
	s_andn2_b64 vcc, exec, s[8:9]
	s_cbranch_vccz .LBB179_30
	s_branch .LBB179_41
.LBB179_29:
                                        ; implicit-def: $vgpr40_vgpr41
                                        ; implicit-def: $vgpr54_vgpr55
                                        ; implicit-def: $vgpr38_vgpr39
                                        ; implicit-def: $vgpr56_vgpr57
                                        ; implicit-def: $vgpr30_vgpr31
                                        ; implicit-def: $vgpr50_vgpr51
                                        ; implicit-def: $vgpr28_vgpr29
                                        ; implicit-def: $vgpr52_vgpr53
.LBB179_30:
	v_pk_mov_b32 v[40:41], 0, 0
	v_pk_mov_b32 v[54:55], v[40:41], v[40:41] op_sel:[0,1]
	v_pk_mov_b32 v[38:39], v[40:41], v[40:41] op_sel:[0,1]
	;; [unrolled: 1-line block ×7, first 2 shown]
	s_and_saveexec_b64 s[2:3], s[0:1]
	s_cbranch_execz .LBB179_40
; %bb.31:
	v_or_b32_e32 v0, 64, v26
	v_mov_b32_e32 v1, s17
	v_subrev_co_u32_e32 v0, vcc, s20, v0
	v_subb_co_u32_e32 v1, vcc, 0, v1, vcc
	v_add_co_u32_e32 v0, vcc, v0, v42
	v_addc_co_u32_e32 v1, vcc, v1, v43, vcc
	v_cmp_gt_i64_e32 vcc, v[0:1], v[34:35]
	v_cndmask_b32_e32 v1, v35, v1, vcc
	v_cndmask_b32_e32 v0, v34, v0, vcc
	v_mov_b32_e32 v4, s17
	v_sub_co_u32_e32 v5, vcc, s20, v26
	v_not_b32_e32 v3, v42
	v_subbrev_co_u32_e32 v4, vcc, 0, v4, vcc
	v_not_b32_e32 v2, v43
	v_add_co_u32_e32 v3, vcc, v5, v3
	v_addc_co_u32_e32 v2, vcc, v4, v2, vcc
	v_add_co_u32_e32 v42, vcc, v3, v0
	v_lshrrev_b32_e32 v0, 6, v42
	v_add_u32_e32 v0, 1, v0
	v_addc_co_u32_e32 v43, vcc, v2, v1, vcc
	v_and_b32_e32 v0, 3, v0
	v_pk_mov_b32 v[52:53], 0, 0
	v_cmp_ne_u32_e32 vcc, 0, v0
	s_mov_b64 s[10:11], 0
	v_pk_mov_b32 v[28:29], v[52:53], v[52:53] op_sel:[0,1]
	v_pk_mov_b32 v[50:51], v[52:53], v[52:53] op_sel:[0,1]
	;; [unrolled: 1-line block ×7, first 2 shown]
	s_and_saveexec_b64 s[8:9], vcc
	s_cbranch_execz .LBB179_35
; %bb.32:
	v_lshlrev_b64 v[2:3], 3, v[32:33]
	v_mov_b32_e32 v1, s13
	v_add_co_u32_e32 v46, vcc, s12, v2
	v_pk_mov_b32 v[40:41], 0, 0
	v_mov_b32_e32 v45, 0
	v_addc_co_u32_e32 v47, vcc, v1, v3, vcc
	v_lshlrev_b32_e32 v44, 3, v0
	s_movk_i32 s14, 0x2000
	v_mov_b32_e32 v27, s17
	v_mov_b32_e32 v58, s5
	v_pk_mov_b32 v[54:55], v[40:41], v[40:41] op_sel:[0,1]
	v_pk_mov_b32 v[38:39], v[40:41], v[40:41] op_sel:[0,1]
	;; [unrolled: 1-line block ×7, first 2 shown]
.LBB179_33:                             ; =>This Inner Loop Header: Depth=1
	global_load_dwordx2 v[48:49], v[46:47], off
	global_load_dwordx4 v[12:15], v[36:37], off
	global_load_dwordx4 v[8:11], v[36:37], off offset:16
	global_load_dwordx4 v[4:7], v[36:37], off offset:32
	global_load_dwordx4 v[0:3], v[36:37], off offset:48
	global_load_dwordx4 v[60:63], v[36:37], off offset:64
	global_load_dwordx4 v[64:67], v[36:37], off offset:80
	global_load_dwordx4 v[68:71], v[36:37], off offset:96
	global_load_dwordx4 v[72:75], v[36:37], off offset:112
	v_add_co_u32_e32 v36, vcc, s14, v36
	v_addc_co_u32_e32 v37, vcc, 0, v37, vcc
	v_add_co_u32_e32 v46, vcc, 0x200, v46
	v_addc_co_u32_e32 v47, vcc, 0, v47, vcc
	v_add_co_u32_e64 v32, s[0:1], 64, v32
	v_addc_co_u32_e64 v33, s[0:1], 0, v33, s[0:1]
	v_add_co_u32_e64 v44, s[0:1], -8, v44
	v_addc_co_u32_e64 v45, s[0:1], -1, v45, s[0:1]
	v_cmp_eq_u64_e64 s[0:1], 0, v[44:45]
	s_or_b64 s[10:11], s[0:1], s[10:11]
	s_waitcnt vmcnt(8)
	v_subrev_co_u32_e32 v48, vcc, s20, v48
	v_subb_co_u32_e32 v49, vcc, v49, v27, vcc
	s_waitcnt vmcnt(5)
	v_cvt_f64_f32_e32 v[96:97], v4
	v_cvt_f64_f32_e32 v[98:99], v5
	v_lshlrev_b64 v[4:5], 6, v[48:49]
	v_add_co_u32_e32 v48, vcc, s4, v4
	v_addc_co_u32_e32 v49, vcc, v58, v5, vcc
	v_cvt_f64_f32_e32 v[80:81], v12
	v_cvt_f64_f32_e32 v[82:83], v13
	;; [unrolled: 1-line block ×10, first 2 shown]
	global_load_dwordx4 v[4:7], v[48:49], off
	global_load_dwordx4 v[8:11], v[48:49], off offset:16
	global_load_dwordx4 v[12:15], v[48:49], off offset:32
	;; [unrolled: 1-line block ×3, first 2 shown]
	s_waitcnt vmcnt(8)
	v_cvt_f64_f32_e32 v[104:105], v0
	v_cvt_f64_f32_e32 v[0:1], v1
	v_cvt_f64_f32_e32 v[106:107], v2
	v_cvt_f64_f32_e32 v[2:3], v3
	s_waitcnt vmcnt(7)
	v_cvt_f64_f32_e32 v[48:49], v60
	v_cvt_f64_f32_e32 v[60:61], v61
	v_cvt_f64_f32_e32 v[108:109], v62
	v_cvt_f64_f32_e32 v[62:63], v63
	;; [unrolled: 5-line block ×5, first 2 shown]
	s_waitcnt vmcnt(3)
	v_fmac_f64_e32 v[54:55], v[80:81], v[4:5]
	v_fmac_f64_e32 v[40:41], v[82:83], v[4:5]
	v_fmac_f64_e32 v[56:57], v[84:85], v[4:5]
	v_fmac_f64_e32 v[38:39], v[86:87], v[4:5]
	v_fmac_f64_e32 v[50:51], v[88:89], v[4:5]
	v_fmac_f64_e32 v[30:31], v[90:91], v[4:5]
	v_fmac_f64_e32 v[52:53], v[92:93], v[4:5]
	v_fmac_f64_e32 v[28:29], v[94:95], v[4:5]
	v_fma_f64 v[4:5], -v[82:83], v[6:7], v[54:55]
	v_fmac_f64_e32 v[40:41], v[80:81], v[6:7]
	v_fma_f64 v[54:55], -v[86:87], v[6:7], v[56:57]
	v_fmac_f64_e32 v[38:39], v[84:85], v[6:7]
	v_fma_f64 v[50:51], -v[90:91], v[6:7], v[50:51]
	v_fmac_f64_e32 v[30:31], v[88:89], v[6:7]
	v_fma_f64 v[52:53], -v[94:95], v[6:7], v[52:53]
	v_fmac_f64_e32 v[28:29], v[92:93], v[6:7]
	s_waitcnt vmcnt(2)
	v_fmac_f64_e32 v[4:5], v[96:97], v[8:9]
	v_fmac_f64_e32 v[40:41], v[98:99], v[8:9]
	v_fmac_f64_e32 v[54:55], v[100:101], v[8:9]
	v_fmac_f64_e32 v[38:39], v[102:103], v[8:9]
	v_fmac_f64_e32 v[50:51], v[104:105], v[8:9]
	v_fmac_f64_e32 v[30:31], v[0:1], v[8:9]
	v_fmac_f64_e32 v[52:53], v[106:107], v[8:9]
	v_fmac_f64_e32 v[28:29], v[2:3], v[8:9]
	v_fma_f64 v[4:5], -v[98:99], v[10:11], v[4:5]
	v_fmac_f64_e32 v[40:41], v[96:97], v[10:11]
	v_fma_f64 v[6:7], -v[102:103], v[10:11], v[54:55]
	v_fmac_f64_e32 v[38:39], v[100:101], v[10:11]
	v_fma_f64 v[0:1], -v[0:1], v[10:11], v[50:51]
	v_fmac_f64_e32 v[30:31], v[104:105], v[10:11]
	v_fma_f64 v[2:3], -v[2:3], v[10:11], v[52:53]
	v_fmac_f64_e32 v[28:29], v[106:107], v[10:11]
	;; [unrolled: 17-line block ×4, first 2 shown]
	s_andn2_b64 exec, exec, s[10:11]
	s_cbranch_execnz .LBB179_33
; %bb.34:
	s_or_b64 exec, exec, s[10:11]
.LBB179_35:
	s_or_b64 exec, exec, s[8:9]
	s_mov_b64 s[0:1], 0xbf
	v_cmp_lt_u64_e32 vcc, s[0:1], v[42:43]
	s_and_saveexec_b64 s[8:9], vcc
	s_cbranch_execz .LBB179_39
; %bb.36:
	v_lshlrev_b64 v[0:1], 3, v[32:33]
	v_mov_b32_e32 v2, s13
	v_add_co_u32_e32 v0, vcc, s12, v0
	v_addc_co_u32_e32 v1, vcc, v1, v2, vcc
	v_add_co_u32_e32 v8, vcc, 0x400, v0
	v_addc_co_u32_e32 v9, vcc, 0, v1, vcc
	s_mov_b64 s[10:11], 0
	v_mov_b32_e32 v27, s17
	v_mov_b32_e32 v46, s5
	s_movk_i32 s5, 0x2000
	s_movk_i32 s12, 0x4000
	;; [unrolled: 1-line block ×3, first 2 shown]
.LBB179_37:                             ; =>This Inner Loop Header: Depth=1
	global_load_dwordx2 v[0:1], v[8:9], off offset:-1024
	global_load_dwordx4 v[10:13], v[36:37], off offset:48
	global_load_dwordx4 v[42:45], v[36:37], off offset:32
	;; [unrolled: 1-line block ×3, first 2 shown]
	global_load_dwordx4 v[62:65], v[36:37], off
	s_waitcnt vmcnt(4)
	v_subrev_co_u32_e32 v0, vcc, s20, v0
	v_subb_co_u32_e32 v1, vcc, v1, v27, vcc
	v_lshlrev_b64 v[0:1], 6, v[0:1]
	s_waitcnt vmcnt(0)
	v_cvt_f64_f32_e32 v[14:15], v62
	v_add_co_u32_e32 v62, vcc, s4, v0
	v_cvt_f64_f32_e32 v[48:49], v63
	v_addc_co_u32_e32 v63, vcc, v46, v1, vcc
	global_load_dwordx4 v[0:3], v[62:63], off offset:48
	global_load_dwordx4 v[4:7], v[62:63], off offset:32
	;; [unrolled: 1-line block ×3, first 2 shown]
	global_load_dwordx4 v[70:73], v[62:63], off
	s_waitcnt vmcnt(0)
	v_fmac_f64_e32 v[54:55], v[14:15], v[70:71]
	v_fma_f64 v[54:55], -v[48:49], v[72:73], v[54:55]
	v_fmac_f64_e32 v[40:41], v[48:49], v[70:71]
	v_cvt_f64_f32_e32 v[48:49], v65
	v_fmac_f64_e32 v[40:41], v[14:15], v[72:73]
	v_cvt_f64_f32_e32 v[14:15], v64
	v_fmac_f64_e32 v[38:39], v[48:49], v[70:71]
	v_fmac_f64_e32 v[56:57], v[14:15], v[70:71]
	;; [unrolled: 1-line block ×3, first 2 shown]
	v_cvt_f64_f32_e32 v[14:15], v58
	v_fma_f64 v[56:57], -v[48:49], v[72:73], v[56:57]
	v_cvt_f64_f32_e32 v[48:49], v59
	v_fmac_f64_e32 v[50:51], v[14:15], v[70:71]
	v_fma_f64 v[50:51], -v[48:49], v[72:73], v[50:51]
	v_fmac_f64_e32 v[30:31], v[48:49], v[70:71]
	v_cvt_f64_f32_e32 v[48:49], v61
	v_fmac_f64_e32 v[30:31], v[14:15], v[72:73]
	v_cvt_f64_f32_e32 v[14:15], v60
	v_fmac_f64_e32 v[28:29], v[48:49], v[70:71]
	v_fmac_f64_e32 v[52:53], v[14:15], v[70:71]
	;; [unrolled: 1-line block ×3, first 2 shown]
	v_cvt_f64_f32_e32 v[14:15], v42
	v_cvt_f64_f32_e32 v[42:43], v43
	v_fmac_f64_e32 v[54:55], v[14:15], v[66:67]
	v_fma_f64 v[58:59], -v[42:43], v[68:69], v[54:55]
	v_fmac_f64_e32 v[40:41], v[42:43], v[66:67]
	v_cvt_f64_f32_e32 v[42:43], v45
	v_fmac_f64_e32 v[40:41], v[14:15], v[68:69]
	v_cvt_f64_f32_e32 v[14:15], v44
	v_fmac_f64_e32 v[38:39], v[42:43], v[66:67]
	v_fmac_f64_e32 v[56:57], v[14:15], v[66:67]
	;; [unrolled: 1-line block ×3, first 2 shown]
	v_cvt_f64_f32_e32 v[14:15], v10
	v_cvt_f64_f32_e32 v[10:11], v11
	v_fmac_f64_e32 v[50:51], v[14:15], v[66:67]
	v_fma_f64 v[52:53], -v[48:49], v[72:73], v[52:53]
	v_fma_f64 v[60:61], -v[10:11], v[68:69], v[50:51]
	v_fmac_f64_e32 v[30:31], v[10:11], v[66:67]
	v_cvt_f64_f32_e32 v[10:11], v12
	v_cvt_f64_f32_e32 v[12:13], v13
	v_fmac_f64_e32 v[52:53], v[10:11], v[66:67]
	v_fmac_f64_e32 v[28:29], v[12:13], v[66:67]
	v_fma_f64 v[56:57], -v[42:43], v[68:69], v[56:57]
	v_fmac_f64_e32 v[30:31], v[14:15], v[68:69]
	v_fma_f64 v[14:15], -v[12:13], v[68:69], v[52:53]
	v_fmac_f64_e32 v[28:29], v[10:11], v[68:69]
	global_load_dwordx4 v[10:13], v[36:37], off offset:112
	global_load_dwordx4 v[42:45], v[36:37], off offset:96
	;; [unrolled: 1-line block ×4, first 2 shown]
	v_add_co_u32_e32 v70, vcc, s5, v36
	v_addc_co_u32_e32 v71, vcc, 0, v37, vcc
	s_waitcnt vmcnt(0)
	v_cvt_f64_f32_e32 v[62:63], v52
	v_cvt_f64_f32_e32 v[52:53], v53
	v_fmac_f64_e32 v[58:59], v[62:63], v[4:5]
	v_fma_f64 v[58:59], -v[52:53], v[6:7], v[58:59]
	v_fmac_f64_e32 v[40:41], v[52:53], v[4:5]
	v_cvt_f64_f32_e32 v[52:53], v54
	v_cvt_f64_f32_e32 v[54:55], v55
	v_fmac_f64_e32 v[38:39], v[54:55], v[4:5]
	v_fmac_f64_e32 v[56:57], v[52:53], v[4:5]
	;; [unrolled: 1-line block ×3, first 2 shown]
	v_cvt_f64_f32_e32 v[52:53], v48
	v_cvt_f64_f32_e32 v[48:49], v49
	v_fmac_f64_e32 v[60:61], v[52:53], v[4:5]
	v_fma_f64 v[56:57], -v[54:55], v[6:7], v[56:57]
	v_fma_f64 v[54:55], -v[48:49], v[6:7], v[60:61]
	v_fmac_f64_e32 v[30:31], v[48:49], v[4:5]
	v_cvt_f64_f32_e32 v[48:49], v50
	v_cvt_f64_f32_e32 v[50:51], v51
	v_fmac_f64_e32 v[14:15], v[48:49], v[4:5]
	v_fmac_f64_e32 v[28:29], v[50:51], v[4:5]
	v_fmac_f64_e32 v[40:41], v[62:63], v[6:7]
	v_fmac_f64_e32 v[30:31], v[52:53], v[6:7]
	v_fma_f64 v[14:15], -v[50:51], v[6:7], v[14:15]
	v_fmac_f64_e32 v[28:29], v[48:49], v[6:7]
	v_cvt_f64_f32_e32 v[4:5], v42
	v_cvt_f64_f32_e32 v[6:7], v43
	v_fmac_f64_e32 v[58:59], v[4:5], v[0:1]
	v_fmac_f64_e32 v[40:41], v[6:7], v[0:1]
	v_fma_f64 v[64:65], -v[6:7], v[2:3], v[58:59]
	v_fmac_f64_e32 v[40:41], v[4:5], v[2:3]
	v_cvt_f64_f32_e32 v[4:5], v44
	v_cvt_f64_f32_e32 v[6:7], v45
	v_fmac_f64_e32 v[56:57], v[4:5], v[0:1]
	v_fmac_f64_e32 v[38:39], v[6:7], v[0:1]
	v_fma_f64 v[66:67], -v[6:7], v[2:3], v[56:57]
	v_fmac_f64_e32 v[38:39], v[4:5], v[2:3]
	v_cvt_f64_f32_e32 v[4:5], v10
	v_cvt_f64_f32_e32 v[6:7], v11
	v_fmac_f64_e32 v[54:55], v[4:5], v[0:1]
	v_fmac_f64_e32 v[30:31], v[6:7], v[0:1]
	v_fma_f64 v[68:69], -v[6:7], v[2:3], v[54:55]
	v_fmac_f64_e32 v[30:31], v[4:5], v[2:3]
	v_cvt_f64_f32_e32 v[4:5], v12
	v_cvt_f64_f32_e32 v[6:7], v13
	v_fmac_f64_e32 v[14:15], v[4:5], v[0:1]
	v_fmac_f64_e32 v[28:29], v[6:7], v[0:1]
	global_load_dwordx2 v[0:1], v[8:9], off offset:-512
	v_fma_f64 v[14:15], -v[6:7], v[2:3], v[14:15]
	v_fmac_f64_e32 v[28:29], v[4:5], v[2:3]
	s_waitcnt vmcnt(0)
	v_subrev_co_u32_e32 v48, vcc, s20, v0
	v_subb_co_u32_e32 v49, vcc, v1, v27, vcc
	v_lshlrev_b64 v[48:49], 6, v[48:49]
	v_add_co_u32_e32 v74, vcc, s4, v48
	v_addc_co_u32_e32 v75, vcc, v46, v49, vcc
	global_load_dwordx4 v[0:3], v[70:71], off
	global_load_dwordx4 v[4:7], v[70:71], off offset:48
	global_load_dwordx4 v[10:13], v[70:71], off offset:32
	;; [unrolled: 1-line block ×6, first 2 shown]
	global_load_dwordx4 v[60:63], v[74:75], off
	s_waitcnt vmcnt(7)
	v_cvt_f64_f32_e32 v[72:73], v0
	v_cvt_f64_f32_e32 v[0:1], v1
	s_waitcnt vmcnt(0)
	v_fmac_f64_e32 v[64:65], v[72:73], v[60:61]
	v_fma_f64 v[64:65], -v[0:1], v[62:63], v[64:65]
	v_fmac_f64_e32 v[40:41], v[0:1], v[60:61]
	v_cvt_f64_f32_e32 v[0:1], v2
	v_cvt_f64_f32_e32 v[2:3], v3
	v_fmac_f64_e32 v[66:67], v[0:1], v[60:61]
	v_fmac_f64_e32 v[38:39], v[2:3], v[60:61]
	v_fma_f64 v[66:67], -v[2:3], v[62:63], v[66:67]
	v_fmac_f64_e32 v[38:39], v[0:1], v[62:63]
	v_cvt_f64_f32_e32 v[0:1], v42
	v_cvt_f64_f32_e32 v[2:3], v43
	v_fmac_f64_e32 v[68:69], v[0:1], v[60:61]
	;; [unrolled: 6-line block ×3, first 2 shown]
	v_fmac_f64_e32 v[28:29], v[2:3], v[60:61]
	v_fmac_f64_e32 v[40:41], v[72:73], v[62:63]
	v_fma_f64 v[14:15], -v[2:3], v[62:63], v[14:15]
	v_fmac_f64_e32 v[28:29], v[0:1], v[62:63]
	v_cvt_f64_f32_e32 v[0:1], v10
	v_cvt_f64_f32_e32 v[2:3], v11
	v_fmac_f64_e32 v[64:65], v[0:1], v[56:57]
	v_fmac_f64_e32 v[40:41], v[2:3], v[56:57]
	v_fma_f64 v[60:61], -v[2:3], v[58:59], v[64:65]
	v_fmac_f64_e32 v[40:41], v[0:1], v[58:59]
	v_cvt_f64_f32_e32 v[0:1], v12
	v_cvt_f64_f32_e32 v[2:3], v13
	;; [unrolled: 6-line block ×4, first 2 shown]
	v_fmac_f64_e32 v[14:15], v[0:1], v[56:57]
	v_fmac_f64_e32 v[28:29], v[2:3], v[56:57]
	v_fma_f64 v[14:15], -v[2:3], v[58:59], v[14:15]
	v_fmac_f64_e32 v[28:29], v[0:1], v[58:59]
	global_load_dwordx4 v[4:7], v[70:71], off offset:112
	global_load_dwordx4 v[0:3], v[70:71], off offset:96
	;; [unrolled: 1-line block ×4, first 2 shown]
	s_waitcnt vmcnt(0)
	v_cvt_f64_f32_e32 v[56:57], v42
	v_cvt_f64_f32_e32 v[42:43], v43
	v_fmac_f64_e32 v[60:61], v[56:57], v[52:53]
	v_fma_f64 v[58:59], -v[42:43], v[54:55], v[60:61]
	v_fmac_f64_e32 v[40:41], v[42:43], v[52:53]
	v_cvt_f64_f32_e32 v[42:43], v44
	v_cvt_f64_f32_e32 v[44:45], v45
	v_fmac_f64_e32 v[38:39], v[44:45], v[52:53]
	v_fmac_f64_e32 v[62:63], v[42:43], v[52:53]
	;; [unrolled: 1-line block ×3, first 2 shown]
	v_cvt_f64_f32_e32 v[42:43], v10
	v_cvt_f64_f32_e32 v[10:11], v11
	v_fmac_f64_e32 v[64:65], v[42:43], v[52:53]
	v_fmac_f64_e32 v[40:41], v[56:57], v[54:55]
	v_fma_f64 v[56:57], -v[44:45], v[54:55], v[62:63]
	v_fma_f64 v[44:45], -v[10:11], v[54:55], v[64:65]
	v_fmac_f64_e32 v[30:31], v[10:11], v[52:53]
	v_cvt_f64_f32_e32 v[10:11], v12
	v_cvt_f64_f32_e32 v[12:13], v13
	v_fmac_f64_e32 v[28:29], v[12:13], v[52:53]
	v_fmac_f64_e32 v[14:15], v[10:11], v[52:53]
	;; [unrolled: 1-line block ×3, first 2 shown]
	v_cvt_f64_f32_e32 v[10:11], v0
	v_fma_f64 v[14:15], -v[12:13], v[54:55], v[14:15]
	v_cvt_f64_f32_e32 v[12:13], v1
	v_fmac_f64_e32 v[58:59], v[10:11], v[48:49]
	v_fma_f64 v[0:1], -v[12:13], v[50:51], v[58:59]
	v_fmac_f64_e32 v[40:41], v[12:13], v[48:49]
	v_cvt_f64_f32_e32 v[12:13], v3
	v_fmac_f64_e32 v[40:41], v[10:11], v[50:51]
	v_cvt_f64_f32_e32 v[10:11], v2
	v_fmac_f64_e32 v[38:39], v[12:13], v[48:49]
	v_fmac_f64_e32 v[56:57], v[10:11], v[48:49]
	;; [unrolled: 1-line block ×3, first 2 shown]
	v_cvt_f64_f32_e32 v[10:11], v4
	v_fmac_f64_e32 v[30:31], v[42:43], v[54:55]
	v_fma_f64 v[2:3], -v[12:13], v[50:51], v[56:57]
	v_cvt_f64_f32_e32 v[12:13], v5
	v_fmac_f64_e32 v[44:45], v[10:11], v[48:49]
	v_fma_f64 v[4:5], -v[12:13], v[50:51], v[44:45]
	v_fmac_f64_e32 v[30:31], v[12:13], v[48:49]
	v_cvt_f64_f32_e32 v[12:13], v7
	v_fmac_f64_e32 v[30:31], v[10:11], v[50:51]
	v_cvt_f64_f32_e32 v[10:11], v6
	v_fmac_f64_e32 v[28:29], v[12:13], v[48:49]
	v_fmac_f64_e32 v[14:15], v[10:11], v[48:49]
	;; [unrolled: 1-line block ×3, first 2 shown]
	global_load_dwordx2 v[10:11], v[8:9], off
	v_fma_f64 v[6:7], -v[12:13], v[50:51], v[14:15]
	s_waitcnt vmcnt(0)
	v_subrev_co_u32_e32 v14, vcc, s20, v10
	v_subb_co_u32_e32 v15, vcc, v11, v27, vcc
	v_add_co_u32_e32 v72, vcc, s12, v36
	v_addc_co_u32_e32 v73, vcc, 0, v37, vcc
	v_lshlrev_b64 v[14:15], 6, v[14:15]
	v_add_co_u32_e32 v14, vcc, s4, v14
	v_addc_co_u32_e32 v15, vcc, v46, v15, vcc
	global_load_dwordx4 v[10:13], v[72:73], off
	global_load_dwordx4 v[42:45], v[72:73], off offset:48
	global_load_dwordx4 v[48:51], v[72:73], off offset:32
	;; [unrolled: 1-line block ×6, first 2 shown]
	global_load_dwordx4 v[68:71], v[14:15], off
	s_waitcnt vmcnt(7)
	v_cvt_f64_f32_e32 v[74:75], v10
	v_cvt_f64_f32_e32 v[10:11], v11
	s_waitcnt vmcnt(0)
	v_fmac_f64_e32 v[0:1], v[74:75], v[68:69]
	v_fma_f64 v[0:1], -v[10:11], v[70:71], v[0:1]
	v_fmac_f64_e32 v[40:41], v[10:11], v[68:69]
	v_cvt_f64_f32_e32 v[10:11], v12
	v_cvt_f64_f32_e32 v[12:13], v13
	v_fmac_f64_e32 v[2:3], v[10:11], v[68:69]
	v_fmac_f64_e32 v[38:39], v[12:13], v[68:69]
	v_fma_f64 v[2:3], -v[12:13], v[70:71], v[2:3]
	v_fmac_f64_e32 v[38:39], v[10:11], v[70:71]
	v_cvt_f64_f32_e32 v[10:11], v52
	v_cvt_f64_f32_e32 v[12:13], v53
	v_fmac_f64_e32 v[4:5], v[10:11], v[68:69]
	;; [unrolled: 6-line block ×3, first 2 shown]
	v_fmac_f64_e32 v[28:29], v[12:13], v[68:69]
	v_fmac_f64_e32 v[40:41], v[74:75], v[70:71]
	v_fma_f64 v[6:7], -v[12:13], v[70:71], v[6:7]
	v_fmac_f64_e32 v[28:29], v[10:11], v[70:71]
	v_cvt_f64_f32_e32 v[10:11], v48
	v_cvt_f64_f32_e32 v[12:13], v49
	v_fmac_f64_e32 v[0:1], v[10:11], v[64:65]
	v_fmac_f64_e32 v[40:41], v[12:13], v[64:65]
	v_fma_f64 v[14:15], -v[12:13], v[66:67], v[0:1]
	v_fmac_f64_e32 v[40:41], v[10:11], v[66:67]
	v_cvt_f64_f32_e32 v[0:1], v50
	v_cvt_f64_f32_e32 v[10:11], v51
	;; [unrolled: 6-line block ×4, first 2 shown]
	v_fmac_f64_e32 v[6:7], v[0:1], v[64:65]
	v_fmac_f64_e32 v[28:29], v[2:3], v[64:65]
	v_fma_f64 v[52:53], -v[2:3], v[66:67], v[6:7]
	v_fmac_f64_e32 v[28:29], v[0:1], v[66:67]
	global_load_dwordx4 v[0:3], v[72:73], off offset:112
	global_load_dwordx4 v[4:7], v[72:73], off offset:96
	;; [unrolled: 1-line block ×4, first 2 shown]
	s_waitcnt vmcnt(0)
	v_cvt_f64_f32_e32 v[54:55], v42
	v_cvt_f64_f32_e32 v[42:43], v43
	v_fmac_f64_e32 v[14:15], v[54:55], v[60:61]
	v_fma_f64 v[14:15], -v[42:43], v[62:63], v[14:15]
	v_fmac_f64_e32 v[40:41], v[42:43], v[60:61]
	v_cvt_f64_f32_e32 v[42:43], v44
	v_cvt_f64_f32_e32 v[44:45], v45
	v_fmac_f64_e32 v[38:39], v[44:45], v[60:61]
	v_fmac_f64_e32 v[48:49], v[42:43], v[60:61]
	;; [unrolled: 1-line block ×3, first 2 shown]
	v_cvt_f64_f32_e32 v[42:43], v10
	v_cvt_f64_f32_e32 v[10:11], v11
	v_fmac_f64_e32 v[50:51], v[42:43], v[60:61]
	v_fma_f64 v[48:49], -v[44:45], v[62:63], v[48:49]
	v_fma_f64 v[44:45], -v[10:11], v[62:63], v[50:51]
	v_fmac_f64_e32 v[30:31], v[10:11], v[60:61]
	v_cvt_f64_f32_e32 v[10:11], v12
	v_cvt_f64_f32_e32 v[12:13], v13
	v_fmac_f64_e32 v[28:29], v[12:13], v[60:61]
	v_fmac_f64_e32 v[52:53], v[10:11], v[60:61]
	;; [unrolled: 1-line block ×3, first 2 shown]
	v_cvt_f64_f32_e32 v[10:11], v4
	v_fmac_f64_e32 v[40:41], v[54:55], v[62:63]
	v_cvt_f64_f32_e32 v[4:5], v5
	v_fmac_f64_e32 v[14:15], v[10:11], v[56:57]
	v_fmac_f64_e32 v[30:31], v[42:43], v[62:63]
	v_fma_f64 v[42:43], -v[4:5], v[58:59], v[14:15]
	v_fmac_f64_e32 v[40:41], v[4:5], v[56:57]
	v_cvt_f64_f32_e32 v[4:5], v6
	v_cvt_f64_f32_e32 v[6:7], v7
	v_fmac_f64_e32 v[38:39], v[6:7], v[56:57]
	v_fmac_f64_e32 v[48:49], v[4:5], v[56:57]
	;; [unrolled: 1-line block ×3, first 2 shown]
	v_cvt_f64_f32_e32 v[4:5], v0
	v_cvt_f64_f32_e32 v[0:1], v1
	v_fmac_f64_e32 v[44:45], v[4:5], v[56:57]
	v_fma_f64 v[50:51], -v[12:13], v[62:63], v[52:53]
	v_fma_f64 v[12:13], -v[0:1], v[58:59], v[44:45]
	v_fmac_f64_e32 v[30:31], v[0:1], v[56:57]
	v_cvt_f64_f32_e32 v[0:1], v2
	v_cvt_f64_f32_e32 v[2:3], v3
	v_fmac_f64_e32 v[28:29], v[2:3], v[56:57]
	v_fmac_f64_e32 v[50:51], v[0:1], v[56:57]
	v_fmac_f64_e32 v[28:29], v[0:1], v[58:59]
	global_load_dwordx2 v[0:1], v[8:9], off offset:512
	v_fmac_f64_e32 v[40:41], v[10:11], v[58:59]
	v_fma_f64 v[14:15], -v[6:7], v[58:59], v[48:49]
	v_fmac_f64_e32 v[30:31], v[4:5], v[58:59]
	v_fma_f64 v[10:11], -v[2:3], v[58:59], v[50:51]
	s_waitcnt vmcnt(0)
	v_subrev_co_u32_e32 v0, vcc, s20, v0
	v_subb_co_u32_e32 v1, vcc, v1, v27, vcc
	v_add_co_u32_e32 v44, vcc, s13, v36
	v_addc_co_u32_e32 v45, vcc, 0, v37, vcc
	v_lshlrev_b64 v[0:1], 6, v[0:1]
	v_add_co_u32_e32 v74, vcc, s4, v0
	v_addc_co_u32_e32 v75, vcc, v46, v1, vcc
	global_load_dwordx4 v[48:51], v[44:45], off
	global_load_dwordx4 v[52:55], v[44:45], off offset:48
	global_load_dwordx4 v[56:59], v[44:45], off offset:32
	;; [unrolled: 1-line block ×6, first 2 shown]
	global_load_dwordx4 v[68:71], v[74:75], off
	v_add_co_u32_e32 v32, vcc, 0x100, v32
	v_addc_co_u32_e32 v33, vcc, 0, v33, vcc
	v_add_co_u32_e32 v8, vcc, 0x800, v8
	v_addc_co_u32_e32 v9, vcc, 0, v9, vcc
	v_cmp_ge_i64_e64 s[0:1], v[32:33], v[34:35]
	v_add_co_u32_e32 v36, vcc, 0x8000, v36
	v_addc_co_u32_e32 v37, vcc, 0, v37, vcc
	s_or_b64 s[10:11], s[0:1], s[10:11]
	s_waitcnt vmcnt(7)
	v_cvt_f64_f32_e32 v[72:73], v48
	v_cvt_f64_f32_e32 v[48:49], v49
	s_waitcnt vmcnt(0)
	v_fmac_f64_e32 v[42:43], v[72:73], v[68:69]
	v_fma_f64 v[42:43], -v[48:49], v[70:71], v[42:43]
	v_fmac_f64_e32 v[40:41], v[48:49], v[68:69]
	v_cvt_f64_f32_e32 v[48:49], v50
	v_cvt_f64_f32_e32 v[50:51], v51
	v_fmac_f64_e32 v[14:15], v[48:49], v[68:69]
	v_fmac_f64_e32 v[38:39], v[50:51], v[68:69]
	v_fma_f64 v[14:15], -v[50:51], v[70:71], v[14:15]
	v_fmac_f64_e32 v[38:39], v[48:49], v[70:71]
	v_cvt_f64_f32_e32 v[48:49], v60
	v_cvt_f64_f32_e32 v[50:51], v61
	v_fmac_f64_e32 v[12:13], v[48:49], v[68:69]
	;; [unrolled: 6-line block ×3, first 2 shown]
	v_fmac_f64_e32 v[28:29], v[50:51], v[68:69]
	v_fmac_f64_e32 v[40:41], v[72:73], v[70:71]
	v_fma_f64 v[10:11], -v[50:51], v[70:71], v[10:11]
	v_fmac_f64_e32 v[28:29], v[48:49], v[70:71]
	v_cvt_f64_f32_e32 v[48:49], v56
	v_cvt_f64_f32_e32 v[50:51], v57
	v_fmac_f64_e32 v[42:43], v[48:49], v[64:65]
	v_fmac_f64_e32 v[40:41], v[50:51], v[64:65]
	v_fma_f64 v[42:43], -v[50:51], v[66:67], v[42:43]
	v_fmac_f64_e32 v[40:41], v[48:49], v[66:67]
	v_cvt_f64_f32_e32 v[48:49], v58
	v_cvt_f64_f32_e32 v[50:51], v59
	;; [unrolled: 6-line block ×4, first 2 shown]
	v_fmac_f64_e32 v[10:11], v[12:13], v[64:65]
	v_fmac_f64_e32 v[28:29], v[48:49], v[64:65]
	v_fma_f64 v[62:63], -v[48:49], v[66:67], v[10:11]
	v_fmac_f64_e32 v[28:29], v[12:13], v[66:67]
	global_load_dwordx4 v[10:13], v[44:45], off offset:112
	global_load_dwordx4 v[48:51], v[44:45], off offset:96
	;; [unrolled: 1-line block ×4, first 2 shown]
	s_waitcnt vmcnt(0)
	v_cvt_f64_f32_e32 v[44:45], v56
	v_cvt_f64_f32_e32 v[56:57], v57
	v_fmac_f64_e32 v[42:43], v[44:45], v[4:5]
	v_fma_f64 v[42:43], -v[56:57], v[6:7], v[42:43]
	v_fmac_f64_e32 v[40:41], v[56:57], v[4:5]
	v_cvt_f64_f32_e32 v[56:57], v59
	v_fmac_f64_e32 v[40:41], v[44:45], v[6:7]
	v_cvt_f64_f32_e32 v[44:45], v58
	v_fmac_f64_e32 v[38:39], v[56:57], v[4:5]
	v_fmac_f64_e32 v[14:15], v[44:45], v[4:5]
	;; [unrolled: 1-line block ×3, first 2 shown]
	v_cvt_f64_f32_e32 v[44:45], v52
	v_cvt_f64_f32_e32 v[52:53], v53
	v_fmac_f64_e32 v[60:61], v[44:45], v[4:5]
	v_fmac_f64_e32 v[30:31], v[52:53], v[4:5]
	v_fma_f64 v[58:59], -v[52:53], v[6:7], v[60:61]
	v_fmac_f64_e32 v[30:31], v[44:45], v[6:7]
	v_cvt_f64_f32_e32 v[44:45], v54
	v_cvt_f64_f32_e32 v[52:53], v55
	v_fmac_f64_e32 v[62:63], v[44:45], v[4:5]
	v_fmac_f64_e32 v[28:29], v[52:53], v[4:5]
	v_fma_f64 v[14:15], -v[56:57], v[6:7], v[14:15]
	v_fma_f64 v[60:61], -v[52:53], v[6:7], v[62:63]
	v_fmac_f64_e32 v[28:29], v[44:45], v[6:7]
	v_cvt_f64_f32_e32 v[4:5], v48
	v_cvt_f64_f32_e32 v[6:7], v49
	v_fmac_f64_e32 v[42:43], v[4:5], v[0:1]
	v_fmac_f64_e32 v[40:41], v[6:7], v[0:1]
	v_fma_f64 v[54:55], -v[6:7], v[2:3], v[42:43]
	v_fmac_f64_e32 v[40:41], v[4:5], v[2:3]
	v_cvt_f64_f32_e32 v[4:5], v50
	v_cvt_f64_f32_e32 v[6:7], v51
	v_fmac_f64_e32 v[14:15], v[4:5], v[0:1]
	v_fmac_f64_e32 v[38:39], v[6:7], v[0:1]
	;; [unrolled: 6-line block ×4, first 2 shown]
	v_fma_f64 v[52:53], -v[6:7], v[2:3], v[60:61]
	v_fmac_f64_e32 v[28:29], v[4:5], v[2:3]
	s_andn2_b64 exec, exec, s[10:11]
	s_cbranch_execnz .LBB179_37
; %bb.38:
	s_or_b64 exec, exec, s[10:11]
.LBB179_39:
	s_or_b64 exec, exec, s[8:9]
.LBB179_40:
	s_or_b64 exec, exec, s[2:3]
.LBB179_41:
	v_mov_b32_dpp v12, v38 row_shr:1 row_mask:0xf bank_mask:0xf
	v_mov_b32_dpp v13, v39 row_shr:1 row_mask:0xf bank_mask:0xf
	;; [unrolled: 1-line block ×8, first 2 shown]
	v_add_f64 v[12:13], v[38:39], v[12:13]
	v_mov_b32_dpp v32, v50 row_shr:1 row_mask:0xf bank_mask:0xf
	v_mov_b32_dpp v33, v51 row_shr:1 row_mask:0xf bank_mask:0xf
	;; [unrolled: 1-line block ×8, first 2 shown]
	v_add_f64 v[0:1], v[54:55], v[0:1]
	v_add_f64 v[4:5], v[40:41], v[4:5]
	v_add_f64 v[8:9], v[56:57], v[8:9]
	v_add_f64 v[32:33], v[50:51], v[32:33]
	v_add_f64 v[30:31], v[30:31], v[36:37]
	v_add_f64 v[38:39], v[52:53], v[38:39]
	v_add_f64 v[28:29], v[28:29], v[42:43]
	v_mov_b32_dpp v2, v0 row_shr:2 row_mask:0xf bank_mask:0xf
	v_mov_b32_dpp v3, v1 row_shr:2 row_mask:0xf bank_mask:0xf
	v_mov_b32_dpp v6, v4 row_shr:2 row_mask:0xf bank_mask:0xf
	v_mov_b32_dpp v7, v5 row_shr:2 row_mask:0xf bank_mask:0xf
	v_mov_b32_dpp v10, v8 row_shr:2 row_mask:0xf bank_mask:0xf
	v_mov_b32_dpp v11, v9 row_shr:2 row_mask:0xf bank_mask:0xf
	v_mov_b32_dpp v14, v12 row_shr:2 row_mask:0xf bank_mask:0xf
	v_mov_b32_dpp v15, v13 row_shr:2 row_mask:0xf bank_mask:0xf
	v_mov_b32_dpp v34, v32 row_shr:2 row_mask:0xf bank_mask:0xf
	v_mov_b32_dpp v35, v33 row_shr:2 row_mask:0xf bank_mask:0xf
	v_mov_b32_dpp v36, v30 row_shr:2 row_mask:0xf bank_mask:0xf
	v_mov_b32_dpp v37, v31 row_shr:2 row_mask:0xf bank_mask:0xf
	v_mov_b32_dpp v40, v38 row_shr:2 row_mask:0xf bank_mask:0xf
	v_mov_b32_dpp v41, v39 row_shr:2 row_mask:0xf bank_mask:0xf
	v_mov_b32_dpp v42, v28 row_shr:2 row_mask:0xf bank_mask:0xf
	v_mov_b32_dpp v43, v29 row_shr:2 row_mask:0xf bank_mask:0xf
	v_add_f64 v[0:1], v[0:1], v[2:3]
	v_add_f64 v[4:5], v[4:5], v[6:7]
	v_add_f64 v[8:9], v[8:9], v[10:11]
	v_add_f64 v[12:13], v[12:13], v[14:15]
	v_add_f64 v[32:33], v[32:33], v[34:35]
	v_add_f64 v[30:31], v[30:31], v[36:37]
	v_add_f64 v[38:39], v[38:39], v[40:41]
	v_add_f64 v[28:29], v[28:29], v[42:43]
	v_mov_b32_dpp v2, v0 row_shr:4 row_mask:0xf bank_mask:0xe
	v_mov_b32_dpp v3, v1 row_shr:4 row_mask:0xf bank_mask:0xe
	v_mov_b32_dpp v6, v4 row_shr:4 row_mask:0xf bank_mask:0xe
	v_mov_b32_dpp v7, v5 row_shr:4 row_mask:0xf bank_mask:0xe
	v_mov_b32_dpp v10, v8 row_shr:4 row_mask:0xf bank_mask:0xe
	v_mov_b32_dpp v11, v9 row_shr:4 row_mask:0xf bank_mask:0xe
	v_mov_b32_dpp v14, v12 row_shr:4 row_mask:0xf bank_mask:0xe
	v_mov_b32_dpp v15, v13 row_shr:4 row_mask:0xf bank_mask:0xe
	v_mov_b32_dpp v34, v32 row_shr:4 row_mask:0xf bank_mask:0xe
	v_mov_b32_dpp v35, v33 row_shr:4 row_mask:0xf bank_mask:0xe
	v_mov_b32_dpp v36, v30 row_shr:4 row_mask:0xf bank_mask:0xe
	v_mov_b32_dpp v37, v31 row_shr:4 row_mask:0xf bank_mask:0xe
	v_mov_b32_dpp v40, v38 row_shr:4 row_mask:0xf bank_mask:0xe
	v_mov_b32_dpp v41, v39 row_shr:4 row_mask:0xf bank_mask:0xe
	v_mov_b32_dpp v42, v28 row_shr:4 row_mask:0xf bank_mask:0xe
	v_mov_b32_dpp v43, v29 row_shr:4 row_mask:0xf bank_mask:0xe
	v_add_f64 v[0:1], v[0:1], v[2:3]
	;; [unrolled: 24-line block ×3, first 2 shown]
	v_add_f64 v[4:5], v[4:5], v[6:7]
	v_add_f64 v[8:9], v[8:9], v[10:11]
	;; [unrolled: 1-line block ×7, first 2 shown]
	v_mov_b32_dpp v2, v0 row_bcast:15 row_mask:0xa bank_mask:0xf
	v_mov_b32_dpp v3, v1 row_bcast:15 row_mask:0xa bank_mask:0xf
	;; [unrolled: 1-line block ×16, first 2 shown]
	v_add_f64 v[0:1], v[0:1], v[2:3]
	v_add_f64 v[4:5], v[4:5], v[6:7]
	;; [unrolled: 1-line block ×8, first 2 shown]
	v_mov_b32_dpp v2, v0 row_bcast:31 row_mask:0xc bank_mask:0xf
	v_mov_b32_dpp v3, v1 row_bcast:31 row_mask:0xc bank_mask:0xf
	;; [unrolled: 1-line block ×16, first 2 shown]
	v_cmp_eq_u32_e32 vcc, 63, v26
	s_and_b64 exec, exec, vcc
	s_cbranch_execz .LBB179_12
; %bb.42:
	s_load_dwordx2 s[2:3], s[6:7], 0x68
	v_add_f64 v[26:27], v[0:1], v[2:3]
	v_add_f64 v[0:1], v[4:5], v[6:7]
	;; [unrolled: 1-line block ×8, first 2 shown]
	v_cmp_eq_f64_e32 vcc, 0, v[16:17]
	v_cmp_eq_f64_e64 s[0:1], 0, v[18:19]
	v_mul_f64 v[12:13], v[0:1], -v[22:23]
	v_mul_f64 v[14:15], v[20:21], v[0:1]
	v_mul_f64 v[8:9], v[2:3], -v[22:23]
	v_mul_f64 v[10:11], v[20:21], v[2:3]
	;; [unrolled: 2-line block ×4, first 2 shown]
	s_and_b64 s[0:1], vcc, s[0:1]
	v_fmac_f64_e32 v[12:13], v[20:21], v[26:27]
	v_fmac_f64_e32 v[14:15], v[22:23], v[26:27]
	v_lshlrev_b64 v[24:25], 6, v[24:25]
	v_fmac_f64_e32 v[8:9], v[20:21], v[44:45]
	v_fmac_f64_e32 v[10:11], v[22:23], v[44:45]
	;; [unrolled: 1-line block ×6, first 2 shown]
	s_and_saveexec_b64 s[4:5], s[0:1]
	s_xor_b64 s[0:1], exec, s[4:5]
	s_cbranch_execz .LBB179_44
; %bb.43:
	s_waitcnt lgkmcnt(0)
	v_mov_b32_e32 v17, s3
	v_add_co_u32_e32 v16, vcc, s2, v24
	v_addc_co_u32_e32 v17, vcc, v17, v25, vcc
	global_store_dwordx4 v[16:17], v[12:15], off
	global_store_dwordx4 v[16:17], v[8:11], off offset:16
	global_store_dwordx4 v[16:17], v[4:7], off offset:32
	;; [unrolled: 1-line block ×3, first 2 shown]
                                        ; implicit-def: $vgpr16_vgpr17
                                        ; implicit-def: $vgpr18_vgpr19
                                        ; implicit-def: $vgpr12_vgpr13
                                        ; implicit-def: $vgpr24_vgpr25
                                        ; implicit-def: $vgpr8_vgpr9
                                        ; implicit-def: $vgpr4_vgpr5
                                        ; implicit-def: $vgpr0_vgpr1
.LBB179_44:
	s_andn2_saveexec_b64 s[0:1], s[0:1]
	s_cbranch_execz .LBB179_12
; %bb.45:
	s_waitcnt lgkmcnt(0)
	v_mov_b32_e32 v20, s3
	v_add_co_u32_e32 v36, vcc, s2, v24
	v_addc_co_u32_e32 v37, vcc, v20, v25, vcc
	global_load_dwordx4 v[20:23], v[36:37], off
	global_load_dwordx4 v[24:27], v[36:37], off offset:16
	global_load_dwordx4 v[28:31], v[36:37], off offset:32
	;; [unrolled: 1-line block ×3, first 2 shown]
	s_waitcnt vmcnt(3)
	v_fmac_f64_e32 v[12:13], v[16:17], v[20:21]
	v_fmac_f64_e32 v[14:15], v[18:19], v[20:21]
	s_waitcnt vmcnt(2)
	v_fmac_f64_e32 v[8:9], v[16:17], v[24:25]
	v_fmac_f64_e32 v[10:11], v[18:19], v[24:25]
	;; [unrolled: 3-line block ×4, first 2 shown]
	v_fma_f64 v[12:13], -v[18:19], v[22:23], v[12:13]
	v_fmac_f64_e32 v[14:15], v[16:17], v[22:23]
	v_fma_f64 v[8:9], -v[18:19], v[26:27], v[8:9]
	v_fmac_f64_e32 v[10:11], v[16:17], v[26:27]
	;; [unrolled: 2-line block ×4, first 2 shown]
	global_store_dwordx4 v[36:37], v[12:15], off
	global_store_dwordx4 v[36:37], v[8:11], off offset:16
	global_store_dwordx4 v[36:37], v[4:7], off offset:32
	;; [unrolled: 1-line block ×3, first 2 shown]
	s_endpgm
	.section	.rodata,"a",@progbits
	.p2align	6, 0x0
	.amdhsa_kernel _ZN9rocsparseL18bsrxmvn_4x4_kernelILj128ELj64E21rocsparse_complex_numIdEllS1_IfES2_S2_EEvT3_20rocsparse_direction_NS_24const_host_device_scalarIT1_EES4_PKS4_PKT2_SD_SA_PKT4_PKT5_S8_PT6_21rocsparse_index_base_b
		.amdhsa_group_segment_fixed_size 2048
		.amdhsa_private_segment_fixed_size 0
		.amdhsa_kernarg_size 120
		.amdhsa_user_sgpr_count 8
		.amdhsa_user_sgpr_private_segment_buffer 1
		.amdhsa_user_sgpr_dispatch_ptr 1
		.amdhsa_user_sgpr_queue_ptr 0
		.amdhsa_user_sgpr_kernarg_segment_ptr 1
		.amdhsa_user_sgpr_dispatch_id 0
		.amdhsa_user_sgpr_flat_scratch_init 0
		.amdhsa_user_sgpr_kernarg_preload_length 0
		.amdhsa_user_sgpr_kernarg_preload_offset 0
		.amdhsa_user_sgpr_private_segment_size 0
		.amdhsa_uses_dynamic_stack 0
		.amdhsa_system_sgpr_private_segment_wavefront_offset 0
		.amdhsa_system_sgpr_workgroup_id_x 1
		.amdhsa_system_sgpr_workgroup_id_y 0
		.amdhsa_system_sgpr_workgroup_id_z 0
		.amdhsa_system_sgpr_workgroup_info 0
		.amdhsa_system_vgpr_workitem_id 2
		.amdhsa_next_free_vgpr 128
		.amdhsa_next_free_sgpr 23
		.amdhsa_accum_offset 128
		.amdhsa_reserve_vcc 1
		.amdhsa_reserve_flat_scratch 0
		.amdhsa_float_round_mode_32 0
		.amdhsa_float_round_mode_16_64 0
		.amdhsa_float_denorm_mode_32 3
		.amdhsa_float_denorm_mode_16_64 3
		.amdhsa_dx10_clamp 1
		.amdhsa_ieee_mode 1
		.amdhsa_fp16_overflow 0
		.amdhsa_tg_split 0
		.amdhsa_exception_fp_ieee_invalid_op 0
		.amdhsa_exception_fp_denorm_src 0
		.amdhsa_exception_fp_ieee_div_zero 0
		.amdhsa_exception_fp_ieee_overflow 0
		.amdhsa_exception_fp_ieee_underflow 0
		.amdhsa_exception_fp_ieee_inexact 0
		.amdhsa_exception_int_div_zero 0
	.end_amdhsa_kernel
	.section	.text._ZN9rocsparseL18bsrxmvn_4x4_kernelILj128ELj64E21rocsparse_complex_numIdEllS1_IfES2_S2_EEvT3_20rocsparse_direction_NS_24const_host_device_scalarIT1_EES4_PKS4_PKT2_SD_SA_PKT4_PKT5_S8_PT6_21rocsparse_index_base_b,"axG",@progbits,_ZN9rocsparseL18bsrxmvn_4x4_kernelILj128ELj64E21rocsparse_complex_numIdEllS1_IfES2_S2_EEvT3_20rocsparse_direction_NS_24const_host_device_scalarIT1_EES4_PKS4_PKT2_SD_SA_PKT4_PKT5_S8_PT6_21rocsparse_index_base_b,comdat
.Lfunc_end179:
	.size	_ZN9rocsparseL18bsrxmvn_4x4_kernelILj128ELj64E21rocsparse_complex_numIdEllS1_IfES2_S2_EEvT3_20rocsparse_direction_NS_24const_host_device_scalarIT1_EES4_PKS4_PKT2_SD_SA_PKT4_PKT5_S8_PT6_21rocsparse_index_base_b, .Lfunc_end179-_ZN9rocsparseL18bsrxmvn_4x4_kernelILj128ELj64E21rocsparse_complex_numIdEllS1_IfES2_S2_EEvT3_20rocsparse_direction_NS_24const_host_device_scalarIT1_EES4_PKS4_PKT2_SD_SA_PKT4_PKT5_S8_PT6_21rocsparse_index_base_b
                                        ; -- End function
	.section	.AMDGPU.csdata,"",@progbits
; Kernel info:
; codeLenInByte = 9420
; NumSgprs: 27
; NumVgprs: 128
; NumAgprs: 0
; TotalNumVgprs: 128
; ScratchSize: 0
; MemoryBound: 0
; FloatMode: 240
; IeeeMode: 1
; LDSByteSize: 2048 bytes/workgroup (compile time only)
; SGPRBlocks: 3
; VGPRBlocks: 15
; NumSGPRsForWavesPerEU: 27
; NumVGPRsForWavesPerEU: 128
; AccumOffset: 128
; Occupancy: 4
; WaveLimiterHint : 1
; COMPUTE_PGM_RSRC2:SCRATCH_EN: 0
; COMPUTE_PGM_RSRC2:USER_SGPR: 8
; COMPUTE_PGM_RSRC2:TRAP_HANDLER: 0
; COMPUTE_PGM_RSRC2:TGID_X_EN: 1
; COMPUTE_PGM_RSRC2:TGID_Y_EN: 0
; COMPUTE_PGM_RSRC2:TGID_Z_EN: 0
; COMPUTE_PGM_RSRC2:TIDIG_COMP_CNT: 2
; COMPUTE_PGM_RSRC3_GFX90A:ACCUM_OFFSET: 31
; COMPUTE_PGM_RSRC3_GFX90A:TG_SPLIT: 0
	.text
	.p2alignl 6, 3212836864
	.fill 256, 4, 3212836864
	.type	__hip_cuid_8e196abdc622d51d,@object ; @__hip_cuid_8e196abdc622d51d
	.section	.bss,"aw",@nobits
	.globl	__hip_cuid_8e196abdc622d51d
__hip_cuid_8e196abdc622d51d:
	.byte	0                               ; 0x0
	.size	__hip_cuid_8e196abdc622d51d, 1

	.ident	"AMD clang version 19.0.0git (https://github.com/RadeonOpenCompute/llvm-project roc-6.4.0 25133 c7fe45cf4b819c5991fe208aaa96edf142730f1d)"
	.section	".note.GNU-stack","",@progbits
	.addrsig
	.addrsig_sym __hip_cuid_8e196abdc622d51d
	.amdgpu_metadata
---
amdhsa.kernels:
  - .agpr_count:     0
    .args:
      - .offset:         0
        .size:           4
        .value_kind:     by_value
      - .offset:         4
        .size:           4
        .value_kind:     by_value
      - .offset:         8
        .size:           8
        .value_kind:     by_value
      - .offset:         16
        .size:           4
        .value_kind:     by_value
      - .actual_access:  read_only
        .address_space:  global
        .offset:         24
        .size:           8
        .value_kind:     global_buffer
      - .actual_access:  read_only
        .address_space:  global
        .offset:         32
        .size:           8
        .value_kind:     global_buffer
      - .actual_access:  read_only
        .address_space:  global
        .offset:         40
        .size:           8
        .value_kind:     global_buffer
      - .actual_access:  read_only
        .address_space:  global
        .offset:         48
        .size:           8
        .value_kind:     global_buffer
      - .actual_access:  read_only
        .address_space:  global
        .offset:         56
        .size:           8
        .value_kind:     global_buffer
      - .actual_access:  read_only
        .address_space:  global
        .offset:         64
        .size:           8
        .value_kind:     global_buffer
      - .offset:         72
        .size:           8
        .value_kind:     by_value
      - .address_space:  global
        .offset:         80
        .size:           8
        .value_kind:     global_buffer
      - .offset:         88
        .size:           4
        .value_kind:     by_value
      - .offset:         92
        .size:           1
        .value_kind:     by_value
    .group_segment_fixed_size: 0
    .kernarg_segment_align: 8
    .kernarg_segment_size: 96
    .language:       OpenCL C
    .language_version:
      - 2
      - 0
    .max_flat_workgroup_size: 128
    .name:           _ZN9rocsparseL18bsrxmvn_4x4_kernelILj128ELj4EfiifffEEvT3_20rocsparse_direction_NS_24const_host_device_scalarIT1_EES1_PKS1_PKT2_SA_S7_PKT4_PKT5_S5_PT6_21rocsparse_index_base_b
    .private_segment_fixed_size: 0
    .sgpr_count:     24
    .sgpr_spill_count: 0
    .symbol:         _ZN9rocsparseL18bsrxmvn_4x4_kernelILj128ELj4EfiifffEEvT3_20rocsparse_direction_NS_24const_host_device_scalarIT1_EES1_PKS1_PKT2_SA_S7_PKT4_PKT5_S5_PT6_21rocsparse_index_base_b.kd
    .uniform_work_group_size: 1
    .uses_dynamic_stack: false
    .vgpr_count:     108
    .vgpr_spill_count: 0
    .wavefront_size: 64
  - .agpr_count:     0
    .args:
      - .offset:         0
        .size:           4
        .value_kind:     by_value
      - .offset:         4
        .size:           4
        .value_kind:     by_value
      - .offset:         8
        .size:           8
        .value_kind:     by_value
      - .offset:         16
        .size:           4
        .value_kind:     by_value
      - .actual_access:  read_only
        .address_space:  global
        .offset:         24
        .size:           8
        .value_kind:     global_buffer
      - .actual_access:  read_only
        .address_space:  global
        .offset:         32
        .size:           8
        .value_kind:     global_buffer
      - .actual_access:  read_only
        .address_space:  global
        .offset:         40
        .size:           8
        .value_kind:     global_buffer
      - .actual_access:  read_only
        .address_space:  global
        .offset:         48
        .size:           8
        .value_kind:     global_buffer
      - .actual_access:  read_only
        .address_space:  global
        .offset:         56
        .size:           8
        .value_kind:     global_buffer
      - .actual_access:  read_only
        .address_space:  global
        .offset:         64
        .size:           8
        .value_kind:     global_buffer
      - .offset:         72
        .size:           8
        .value_kind:     by_value
      - .address_space:  global
        .offset:         80
        .size:           8
        .value_kind:     global_buffer
      - .offset:         88
        .size:           4
        .value_kind:     by_value
      - .offset:         92
        .size:           1
        .value_kind:     by_value
    .group_segment_fixed_size: 0
    .kernarg_segment_align: 8
    .kernarg_segment_size: 96
    .language:       OpenCL C
    .language_version:
      - 2
      - 0
    .max_flat_workgroup_size: 128
    .name:           _ZN9rocsparseL18bsrxmvn_4x4_kernelILj128ELj8EfiifffEEvT3_20rocsparse_direction_NS_24const_host_device_scalarIT1_EES1_PKS1_PKT2_SA_S7_PKT4_PKT5_S5_PT6_21rocsparse_index_base_b
    .private_segment_fixed_size: 0
    .sgpr_count:     24
    .sgpr_spill_count: 0
    .symbol:         _ZN9rocsparseL18bsrxmvn_4x4_kernelILj128ELj8EfiifffEEvT3_20rocsparse_direction_NS_24const_host_device_scalarIT1_EES1_PKS1_PKT2_SA_S7_PKT4_PKT5_S5_PT6_21rocsparse_index_base_b.kd
    .uniform_work_group_size: 1
    .uses_dynamic_stack: false
    .vgpr_count:     108
    .vgpr_spill_count: 0
    .wavefront_size: 64
  - .agpr_count:     0
    .args:
      - .offset:         0
        .size:           4
        .value_kind:     by_value
      - .offset:         4
        .size:           4
        .value_kind:     by_value
      - .offset:         8
        .size:           8
        .value_kind:     by_value
      - .offset:         16
        .size:           4
        .value_kind:     by_value
      - .actual_access:  read_only
        .address_space:  global
        .offset:         24
        .size:           8
        .value_kind:     global_buffer
      - .actual_access:  read_only
        .address_space:  global
        .offset:         32
        .size:           8
        .value_kind:     global_buffer
      - .actual_access:  read_only
        .address_space:  global
        .offset:         40
        .size:           8
        .value_kind:     global_buffer
      - .actual_access:  read_only
        .address_space:  global
        .offset:         48
        .size:           8
        .value_kind:     global_buffer
      - .actual_access:  read_only
        .address_space:  global
        .offset:         56
        .size:           8
        .value_kind:     global_buffer
      - .actual_access:  read_only
        .address_space:  global
        .offset:         64
        .size:           8
        .value_kind:     global_buffer
      - .offset:         72
        .size:           8
        .value_kind:     by_value
      - .address_space:  global
        .offset:         80
        .size:           8
        .value_kind:     global_buffer
      - .offset:         88
        .size:           4
        .value_kind:     by_value
      - .offset:         92
        .size:           1
        .value_kind:     by_value
    .group_segment_fixed_size: 0
    .kernarg_segment_align: 8
    .kernarg_segment_size: 96
    .language:       OpenCL C
    .language_version:
      - 2
      - 0
    .max_flat_workgroup_size: 128
    .name:           _ZN9rocsparseL18bsrxmvn_4x4_kernelILj128ELj16EfiifffEEvT3_20rocsparse_direction_NS_24const_host_device_scalarIT1_EES1_PKS1_PKT2_SA_S7_PKT4_PKT5_S5_PT6_21rocsparse_index_base_b
    .private_segment_fixed_size: 0
    .sgpr_count:     24
    .sgpr_spill_count: 0
    .symbol:         _ZN9rocsparseL18bsrxmvn_4x4_kernelILj128ELj16EfiifffEEvT3_20rocsparse_direction_NS_24const_host_device_scalarIT1_EES1_PKS1_PKT2_SA_S7_PKT4_PKT5_S5_PT6_21rocsparse_index_base_b.kd
    .uniform_work_group_size: 1
    .uses_dynamic_stack: false
    .vgpr_count:     108
    .vgpr_spill_count: 0
    .wavefront_size: 64
  - .agpr_count:     0
    .args:
      - .offset:         0
        .size:           4
        .value_kind:     by_value
      - .offset:         4
        .size:           4
        .value_kind:     by_value
      - .offset:         8
        .size:           8
        .value_kind:     by_value
      - .offset:         16
        .size:           4
        .value_kind:     by_value
      - .actual_access:  read_only
        .address_space:  global
        .offset:         24
        .size:           8
        .value_kind:     global_buffer
      - .actual_access:  read_only
        .address_space:  global
        .offset:         32
        .size:           8
        .value_kind:     global_buffer
      - .actual_access:  read_only
        .address_space:  global
        .offset:         40
        .size:           8
        .value_kind:     global_buffer
      - .actual_access:  read_only
        .address_space:  global
        .offset:         48
        .size:           8
        .value_kind:     global_buffer
      - .actual_access:  read_only
        .address_space:  global
        .offset:         56
        .size:           8
        .value_kind:     global_buffer
      - .actual_access:  read_only
        .address_space:  global
        .offset:         64
        .size:           8
        .value_kind:     global_buffer
      - .offset:         72
        .size:           8
        .value_kind:     by_value
      - .address_space:  global
        .offset:         80
        .size:           8
        .value_kind:     global_buffer
      - .offset:         88
        .size:           4
        .value_kind:     by_value
      - .offset:         92
        .size:           1
        .value_kind:     by_value
    .group_segment_fixed_size: 0
    .kernarg_segment_align: 8
    .kernarg_segment_size: 96
    .language:       OpenCL C
    .language_version:
      - 2
      - 0
    .max_flat_workgroup_size: 128
    .name:           _ZN9rocsparseL18bsrxmvn_4x4_kernelILj128ELj32EfiifffEEvT3_20rocsparse_direction_NS_24const_host_device_scalarIT1_EES1_PKS1_PKT2_SA_S7_PKT4_PKT5_S5_PT6_21rocsparse_index_base_b
    .private_segment_fixed_size: 0
    .sgpr_count:     26
    .sgpr_spill_count: 0
    .symbol:         _ZN9rocsparseL18bsrxmvn_4x4_kernelILj128ELj32EfiifffEEvT3_20rocsparse_direction_NS_24const_host_device_scalarIT1_EES1_PKS1_PKT2_SA_S7_PKT4_PKT5_S5_PT6_21rocsparse_index_base_b.kd
    .uniform_work_group_size: 1
    .uses_dynamic_stack: false
    .vgpr_count:     108
    .vgpr_spill_count: 0
    .wavefront_size: 64
  - .agpr_count:     0
    .args:
      - .offset:         0
        .size:           4
        .value_kind:     by_value
      - .offset:         4
        .size:           4
        .value_kind:     by_value
      - .offset:         8
        .size:           8
        .value_kind:     by_value
      - .offset:         16
        .size:           4
        .value_kind:     by_value
      - .actual_access:  read_only
        .address_space:  global
        .offset:         24
        .size:           8
        .value_kind:     global_buffer
      - .actual_access:  read_only
        .address_space:  global
        .offset:         32
        .size:           8
        .value_kind:     global_buffer
      - .actual_access:  read_only
        .address_space:  global
        .offset:         40
        .size:           8
        .value_kind:     global_buffer
      - .actual_access:  read_only
        .address_space:  global
        .offset:         48
        .size:           8
        .value_kind:     global_buffer
      - .actual_access:  read_only
        .address_space:  global
        .offset:         56
        .size:           8
        .value_kind:     global_buffer
      - .actual_access:  read_only
        .address_space:  global
        .offset:         64
        .size:           8
        .value_kind:     global_buffer
      - .offset:         72
        .size:           8
        .value_kind:     by_value
      - .address_space:  global
        .offset:         80
        .size:           8
        .value_kind:     global_buffer
      - .offset:         88
        .size:           4
        .value_kind:     by_value
      - .offset:         92
        .size:           1
        .value_kind:     by_value
    .group_segment_fixed_size: 0
    .kernarg_segment_align: 8
    .kernarg_segment_size: 96
    .language:       OpenCL C
    .language_version:
      - 2
      - 0
    .max_flat_workgroup_size: 128
    .name:           _ZN9rocsparseL18bsrxmvn_4x4_kernelILj128ELj64EfiifffEEvT3_20rocsparse_direction_NS_24const_host_device_scalarIT1_EES1_PKS1_PKT2_SA_S7_PKT4_PKT5_S5_PT6_21rocsparse_index_base_b
    .private_segment_fixed_size: 0
    .sgpr_count:     26
    .sgpr_spill_count: 0
    .symbol:         _ZN9rocsparseL18bsrxmvn_4x4_kernelILj128ELj64EfiifffEEvT3_20rocsparse_direction_NS_24const_host_device_scalarIT1_EES1_PKS1_PKT2_SA_S7_PKT4_PKT5_S5_PT6_21rocsparse_index_base_b.kd
    .uniform_work_group_size: 1
    .uses_dynamic_stack: false
    .vgpr_count:     108
    .vgpr_spill_count: 0
    .wavefront_size: 64
  - .agpr_count:     0
    .args:
      - .offset:         0
        .size:           4
        .value_kind:     by_value
      - .offset:         4
        .size:           4
        .value_kind:     by_value
      - .offset:         8
        .size:           8
        .value_kind:     by_value
      - .offset:         16
        .size:           4
        .value_kind:     by_value
      - .actual_access:  read_only
        .address_space:  global
        .offset:         24
        .size:           8
        .value_kind:     global_buffer
      - .actual_access:  read_only
        .address_space:  global
        .offset:         32
        .size:           8
        .value_kind:     global_buffer
      - .actual_access:  read_only
        .address_space:  global
        .offset:         40
        .size:           8
        .value_kind:     global_buffer
      - .actual_access:  read_only
        .address_space:  global
        .offset:         48
        .size:           8
        .value_kind:     global_buffer
      - .actual_access:  read_only
        .address_space:  global
        .offset:         56
        .size:           8
        .value_kind:     global_buffer
      - .actual_access:  read_only
        .address_space:  global
        .offset:         64
        .size:           8
        .value_kind:     global_buffer
      - .offset:         72
        .size:           8
        .value_kind:     by_value
      - .address_space:  global
        .offset:         80
        .size:           8
        .value_kind:     global_buffer
      - .offset:         88
        .size:           4
        .value_kind:     by_value
      - .offset:         92
        .size:           1
        .value_kind:     by_value
    .group_segment_fixed_size: 0
    .kernarg_segment_align: 8
    .kernarg_segment_size: 96
    .language:       OpenCL C
    .language_version:
      - 2
      - 0
    .max_flat_workgroup_size: 128
    .name:           _ZN9rocsparseL18bsrxmvn_4x4_kernelILj128ELj4EdiidddEEvT3_20rocsparse_direction_NS_24const_host_device_scalarIT1_EES1_PKS1_PKT2_SA_S7_PKT4_PKT5_S5_PT6_21rocsparse_index_base_b
    .private_segment_fixed_size: 0
    .sgpr_count:     22
    .sgpr_spill_count: 0
    .symbol:         _ZN9rocsparseL18bsrxmvn_4x4_kernelILj128ELj4EdiidddEEvT3_20rocsparse_direction_NS_24const_host_device_scalarIT1_EES1_PKS1_PKT2_SA_S7_PKT4_PKT5_S5_PT6_21rocsparse_index_base_b.kd
    .uniform_work_group_size: 1
    .uses_dynamic_stack: false
    .vgpr_count:     104
    .vgpr_spill_count: 0
    .wavefront_size: 64
  - .agpr_count:     0
    .args:
      - .offset:         0
        .size:           4
        .value_kind:     by_value
      - .offset:         4
        .size:           4
        .value_kind:     by_value
      - .offset:         8
        .size:           8
        .value_kind:     by_value
      - .offset:         16
        .size:           4
        .value_kind:     by_value
      - .actual_access:  read_only
        .address_space:  global
        .offset:         24
        .size:           8
        .value_kind:     global_buffer
      - .actual_access:  read_only
        .address_space:  global
        .offset:         32
        .size:           8
        .value_kind:     global_buffer
      - .actual_access:  read_only
        .address_space:  global
        .offset:         40
        .size:           8
        .value_kind:     global_buffer
      - .actual_access:  read_only
        .address_space:  global
        .offset:         48
        .size:           8
        .value_kind:     global_buffer
      - .actual_access:  read_only
        .address_space:  global
        .offset:         56
        .size:           8
        .value_kind:     global_buffer
      - .actual_access:  read_only
        .address_space:  global
        .offset:         64
        .size:           8
        .value_kind:     global_buffer
      - .offset:         72
        .size:           8
        .value_kind:     by_value
      - .address_space:  global
        .offset:         80
        .size:           8
        .value_kind:     global_buffer
      - .offset:         88
        .size:           4
        .value_kind:     by_value
      - .offset:         92
        .size:           1
        .value_kind:     by_value
    .group_segment_fixed_size: 0
    .kernarg_segment_align: 8
    .kernarg_segment_size: 96
    .language:       OpenCL C
    .language_version:
      - 2
      - 0
    .max_flat_workgroup_size: 128
    .name:           _ZN9rocsparseL18bsrxmvn_4x4_kernelILj128ELj8EdiidddEEvT3_20rocsparse_direction_NS_24const_host_device_scalarIT1_EES1_PKS1_PKT2_SA_S7_PKT4_PKT5_S5_PT6_21rocsparse_index_base_b
    .private_segment_fixed_size: 0
    .sgpr_count:     22
    .sgpr_spill_count: 0
    .symbol:         _ZN9rocsparseL18bsrxmvn_4x4_kernelILj128ELj8EdiidddEEvT3_20rocsparse_direction_NS_24const_host_device_scalarIT1_EES1_PKS1_PKT2_SA_S7_PKT4_PKT5_S5_PT6_21rocsparse_index_base_b.kd
    .uniform_work_group_size: 1
    .uses_dynamic_stack: false
    .vgpr_count:     104
    .vgpr_spill_count: 0
    .wavefront_size: 64
  - .agpr_count:     0
    .args:
      - .offset:         0
        .size:           4
        .value_kind:     by_value
      - .offset:         4
        .size:           4
        .value_kind:     by_value
      - .offset:         8
        .size:           8
        .value_kind:     by_value
      - .offset:         16
        .size:           4
        .value_kind:     by_value
      - .actual_access:  read_only
        .address_space:  global
        .offset:         24
        .size:           8
        .value_kind:     global_buffer
      - .actual_access:  read_only
        .address_space:  global
        .offset:         32
        .size:           8
        .value_kind:     global_buffer
      - .actual_access:  read_only
        .address_space:  global
        .offset:         40
        .size:           8
        .value_kind:     global_buffer
      - .actual_access:  read_only
        .address_space:  global
        .offset:         48
        .size:           8
        .value_kind:     global_buffer
      - .actual_access:  read_only
        .address_space:  global
        .offset:         56
        .size:           8
        .value_kind:     global_buffer
      - .actual_access:  read_only
        .address_space:  global
        .offset:         64
        .size:           8
        .value_kind:     global_buffer
      - .offset:         72
        .size:           8
        .value_kind:     by_value
      - .address_space:  global
        .offset:         80
        .size:           8
        .value_kind:     global_buffer
      - .offset:         88
        .size:           4
        .value_kind:     by_value
      - .offset:         92
        .size:           1
        .value_kind:     by_value
    .group_segment_fixed_size: 0
    .kernarg_segment_align: 8
    .kernarg_segment_size: 96
    .language:       OpenCL C
    .language_version:
      - 2
      - 0
    .max_flat_workgroup_size: 128
    .name:           _ZN9rocsparseL18bsrxmvn_4x4_kernelILj128ELj16EdiidddEEvT3_20rocsparse_direction_NS_24const_host_device_scalarIT1_EES1_PKS1_PKT2_SA_S7_PKT4_PKT5_S5_PT6_21rocsparse_index_base_b
    .private_segment_fixed_size: 0
    .sgpr_count:     22
    .sgpr_spill_count: 0
    .symbol:         _ZN9rocsparseL18bsrxmvn_4x4_kernelILj128ELj16EdiidddEEvT3_20rocsparse_direction_NS_24const_host_device_scalarIT1_EES1_PKS1_PKT2_SA_S7_PKT4_PKT5_S5_PT6_21rocsparse_index_base_b.kd
    .uniform_work_group_size: 1
    .uses_dynamic_stack: false
    .vgpr_count:     104
    .vgpr_spill_count: 0
    .wavefront_size: 64
  - .agpr_count:     0
    .args:
      - .offset:         0
        .size:           4
        .value_kind:     by_value
      - .offset:         4
        .size:           4
        .value_kind:     by_value
      - .offset:         8
        .size:           8
        .value_kind:     by_value
      - .offset:         16
        .size:           4
        .value_kind:     by_value
      - .actual_access:  read_only
        .address_space:  global
        .offset:         24
        .size:           8
        .value_kind:     global_buffer
      - .actual_access:  read_only
        .address_space:  global
        .offset:         32
        .size:           8
        .value_kind:     global_buffer
      - .actual_access:  read_only
        .address_space:  global
        .offset:         40
        .size:           8
        .value_kind:     global_buffer
      - .actual_access:  read_only
        .address_space:  global
        .offset:         48
        .size:           8
        .value_kind:     global_buffer
      - .actual_access:  read_only
        .address_space:  global
        .offset:         56
        .size:           8
        .value_kind:     global_buffer
      - .actual_access:  read_only
        .address_space:  global
        .offset:         64
        .size:           8
        .value_kind:     global_buffer
      - .offset:         72
        .size:           8
        .value_kind:     by_value
      - .address_space:  global
        .offset:         80
        .size:           8
        .value_kind:     global_buffer
      - .offset:         88
        .size:           4
        .value_kind:     by_value
      - .offset:         92
        .size:           1
        .value_kind:     by_value
    .group_segment_fixed_size: 0
    .kernarg_segment_align: 8
    .kernarg_segment_size: 96
    .language:       OpenCL C
    .language_version:
      - 2
      - 0
    .max_flat_workgroup_size: 128
    .name:           _ZN9rocsparseL18bsrxmvn_4x4_kernelILj128ELj32EdiidddEEvT3_20rocsparse_direction_NS_24const_host_device_scalarIT1_EES1_PKS1_PKT2_SA_S7_PKT4_PKT5_S5_PT6_21rocsparse_index_base_b
    .private_segment_fixed_size: 0
    .sgpr_count:     26
    .sgpr_spill_count: 0
    .symbol:         _ZN9rocsparseL18bsrxmvn_4x4_kernelILj128ELj32EdiidddEEvT3_20rocsparse_direction_NS_24const_host_device_scalarIT1_EES1_PKS1_PKT2_SA_S7_PKT4_PKT5_S5_PT6_21rocsparse_index_base_b.kd
    .uniform_work_group_size: 1
    .uses_dynamic_stack: false
    .vgpr_count:     106
    .vgpr_spill_count: 0
    .wavefront_size: 64
  - .agpr_count:     0
    .args:
      - .offset:         0
        .size:           4
        .value_kind:     by_value
      - .offset:         4
        .size:           4
        .value_kind:     by_value
      - .offset:         8
        .size:           8
        .value_kind:     by_value
      - .offset:         16
        .size:           4
        .value_kind:     by_value
      - .actual_access:  read_only
        .address_space:  global
        .offset:         24
        .size:           8
        .value_kind:     global_buffer
      - .actual_access:  read_only
        .address_space:  global
        .offset:         32
        .size:           8
        .value_kind:     global_buffer
      - .actual_access:  read_only
        .address_space:  global
        .offset:         40
        .size:           8
        .value_kind:     global_buffer
      - .actual_access:  read_only
        .address_space:  global
        .offset:         48
        .size:           8
        .value_kind:     global_buffer
      - .actual_access:  read_only
        .address_space:  global
        .offset:         56
        .size:           8
        .value_kind:     global_buffer
      - .actual_access:  read_only
        .address_space:  global
        .offset:         64
        .size:           8
        .value_kind:     global_buffer
      - .offset:         72
        .size:           8
        .value_kind:     by_value
      - .address_space:  global
        .offset:         80
        .size:           8
        .value_kind:     global_buffer
      - .offset:         88
        .size:           4
        .value_kind:     by_value
      - .offset:         92
        .size:           1
        .value_kind:     by_value
    .group_segment_fixed_size: 0
    .kernarg_segment_align: 8
    .kernarg_segment_size: 96
    .language:       OpenCL C
    .language_version:
      - 2
      - 0
    .max_flat_workgroup_size: 128
    .name:           _ZN9rocsparseL18bsrxmvn_4x4_kernelILj128ELj64EdiidddEEvT3_20rocsparse_direction_NS_24const_host_device_scalarIT1_EES1_PKS1_PKT2_SA_S7_PKT4_PKT5_S5_PT6_21rocsparse_index_base_b
    .private_segment_fixed_size: 0
    .sgpr_count:     24
    .sgpr_spill_count: 0
    .symbol:         _ZN9rocsparseL18bsrxmvn_4x4_kernelILj128ELj64EdiidddEEvT3_20rocsparse_direction_NS_24const_host_device_scalarIT1_EES1_PKS1_PKT2_SA_S7_PKT4_PKT5_S5_PT6_21rocsparse_index_base_b.kd
    .uniform_work_group_size: 1
    .uses_dynamic_stack: false
    .vgpr_count:     106
    .vgpr_spill_count: 0
    .wavefront_size: 64
  - .agpr_count:     0
    .args:
      - .offset:         0
        .size:           4
        .value_kind:     by_value
      - .offset:         4
        .size:           4
        .value_kind:     by_value
      - .offset:         8
        .size:           8
        .value_kind:     by_value
      - .offset:         16
        .size:           4
        .value_kind:     by_value
      - .actual_access:  read_only
        .address_space:  global
        .offset:         24
        .size:           8
        .value_kind:     global_buffer
      - .actual_access:  read_only
        .address_space:  global
        .offset:         32
        .size:           8
        .value_kind:     global_buffer
      - .actual_access:  read_only
        .address_space:  global
        .offset:         40
        .size:           8
        .value_kind:     global_buffer
      - .actual_access:  read_only
        .address_space:  global
        .offset:         48
        .size:           8
        .value_kind:     global_buffer
      - .actual_access:  read_only
        .address_space:  global
        .offset:         56
        .size:           8
        .value_kind:     global_buffer
      - .actual_access:  read_only
        .address_space:  global
        .offset:         64
        .size:           8
        .value_kind:     global_buffer
      - .offset:         72
        .size:           8
        .value_kind:     by_value
      - .address_space:  global
        .offset:         80
        .size:           8
        .value_kind:     global_buffer
      - .offset:         88
        .size:           4
        .value_kind:     by_value
      - .offset:         92
        .size:           1
        .value_kind:     by_value
    .group_segment_fixed_size: 0
    .kernarg_segment_align: 8
    .kernarg_segment_size: 96
    .language:       OpenCL C
    .language_version:
      - 2
      - 0
    .max_flat_workgroup_size: 128
    .name:           _ZN9rocsparseL18bsrxmvn_4x4_kernelILj128ELj4E21rocsparse_complex_numIfEiiS2_S2_S2_EEvT3_20rocsparse_direction_NS_24const_host_device_scalarIT1_EES3_PKS3_PKT2_SC_S9_PKT4_PKT5_S7_PT6_21rocsparse_index_base_b
    .private_segment_fixed_size: 0
    .sgpr_count:     22
    .sgpr_spill_count: 0
    .symbol:         _ZN9rocsparseL18bsrxmvn_4x4_kernelILj128ELj4E21rocsparse_complex_numIfEiiS2_S2_S2_EEvT3_20rocsparse_direction_NS_24const_host_device_scalarIT1_EES3_PKS3_PKT2_SC_S9_PKT4_PKT5_S7_PT6_21rocsparse_index_base_b.kd
    .uniform_work_group_size: 1
    .uses_dynamic_stack: false
    .vgpr_count:     104
    .vgpr_spill_count: 0
    .wavefront_size: 64
  - .agpr_count:     0
    .args:
      - .offset:         0
        .size:           4
        .value_kind:     by_value
      - .offset:         4
        .size:           4
        .value_kind:     by_value
      - .offset:         8
        .size:           8
        .value_kind:     by_value
      - .offset:         16
        .size:           4
        .value_kind:     by_value
      - .actual_access:  read_only
        .address_space:  global
        .offset:         24
        .size:           8
        .value_kind:     global_buffer
      - .actual_access:  read_only
        .address_space:  global
        .offset:         32
        .size:           8
        .value_kind:     global_buffer
      - .actual_access:  read_only
        .address_space:  global
        .offset:         40
        .size:           8
        .value_kind:     global_buffer
      - .actual_access:  read_only
        .address_space:  global
        .offset:         48
        .size:           8
        .value_kind:     global_buffer
      - .actual_access:  read_only
        .address_space:  global
        .offset:         56
        .size:           8
        .value_kind:     global_buffer
      - .actual_access:  read_only
        .address_space:  global
        .offset:         64
        .size:           8
        .value_kind:     global_buffer
      - .offset:         72
        .size:           8
        .value_kind:     by_value
      - .address_space:  global
        .offset:         80
        .size:           8
        .value_kind:     global_buffer
      - .offset:         88
        .size:           4
        .value_kind:     by_value
      - .offset:         92
        .size:           1
        .value_kind:     by_value
    .group_segment_fixed_size: 0
    .kernarg_segment_align: 8
    .kernarg_segment_size: 96
    .language:       OpenCL C
    .language_version:
      - 2
      - 0
    .max_flat_workgroup_size: 128
    .name:           _ZN9rocsparseL18bsrxmvn_4x4_kernelILj128ELj8E21rocsparse_complex_numIfEiiS2_S2_S2_EEvT3_20rocsparse_direction_NS_24const_host_device_scalarIT1_EES3_PKS3_PKT2_SC_S9_PKT4_PKT5_S7_PT6_21rocsparse_index_base_b
    .private_segment_fixed_size: 0
    .sgpr_count:     22
    .sgpr_spill_count: 0
    .symbol:         _ZN9rocsparseL18bsrxmvn_4x4_kernelILj128ELj8E21rocsparse_complex_numIfEiiS2_S2_S2_EEvT3_20rocsparse_direction_NS_24const_host_device_scalarIT1_EES3_PKS3_PKT2_SC_S9_PKT4_PKT5_S7_PT6_21rocsparse_index_base_b.kd
    .uniform_work_group_size: 1
    .uses_dynamic_stack: false
    .vgpr_count:     104
    .vgpr_spill_count: 0
    .wavefront_size: 64
  - .agpr_count:     0
    .args:
      - .offset:         0
        .size:           4
        .value_kind:     by_value
      - .offset:         4
        .size:           4
        .value_kind:     by_value
      - .offset:         8
        .size:           8
        .value_kind:     by_value
      - .offset:         16
        .size:           4
        .value_kind:     by_value
      - .actual_access:  read_only
        .address_space:  global
        .offset:         24
        .size:           8
        .value_kind:     global_buffer
      - .actual_access:  read_only
        .address_space:  global
        .offset:         32
        .size:           8
        .value_kind:     global_buffer
      - .actual_access:  read_only
        .address_space:  global
        .offset:         40
        .size:           8
        .value_kind:     global_buffer
      - .actual_access:  read_only
        .address_space:  global
        .offset:         48
        .size:           8
        .value_kind:     global_buffer
      - .actual_access:  read_only
        .address_space:  global
        .offset:         56
        .size:           8
        .value_kind:     global_buffer
      - .actual_access:  read_only
        .address_space:  global
        .offset:         64
        .size:           8
        .value_kind:     global_buffer
      - .offset:         72
        .size:           8
        .value_kind:     by_value
      - .address_space:  global
        .offset:         80
        .size:           8
        .value_kind:     global_buffer
      - .offset:         88
        .size:           4
        .value_kind:     by_value
      - .offset:         92
        .size:           1
        .value_kind:     by_value
    .group_segment_fixed_size: 0
    .kernarg_segment_align: 8
    .kernarg_segment_size: 96
    .language:       OpenCL C
    .language_version:
      - 2
      - 0
    .max_flat_workgroup_size: 128
    .name:           _ZN9rocsparseL18bsrxmvn_4x4_kernelILj128ELj16E21rocsparse_complex_numIfEiiS2_S2_S2_EEvT3_20rocsparse_direction_NS_24const_host_device_scalarIT1_EES3_PKS3_PKT2_SC_S9_PKT4_PKT5_S7_PT6_21rocsparse_index_base_b
    .private_segment_fixed_size: 0
    .sgpr_count:     22
    .sgpr_spill_count: 0
    .symbol:         _ZN9rocsparseL18bsrxmvn_4x4_kernelILj128ELj16E21rocsparse_complex_numIfEiiS2_S2_S2_EEvT3_20rocsparse_direction_NS_24const_host_device_scalarIT1_EES3_PKS3_PKT2_SC_S9_PKT4_PKT5_S7_PT6_21rocsparse_index_base_b.kd
    .uniform_work_group_size: 1
    .uses_dynamic_stack: false
    .vgpr_count:     105
    .vgpr_spill_count: 0
    .wavefront_size: 64
  - .agpr_count:     0
    .args:
      - .offset:         0
        .size:           4
        .value_kind:     by_value
      - .offset:         4
        .size:           4
        .value_kind:     by_value
      - .offset:         8
        .size:           8
        .value_kind:     by_value
      - .offset:         16
        .size:           4
        .value_kind:     by_value
      - .actual_access:  read_only
        .address_space:  global
        .offset:         24
        .size:           8
        .value_kind:     global_buffer
      - .actual_access:  read_only
        .address_space:  global
        .offset:         32
        .size:           8
        .value_kind:     global_buffer
      - .actual_access:  read_only
        .address_space:  global
        .offset:         40
        .size:           8
        .value_kind:     global_buffer
      - .actual_access:  read_only
        .address_space:  global
        .offset:         48
        .size:           8
        .value_kind:     global_buffer
      - .actual_access:  read_only
        .address_space:  global
        .offset:         56
        .size:           8
        .value_kind:     global_buffer
      - .actual_access:  read_only
        .address_space:  global
        .offset:         64
        .size:           8
        .value_kind:     global_buffer
      - .offset:         72
        .size:           8
        .value_kind:     by_value
      - .address_space:  global
        .offset:         80
        .size:           8
        .value_kind:     global_buffer
      - .offset:         88
        .size:           4
        .value_kind:     by_value
      - .offset:         92
        .size:           1
        .value_kind:     by_value
    .group_segment_fixed_size: 0
    .kernarg_segment_align: 8
    .kernarg_segment_size: 96
    .language:       OpenCL C
    .language_version:
      - 2
      - 0
    .max_flat_workgroup_size: 128
    .name:           _ZN9rocsparseL18bsrxmvn_4x4_kernelILj128ELj32E21rocsparse_complex_numIfEiiS2_S2_S2_EEvT3_20rocsparse_direction_NS_24const_host_device_scalarIT1_EES3_PKS3_PKT2_SC_S9_PKT4_PKT5_S7_PT6_21rocsparse_index_base_b
    .private_segment_fixed_size: 0
    .sgpr_count:     28
    .sgpr_spill_count: 0
    .symbol:         _ZN9rocsparseL18bsrxmvn_4x4_kernelILj128ELj32E21rocsparse_complex_numIfEiiS2_S2_S2_EEvT3_20rocsparse_direction_NS_24const_host_device_scalarIT1_EES3_PKS3_PKT2_SC_S9_PKT4_PKT5_S7_PT6_21rocsparse_index_base_b.kd
    .uniform_work_group_size: 1
    .uses_dynamic_stack: false
    .vgpr_count:     105
    .vgpr_spill_count: 0
    .wavefront_size: 64
  - .agpr_count:     0
    .args:
      - .offset:         0
        .size:           4
        .value_kind:     by_value
      - .offset:         4
        .size:           4
        .value_kind:     by_value
      - .offset:         8
        .size:           8
        .value_kind:     by_value
      - .offset:         16
        .size:           4
        .value_kind:     by_value
      - .actual_access:  read_only
        .address_space:  global
        .offset:         24
        .size:           8
        .value_kind:     global_buffer
      - .actual_access:  read_only
        .address_space:  global
        .offset:         32
        .size:           8
        .value_kind:     global_buffer
      - .actual_access:  read_only
        .address_space:  global
        .offset:         40
        .size:           8
        .value_kind:     global_buffer
      - .actual_access:  read_only
        .address_space:  global
        .offset:         48
        .size:           8
        .value_kind:     global_buffer
      - .actual_access:  read_only
        .address_space:  global
        .offset:         56
        .size:           8
        .value_kind:     global_buffer
      - .actual_access:  read_only
        .address_space:  global
        .offset:         64
        .size:           8
        .value_kind:     global_buffer
      - .offset:         72
        .size:           8
        .value_kind:     by_value
      - .address_space:  global
        .offset:         80
        .size:           8
        .value_kind:     global_buffer
      - .offset:         88
        .size:           4
        .value_kind:     by_value
      - .offset:         92
        .size:           1
        .value_kind:     by_value
    .group_segment_fixed_size: 0
    .kernarg_segment_align: 8
    .kernarg_segment_size: 96
    .language:       OpenCL C
    .language_version:
      - 2
      - 0
    .max_flat_workgroup_size: 128
    .name:           _ZN9rocsparseL18bsrxmvn_4x4_kernelILj128ELj64E21rocsparse_complex_numIfEiiS2_S2_S2_EEvT3_20rocsparse_direction_NS_24const_host_device_scalarIT1_EES3_PKS3_PKT2_SC_S9_PKT4_PKT5_S7_PT6_21rocsparse_index_base_b
    .private_segment_fixed_size: 0
    .sgpr_count:     28
    .sgpr_spill_count: 0
    .symbol:         _ZN9rocsparseL18bsrxmvn_4x4_kernelILj128ELj64E21rocsparse_complex_numIfEiiS2_S2_S2_EEvT3_20rocsparse_direction_NS_24const_host_device_scalarIT1_EES3_PKS3_PKT2_SC_S9_PKT4_PKT5_S7_PT6_21rocsparse_index_base_b.kd
    .uniform_work_group_size: 1
    .uses_dynamic_stack: false
    .vgpr_count:     104
    .vgpr_spill_count: 0
    .wavefront_size: 64
  - .agpr_count:     0
    .args:
      - .offset:         0
        .size:           4
        .value_kind:     by_value
      - .offset:         4
        .size:           4
        .value_kind:     by_value
      - .offset:         8
        .size:           16
        .value_kind:     by_value
      - .offset:         24
        .size:           4
        .value_kind:     by_value
      - .actual_access:  read_only
        .address_space:  global
        .offset:         32
        .size:           8
        .value_kind:     global_buffer
      - .actual_access:  read_only
        .address_space:  global
        .offset:         40
        .size:           8
        .value_kind:     global_buffer
      - .actual_access:  read_only
        .address_space:  global
        .offset:         48
        .size:           8
        .value_kind:     global_buffer
      - .actual_access:  read_only
        .address_space:  global
        .offset:         56
        .size:           8
        .value_kind:     global_buffer
      - .actual_access:  read_only
        .address_space:  global
        .offset:         64
        .size:           8
        .value_kind:     global_buffer
      - .actual_access:  read_only
        .address_space:  global
        .offset:         72
        .size:           8
        .value_kind:     global_buffer
      - .offset:         80
        .size:           16
        .value_kind:     by_value
      - .address_space:  global
        .offset:         96
        .size:           8
        .value_kind:     global_buffer
      - .offset:         104
        .size:           4
        .value_kind:     by_value
      - .offset:         108
        .size:           1
        .value_kind:     by_value
    .group_segment_fixed_size: 2048
    .kernarg_segment_align: 8
    .kernarg_segment_size: 112
    .language:       OpenCL C
    .language_version:
      - 2
      - 0
    .max_flat_workgroup_size: 128
    .name:           _ZN9rocsparseL18bsrxmvn_4x4_kernelILj128ELj4E21rocsparse_complex_numIdEiiS2_S2_S2_EEvT3_20rocsparse_direction_NS_24const_host_device_scalarIT1_EES3_PKS3_PKT2_SC_S9_PKT4_PKT5_S7_PT6_21rocsparse_index_base_b
    .private_segment_fixed_size: 0
    .sgpr_count:     26
    .sgpr_spill_count: 0
    .symbol:         _ZN9rocsparseL18bsrxmvn_4x4_kernelILj128ELj4E21rocsparse_complex_numIdEiiS2_S2_S2_EEvT3_20rocsparse_direction_NS_24const_host_device_scalarIT1_EES3_PKS3_PKT2_SC_S9_PKT4_PKT5_S7_PT6_21rocsparse_index_base_b.kd
    .uniform_work_group_size: 1
    .uses_dynamic_stack: false
    .vgpr_count:     118
    .vgpr_spill_count: 0
    .wavefront_size: 64
  - .agpr_count:     0
    .args:
      - .offset:         0
        .size:           4
        .value_kind:     by_value
      - .offset:         4
        .size:           4
        .value_kind:     by_value
      - .offset:         8
        .size:           16
        .value_kind:     by_value
      - .offset:         24
        .size:           4
        .value_kind:     by_value
      - .actual_access:  read_only
        .address_space:  global
        .offset:         32
        .size:           8
        .value_kind:     global_buffer
      - .actual_access:  read_only
        .address_space:  global
        .offset:         40
        .size:           8
        .value_kind:     global_buffer
      - .actual_access:  read_only
        .address_space:  global
        .offset:         48
        .size:           8
        .value_kind:     global_buffer
      - .actual_access:  read_only
        .address_space:  global
        .offset:         56
        .size:           8
        .value_kind:     global_buffer
      - .actual_access:  read_only
        .address_space:  global
        .offset:         64
        .size:           8
        .value_kind:     global_buffer
      - .actual_access:  read_only
        .address_space:  global
        .offset:         72
        .size:           8
        .value_kind:     global_buffer
      - .offset:         80
        .size:           16
        .value_kind:     by_value
      - .address_space:  global
        .offset:         96
        .size:           8
        .value_kind:     global_buffer
      - .offset:         104
        .size:           4
        .value_kind:     by_value
      - .offset:         108
        .size:           1
        .value_kind:     by_value
    .group_segment_fixed_size: 2048
    .kernarg_segment_align: 8
    .kernarg_segment_size: 112
    .language:       OpenCL C
    .language_version:
      - 2
      - 0
    .max_flat_workgroup_size: 128
    .name:           _ZN9rocsparseL18bsrxmvn_4x4_kernelILj128ELj8E21rocsparse_complex_numIdEiiS2_S2_S2_EEvT3_20rocsparse_direction_NS_24const_host_device_scalarIT1_EES3_PKS3_PKT2_SC_S9_PKT4_PKT5_S7_PT6_21rocsparse_index_base_b
    .private_segment_fixed_size: 0
    .sgpr_count:     26
    .sgpr_spill_count: 0
    .symbol:         _ZN9rocsparseL18bsrxmvn_4x4_kernelILj128ELj8E21rocsparse_complex_numIdEiiS2_S2_S2_EEvT3_20rocsparse_direction_NS_24const_host_device_scalarIT1_EES3_PKS3_PKT2_SC_S9_PKT4_PKT5_S7_PT6_21rocsparse_index_base_b.kd
    .uniform_work_group_size: 1
    .uses_dynamic_stack: false
    .vgpr_count:     118
    .vgpr_spill_count: 0
    .wavefront_size: 64
  - .agpr_count:     0
    .args:
      - .offset:         0
        .size:           4
        .value_kind:     by_value
      - .offset:         4
        .size:           4
        .value_kind:     by_value
      - .offset:         8
        .size:           16
        .value_kind:     by_value
      - .offset:         24
        .size:           4
        .value_kind:     by_value
      - .actual_access:  read_only
        .address_space:  global
        .offset:         32
        .size:           8
        .value_kind:     global_buffer
      - .actual_access:  read_only
        .address_space:  global
        .offset:         40
        .size:           8
        .value_kind:     global_buffer
      - .actual_access:  read_only
        .address_space:  global
        .offset:         48
        .size:           8
        .value_kind:     global_buffer
      - .actual_access:  read_only
        .address_space:  global
        .offset:         56
        .size:           8
        .value_kind:     global_buffer
      - .actual_access:  read_only
        .address_space:  global
        .offset:         64
        .size:           8
        .value_kind:     global_buffer
      - .actual_access:  read_only
        .address_space:  global
        .offset:         72
        .size:           8
        .value_kind:     global_buffer
      - .offset:         80
        .size:           16
        .value_kind:     by_value
      - .address_space:  global
        .offset:         96
        .size:           8
        .value_kind:     global_buffer
      - .offset:         104
        .size:           4
        .value_kind:     by_value
      - .offset:         108
        .size:           1
        .value_kind:     by_value
    .group_segment_fixed_size: 2048
    .kernarg_segment_align: 8
    .kernarg_segment_size: 112
    .language:       OpenCL C
    .language_version:
      - 2
      - 0
    .max_flat_workgroup_size: 128
    .name:           _ZN9rocsparseL18bsrxmvn_4x4_kernelILj128ELj16E21rocsparse_complex_numIdEiiS2_S2_S2_EEvT3_20rocsparse_direction_NS_24const_host_device_scalarIT1_EES3_PKS3_PKT2_SC_S9_PKT4_PKT5_S7_PT6_21rocsparse_index_base_b
    .private_segment_fixed_size: 0
    .sgpr_count:     26
    .sgpr_spill_count: 0
    .symbol:         _ZN9rocsparseL18bsrxmvn_4x4_kernelILj128ELj16E21rocsparse_complex_numIdEiiS2_S2_S2_EEvT3_20rocsparse_direction_NS_24const_host_device_scalarIT1_EES3_PKS3_PKT2_SC_S9_PKT4_PKT5_S7_PT6_21rocsparse_index_base_b.kd
    .uniform_work_group_size: 1
    .uses_dynamic_stack: false
    .vgpr_count:     118
    .vgpr_spill_count: 0
    .wavefront_size: 64
  - .agpr_count:     0
    .args:
      - .offset:         0
        .size:           4
        .value_kind:     by_value
      - .offset:         4
        .size:           4
        .value_kind:     by_value
      - .offset:         8
        .size:           16
        .value_kind:     by_value
      - .offset:         24
        .size:           4
        .value_kind:     by_value
      - .actual_access:  read_only
        .address_space:  global
        .offset:         32
        .size:           8
        .value_kind:     global_buffer
      - .actual_access:  read_only
        .address_space:  global
        .offset:         40
        .size:           8
        .value_kind:     global_buffer
      - .actual_access:  read_only
        .address_space:  global
        .offset:         48
        .size:           8
        .value_kind:     global_buffer
      - .actual_access:  read_only
        .address_space:  global
        .offset:         56
        .size:           8
        .value_kind:     global_buffer
      - .actual_access:  read_only
        .address_space:  global
        .offset:         64
        .size:           8
        .value_kind:     global_buffer
      - .actual_access:  read_only
        .address_space:  global
        .offset:         72
        .size:           8
        .value_kind:     global_buffer
      - .offset:         80
        .size:           16
        .value_kind:     by_value
      - .address_space:  global
        .offset:         96
        .size:           8
        .value_kind:     global_buffer
      - .offset:         104
        .size:           4
        .value_kind:     by_value
      - .offset:         108
        .size:           1
        .value_kind:     by_value
    .group_segment_fixed_size: 2048
    .kernarg_segment_align: 8
    .kernarg_segment_size: 112
    .language:       OpenCL C
    .language_version:
      - 2
      - 0
    .max_flat_workgroup_size: 128
    .name:           _ZN9rocsparseL18bsrxmvn_4x4_kernelILj128ELj32E21rocsparse_complex_numIdEiiS2_S2_S2_EEvT3_20rocsparse_direction_NS_24const_host_device_scalarIT1_EES3_PKS3_PKT2_SC_S9_PKT4_PKT5_S7_PT6_21rocsparse_index_base_b
    .private_segment_fixed_size: 0
    .sgpr_count:     26
    .sgpr_spill_count: 0
    .symbol:         _ZN9rocsparseL18bsrxmvn_4x4_kernelILj128ELj32E21rocsparse_complex_numIdEiiS2_S2_S2_EEvT3_20rocsparse_direction_NS_24const_host_device_scalarIT1_EES3_PKS3_PKT2_SC_S9_PKT4_PKT5_S7_PT6_21rocsparse_index_base_b.kd
    .uniform_work_group_size: 1
    .uses_dynamic_stack: false
    .vgpr_count:     118
    .vgpr_spill_count: 0
    .wavefront_size: 64
  - .agpr_count:     0
    .args:
      - .offset:         0
        .size:           4
        .value_kind:     by_value
      - .offset:         4
        .size:           4
        .value_kind:     by_value
      - .offset:         8
        .size:           16
        .value_kind:     by_value
      - .offset:         24
        .size:           4
        .value_kind:     by_value
      - .actual_access:  read_only
        .address_space:  global
        .offset:         32
        .size:           8
        .value_kind:     global_buffer
      - .actual_access:  read_only
        .address_space:  global
        .offset:         40
        .size:           8
        .value_kind:     global_buffer
      - .actual_access:  read_only
        .address_space:  global
        .offset:         48
        .size:           8
        .value_kind:     global_buffer
      - .actual_access:  read_only
        .address_space:  global
        .offset:         56
        .size:           8
        .value_kind:     global_buffer
      - .actual_access:  read_only
        .address_space:  global
        .offset:         64
        .size:           8
        .value_kind:     global_buffer
      - .actual_access:  read_only
        .address_space:  global
        .offset:         72
        .size:           8
        .value_kind:     global_buffer
      - .offset:         80
        .size:           16
        .value_kind:     by_value
      - .address_space:  global
        .offset:         96
        .size:           8
        .value_kind:     global_buffer
      - .offset:         104
        .size:           4
        .value_kind:     by_value
      - .offset:         108
        .size:           1
        .value_kind:     by_value
    .group_segment_fixed_size: 2048
    .kernarg_segment_align: 8
    .kernarg_segment_size: 112
    .language:       OpenCL C
    .language_version:
      - 2
      - 0
    .max_flat_workgroup_size: 128
    .name:           _ZN9rocsparseL18bsrxmvn_4x4_kernelILj128ELj64E21rocsparse_complex_numIdEiiS2_S2_S2_EEvT3_20rocsparse_direction_NS_24const_host_device_scalarIT1_EES3_PKS3_PKT2_SC_S9_PKT4_PKT5_S7_PT6_21rocsparse_index_base_b
    .private_segment_fixed_size: 0
    .sgpr_count:     26
    .sgpr_spill_count: 0
    .symbol:         _ZN9rocsparseL18bsrxmvn_4x4_kernelILj128ELj64E21rocsparse_complex_numIdEiiS2_S2_S2_EEvT3_20rocsparse_direction_NS_24const_host_device_scalarIT1_EES3_PKS3_PKT2_SC_S9_PKT4_PKT5_S7_PT6_21rocsparse_index_base_b.kd
    .uniform_work_group_size: 1
    .uses_dynamic_stack: false
    .vgpr_count:     118
    .vgpr_spill_count: 0
    .wavefront_size: 64
  - .agpr_count:     0
    .args:
      - .offset:         0
        .size:           4
        .value_kind:     by_value
      - .offset:         4
        .size:           4
        .value_kind:     by_value
      - .offset:         8
        .size:           8
        .value_kind:     by_value
      - .offset:         16
        .size:           4
        .value_kind:     by_value
      - .actual_access:  read_only
        .address_space:  global
        .offset:         24
        .size:           8
        .value_kind:     global_buffer
      - .actual_access:  read_only
        .address_space:  global
        .offset:         32
        .size:           8
        .value_kind:     global_buffer
      - .actual_access:  read_only
        .address_space:  global
        .offset:         40
        .size:           8
        .value_kind:     global_buffer
      - .actual_access:  read_only
        .address_space:  global
        .offset:         48
        .size:           8
        .value_kind:     global_buffer
      - .actual_access:  read_only
        .address_space:  global
        .offset:         56
        .size:           8
        .value_kind:     global_buffer
      - .actual_access:  read_only
        .address_space:  global
        .offset:         64
        .size:           8
        .value_kind:     global_buffer
      - .offset:         72
        .size:           8
        .value_kind:     by_value
      - .address_space:  global
        .offset:         80
        .size:           8
        .value_kind:     global_buffer
      - .offset:         88
        .size:           4
        .value_kind:     by_value
      - .offset:         92
        .size:           1
        .value_kind:     by_value
    .group_segment_fixed_size: 0
    .kernarg_segment_align: 8
    .kernarg_segment_size: 96
    .language:       OpenCL C
    .language_version:
      - 2
      - 0
    .max_flat_workgroup_size: 128
    .name:           _ZN9rocsparseL18bsrxmvn_4x4_kernelILj128ELj4EflifffEEvT3_20rocsparse_direction_NS_24const_host_device_scalarIT1_EES1_PKS1_PKT2_SA_S7_PKT4_PKT5_S5_PT6_21rocsparse_index_base_b
    .private_segment_fixed_size: 0
    .sgpr_count:     26
    .sgpr_spill_count: 0
    .symbol:         _ZN9rocsparseL18bsrxmvn_4x4_kernelILj128ELj4EflifffEEvT3_20rocsparse_direction_NS_24const_host_device_scalarIT1_EES1_PKS1_PKT2_SA_S7_PKT4_PKT5_S5_PT6_21rocsparse_index_base_b.kd
    .uniform_work_group_size: 1
    .uses_dynamic_stack: false
    .vgpr_count:     112
    .vgpr_spill_count: 0
    .wavefront_size: 64
  - .agpr_count:     0
    .args:
      - .offset:         0
        .size:           4
        .value_kind:     by_value
      - .offset:         4
        .size:           4
        .value_kind:     by_value
      - .offset:         8
        .size:           8
        .value_kind:     by_value
      - .offset:         16
        .size:           4
        .value_kind:     by_value
      - .actual_access:  read_only
        .address_space:  global
        .offset:         24
        .size:           8
        .value_kind:     global_buffer
      - .actual_access:  read_only
        .address_space:  global
        .offset:         32
        .size:           8
        .value_kind:     global_buffer
      - .actual_access:  read_only
        .address_space:  global
        .offset:         40
        .size:           8
        .value_kind:     global_buffer
      - .actual_access:  read_only
        .address_space:  global
        .offset:         48
        .size:           8
        .value_kind:     global_buffer
      - .actual_access:  read_only
        .address_space:  global
        .offset:         56
        .size:           8
        .value_kind:     global_buffer
      - .actual_access:  read_only
        .address_space:  global
        .offset:         64
        .size:           8
        .value_kind:     global_buffer
      - .offset:         72
        .size:           8
        .value_kind:     by_value
      - .address_space:  global
        .offset:         80
        .size:           8
        .value_kind:     global_buffer
      - .offset:         88
        .size:           4
        .value_kind:     by_value
      - .offset:         92
        .size:           1
        .value_kind:     by_value
    .group_segment_fixed_size: 0
    .kernarg_segment_align: 8
    .kernarg_segment_size: 96
    .language:       OpenCL C
    .language_version:
      - 2
      - 0
    .max_flat_workgroup_size: 128
    .name:           _ZN9rocsparseL18bsrxmvn_4x4_kernelILj128ELj8EflifffEEvT3_20rocsparse_direction_NS_24const_host_device_scalarIT1_EES1_PKS1_PKT2_SA_S7_PKT4_PKT5_S5_PT6_21rocsparse_index_base_b
    .private_segment_fixed_size: 0
    .sgpr_count:     26
    .sgpr_spill_count: 0
    .symbol:         _ZN9rocsparseL18bsrxmvn_4x4_kernelILj128ELj8EflifffEEvT3_20rocsparse_direction_NS_24const_host_device_scalarIT1_EES1_PKS1_PKT2_SA_S7_PKT4_PKT5_S5_PT6_21rocsparse_index_base_b.kd
    .uniform_work_group_size: 1
    .uses_dynamic_stack: false
    .vgpr_count:     112
    .vgpr_spill_count: 0
    .wavefront_size: 64
  - .agpr_count:     0
    .args:
      - .offset:         0
        .size:           4
        .value_kind:     by_value
      - .offset:         4
        .size:           4
        .value_kind:     by_value
      - .offset:         8
        .size:           8
        .value_kind:     by_value
      - .offset:         16
        .size:           4
        .value_kind:     by_value
      - .actual_access:  read_only
        .address_space:  global
        .offset:         24
        .size:           8
        .value_kind:     global_buffer
      - .actual_access:  read_only
        .address_space:  global
        .offset:         32
        .size:           8
        .value_kind:     global_buffer
      - .actual_access:  read_only
        .address_space:  global
        .offset:         40
        .size:           8
        .value_kind:     global_buffer
      - .actual_access:  read_only
        .address_space:  global
        .offset:         48
        .size:           8
        .value_kind:     global_buffer
      - .actual_access:  read_only
        .address_space:  global
        .offset:         56
        .size:           8
        .value_kind:     global_buffer
      - .actual_access:  read_only
        .address_space:  global
        .offset:         64
        .size:           8
        .value_kind:     global_buffer
      - .offset:         72
        .size:           8
        .value_kind:     by_value
      - .address_space:  global
        .offset:         80
        .size:           8
        .value_kind:     global_buffer
      - .offset:         88
        .size:           4
        .value_kind:     by_value
      - .offset:         92
        .size:           1
        .value_kind:     by_value
    .group_segment_fixed_size: 0
    .kernarg_segment_align: 8
    .kernarg_segment_size: 96
    .language:       OpenCL C
    .language_version:
      - 2
      - 0
    .max_flat_workgroup_size: 128
    .name:           _ZN9rocsparseL18bsrxmvn_4x4_kernelILj128ELj16EflifffEEvT3_20rocsparse_direction_NS_24const_host_device_scalarIT1_EES1_PKS1_PKT2_SA_S7_PKT4_PKT5_S5_PT6_21rocsparse_index_base_b
    .private_segment_fixed_size: 0
    .sgpr_count:     26
    .sgpr_spill_count: 0
    .symbol:         _ZN9rocsparseL18bsrxmvn_4x4_kernelILj128ELj16EflifffEEvT3_20rocsparse_direction_NS_24const_host_device_scalarIT1_EES1_PKS1_PKT2_SA_S7_PKT4_PKT5_S5_PT6_21rocsparse_index_base_b.kd
    .uniform_work_group_size: 1
    .uses_dynamic_stack: false
    .vgpr_count:     112
    .vgpr_spill_count: 0
    .wavefront_size: 64
  - .agpr_count:     0
    .args:
      - .offset:         0
        .size:           4
        .value_kind:     by_value
      - .offset:         4
        .size:           4
        .value_kind:     by_value
      - .offset:         8
        .size:           8
        .value_kind:     by_value
      - .offset:         16
        .size:           4
        .value_kind:     by_value
      - .actual_access:  read_only
        .address_space:  global
        .offset:         24
        .size:           8
        .value_kind:     global_buffer
      - .actual_access:  read_only
        .address_space:  global
        .offset:         32
        .size:           8
        .value_kind:     global_buffer
      - .actual_access:  read_only
        .address_space:  global
        .offset:         40
        .size:           8
        .value_kind:     global_buffer
      - .actual_access:  read_only
        .address_space:  global
        .offset:         48
        .size:           8
        .value_kind:     global_buffer
      - .actual_access:  read_only
        .address_space:  global
        .offset:         56
        .size:           8
        .value_kind:     global_buffer
      - .actual_access:  read_only
        .address_space:  global
        .offset:         64
        .size:           8
        .value_kind:     global_buffer
      - .offset:         72
        .size:           8
        .value_kind:     by_value
      - .address_space:  global
        .offset:         80
        .size:           8
        .value_kind:     global_buffer
      - .offset:         88
        .size:           4
        .value_kind:     by_value
      - .offset:         92
        .size:           1
        .value_kind:     by_value
    .group_segment_fixed_size: 0
    .kernarg_segment_align: 8
    .kernarg_segment_size: 96
    .language:       OpenCL C
    .language_version:
      - 2
      - 0
    .max_flat_workgroup_size: 128
    .name:           _ZN9rocsparseL18bsrxmvn_4x4_kernelILj128ELj32EflifffEEvT3_20rocsparse_direction_NS_24const_host_device_scalarIT1_EES1_PKS1_PKT2_SA_S7_PKT4_PKT5_S5_PT6_21rocsparse_index_base_b
    .private_segment_fixed_size: 0
    .sgpr_count:     28
    .sgpr_spill_count: 0
    .symbol:         _ZN9rocsparseL18bsrxmvn_4x4_kernelILj128ELj32EflifffEEvT3_20rocsparse_direction_NS_24const_host_device_scalarIT1_EES1_PKS1_PKT2_SA_S7_PKT4_PKT5_S5_PT6_21rocsparse_index_base_b.kd
    .uniform_work_group_size: 1
    .uses_dynamic_stack: false
    .vgpr_count:     112
    .vgpr_spill_count: 0
    .wavefront_size: 64
  - .agpr_count:     0
    .args:
      - .offset:         0
        .size:           4
        .value_kind:     by_value
      - .offset:         4
        .size:           4
        .value_kind:     by_value
      - .offset:         8
        .size:           8
        .value_kind:     by_value
      - .offset:         16
        .size:           4
        .value_kind:     by_value
      - .actual_access:  read_only
        .address_space:  global
        .offset:         24
        .size:           8
        .value_kind:     global_buffer
      - .actual_access:  read_only
        .address_space:  global
        .offset:         32
        .size:           8
        .value_kind:     global_buffer
      - .actual_access:  read_only
        .address_space:  global
        .offset:         40
        .size:           8
        .value_kind:     global_buffer
      - .actual_access:  read_only
        .address_space:  global
        .offset:         48
        .size:           8
        .value_kind:     global_buffer
      - .actual_access:  read_only
        .address_space:  global
        .offset:         56
        .size:           8
        .value_kind:     global_buffer
      - .actual_access:  read_only
        .address_space:  global
        .offset:         64
        .size:           8
        .value_kind:     global_buffer
      - .offset:         72
        .size:           8
        .value_kind:     by_value
      - .address_space:  global
        .offset:         80
        .size:           8
        .value_kind:     global_buffer
      - .offset:         88
        .size:           4
        .value_kind:     by_value
      - .offset:         92
        .size:           1
        .value_kind:     by_value
    .group_segment_fixed_size: 0
    .kernarg_segment_align: 8
    .kernarg_segment_size: 96
    .language:       OpenCL C
    .language_version:
      - 2
      - 0
    .max_flat_workgroup_size: 128
    .name:           _ZN9rocsparseL18bsrxmvn_4x4_kernelILj128ELj64EflifffEEvT3_20rocsparse_direction_NS_24const_host_device_scalarIT1_EES1_PKS1_PKT2_SA_S7_PKT4_PKT5_S5_PT6_21rocsparse_index_base_b
    .private_segment_fixed_size: 0
    .sgpr_count:     29
    .sgpr_spill_count: 0
    .symbol:         _ZN9rocsparseL18bsrxmvn_4x4_kernelILj128ELj64EflifffEEvT3_20rocsparse_direction_NS_24const_host_device_scalarIT1_EES1_PKS1_PKT2_SA_S7_PKT4_PKT5_S5_PT6_21rocsparse_index_base_b.kd
    .uniform_work_group_size: 1
    .uses_dynamic_stack: false
    .vgpr_count:     112
    .vgpr_spill_count: 0
    .wavefront_size: 64
  - .agpr_count:     0
    .args:
      - .offset:         0
        .size:           4
        .value_kind:     by_value
      - .offset:         4
        .size:           4
        .value_kind:     by_value
      - .offset:         8
        .size:           8
        .value_kind:     by_value
      - .offset:         16
        .size:           4
        .value_kind:     by_value
      - .actual_access:  read_only
        .address_space:  global
        .offset:         24
        .size:           8
        .value_kind:     global_buffer
      - .actual_access:  read_only
        .address_space:  global
        .offset:         32
        .size:           8
        .value_kind:     global_buffer
      - .actual_access:  read_only
        .address_space:  global
        .offset:         40
        .size:           8
        .value_kind:     global_buffer
      - .actual_access:  read_only
        .address_space:  global
        .offset:         48
        .size:           8
        .value_kind:     global_buffer
      - .actual_access:  read_only
        .address_space:  global
        .offset:         56
        .size:           8
        .value_kind:     global_buffer
      - .actual_access:  read_only
        .address_space:  global
        .offset:         64
        .size:           8
        .value_kind:     global_buffer
      - .offset:         72
        .size:           8
        .value_kind:     by_value
      - .address_space:  global
        .offset:         80
        .size:           8
        .value_kind:     global_buffer
      - .offset:         88
        .size:           4
        .value_kind:     by_value
      - .offset:         92
        .size:           1
        .value_kind:     by_value
    .group_segment_fixed_size: 0
    .kernarg_segment_align: 8
    .kernarg_segment_size: 96
    .language:       OpenCL C
    .language_version:
      - 2
      - 0
    .max_flat_workgroup_size: 128
    .name:           _ZN9rocsparseL18bsrxmvn_4x4_kernelILj128ELj4EdlidddEEvT3_20rocsparse_direction_NS_24const_host_device_scalarIT1_EES1_PKS1_PKT2_SA_S7_PKT4_PKT5_S5_PT6_21rocsparse_index_base_b
    .private_segment_fixed_size: 0
    .sgpr_count:     27
    .sgpr_spill_count: 0
    .symbol:         _ZN9rocsparseL18bsrxmvn_4x4_kernelILj128ELj4EdlidddEEvT3_20rocsparse_direction_NS_24const_host_device_scalarIT1_EES1_PKS1_PKT2_SA_S7_PKT4_PKT5_S5_PT6_21rocsparse_index_base_b.kd
    .uniform_work_group_size: 1
    .uses_dynamic_stack: false
    .vgpr_count:     103
    .vgpr_spill_count: 0
    .wavefront_size: 64
  - .agpr_count:     0
    .args:
      - .offset:         0
        .size:           4
        .value_kind:     by_value
      - .offset:         4
        .size:           4
        .value_kind:     by_value
      - .offset:         8
        .size:           8
        .value_kind:     by_value
      - .offset:         16
        .size:           4
        .value_kind:     by_value
      - .actual_access:  read_only
        .address_space:  global
        .offset:         24
        .size:           8
        .value_kind:     global_buffer
      - .actual_access:  read_only
        .address_space:  global
        .offset:         32
        .size:           8
        .value_kind:     global_buffer
      - .actual_access:  read_only
        .address_space:  global
        .offset:         40
        .size:           8
        .value_kind:     global_buffer
      - .actual_access:  read_only
        .address_space:  global
        .offset:         48
        .size:           8
        .value_kind:     global_buffer
      - .actual_access:  read_only
        .address_space:  global
        .offset:         56
        .size:           8
        .value_kind:     global_buffer
      - .actual_access:  read_only
        .address_space:  global
        .offset:         64
        .size:           8
        .value_kind:     global_buffer
      - .offset:         72
        .size:           8
        .value_kind:     by_value
      - .address_space:  global
        .offset:         80
        .size:           8
        .value_kind:     global_buffer
      - .offset:         88
        .size:           4
        .value_kind:     by_value
      - .offset:         92
        .size:           1
        .value_kind:     by_value
    .group_segment_fixed_size: 0
    .kernarg_segment_align: 8
    .kernarg_segment_size: 96
    .language:       OpenCL C
    .language_version:
      - 2
      - 0
    .max_flat_workgroup_size: 128
    .name:           _ZN9rocsparseL18bsrxmvn_4x4_kernelILj128ELj8EdlidddEEvT3_20rocsparse_direction_NS_24const_host_device_scalarIT1_EES1_PKS1_PKT2_SA_S7_PKT4_PKT5_S5_PT6_21rocsparse_index_base_b
    .private_segment_fixed_size: 0
    .sgpr_count:     25
    .sgpr_spill_count: 0
    .symbol:         _ZN9rocsparseL18bsrxmvn_4x4_kernelILj128ELj8EdlidddEEvT3_20rocsparse_direction_NS_24const_host_device_scalarIT1_EES1_PKS1_PKT2_SA_S7_PKT4_PKT5_S5_PT6_21rocsparse_index_base_b.kd
    .uniform_work_group_size: 1
    .uses_dynamic_stack: false
    .vgpr_count:     103
    .vgpr_spill_count: 0
    .wavefront_size: 64
  - .agpr_count:     0
    .args:
      - .offset:         0
        .size:           4
        .value_kind:     by_value
      - .offset:         4
        .size:           4
        .value_kind:     by_value
      - .offset:         8
        .size:           8
        .value_kind:     by_value
      - .offset:         16
        .size:           4
        .value_kind:     by_value
      - .actual_access:  read_only
        .address_space:  global
        .offset:         24
        .size:           8
        .value_kind:     global_buffer
      - .actual_access:  read_only
        .address_space:  global
        .offset:         32
        .size:           8
        .value_kind:     global_buffer
      - .actual_access:  read_only
        .address_space:  global
        .offset:         40
        .size:           8
        .value_kind:     global_buffer
      - .actual_access:  read_only
        .address_space:  global
        .offset:         48
        .size:           8
        .value_kind:     global_buffer
      - .actual_access:  read_only
        .address_space:  global
        .offset:         56
        .size:           8
        .value_kind:     global_buffer
      - .actual_access:  read_only
        .address_space:  global
        .offset:         64
        .size:           8
        .value_kind:     global_buffer
      - .offset:         72
        .size:           8
        .value_kind:     by_value
      - .address_space:  global
        .offset:         80
        .size:           8
        .value_kind:     global_buffer
      - .offset:         88
        .size:           4
        .value_kind:     by_value
      - .offset:         92
        .size:           1
        .value_kind:     by_value
    .group_segment_fixed_size: 0
    .kernarg_segment_align: 8
    .kernarg_segment_size: 96
    .language:       OpenCL C
    .language_version:
      - 2
      - 0
    .max_flat_workgroup_size: 128
    .name:           _ZN9rocsparseL18bsrxmvn_4x4_kernelILj128ELj16EdlidddEEvT3_20rocsparse_direction_NS_24const_host_device_scalarIT1_EES1_PKS1_PKT2_SA_S7_PKT4_PKT5_S5_PT6_21rocsparse_index_base_b
    .private_segment_fixed_size: 0
    .sgpr_count:     27
    .sgpr_spill_count: 0
    .symbol:         _ZN9rocsparseL18bsrxmvn_4x4_kernelILj128ELj16EdlidddEEvT3_20rocsparse_direction_NS_24const_host_device_scalarIT1_EES1_PKS1_PKT2_SA_S7_PKT4_PKT5_S5_PT6_21rocsparse_index_base_b.kd
    .uniform_work_group_size: 1
    .uses_dynamic_stack: false
    .vgpr_count:     104
    .vgpr_spill_count: 0
    .wavefront_size: 64
  - .agpr_count:     0
    .args:
      - .offset:         0
        .size:           4
        .value_kind:     by_value
      - .offset:         4
        .size:           4
        .value_kind:     by_value
      - .offset:         8
        .size:           8
        .value_kind:     by_value
      - .offset:         16
        .size:           4
        .value_kind:     by_value
      - .actual_access:  read_only
        .address_space:  global
        .offset:         24
        .size:           8
        .value_kind:     global_buffer
      - .actual_access:  read_only
        .address_space:  global
        .offset:         32
        .size:           8
        .value_kind:     global_buffer
      - .actual_access:  read_only
        .address_space:  global
        .offset:         40
        .size:           8
        .value_kind:     global_buffer
      - .actual_access:  read_only
        .address_space:  global
        .offset:         48
        .size:           8
        .value_kind:     global_buffer
      - .actual_access:  read_only
        .address_space:  global
        .offset:         56
        .size:           8
        .value_kind:     global_buffer
      - .actual_access:  read_only
        .address_space:  global
        .offset:         64
        .size:           8
        .value_kind:     global_buffer
      - .offset:         72
        .size:           8
        .value_kind:     by_value
      - .address_space:  global
        .offset:         80
        .size:           8
        .value_kind:     global_buffer
      - .offset:         88
        .size:           4
        .value_kind:     by_value
      - .offset:         92
        .size:           1
        .value_kind:     by_value
    .group_segment_fixed_size: 0
    .kernarg_segment_align: 8
    .kernarg_segment_size: 96
    .language:       OpenCL C
    .language_version:
      - 2
      - 0
    .max_flat_workgroup_size: 128
    .name:           _ZN9rocsparseL18bsrxmvn_4x4_kernelILj128ELj32EdlidddEEvT3_20rocsparse_direction_NS_24const_host_device_scalarIT1_EES1_PKS1_PKT2_SA_S7_PKT4_PKT5_S5_PT6_21rocsparse_index_base_b
    .private_segment_fixed_size: 0
    .sgpr_count:     29
    .sgpr_spill_count: 0
    .symbol:         _ZN9rocsparseL18bsrxmvn_4x4_kernelILj128ELj32EdlidddEEvT3_20rocsparse_direction_NS_24const_host_device_scalarIT1_EES1_PKS1_PKT2_SA_S7_PKT4_PKT5_S5_PT6_21rocsparse_index_base_b.kd
    .uniform_work_group_size: 1
    .uses_dynamic_stack: false
    .vgpr_count:     108
    .vgpr_spill_count: 0
    .wavefront_size: 64
  - .agpr_count:     0
    .args:
      - .offset:         0
        .size:           4
        .value_kind:     by_value
      - .offset:         4
        .size:           4
        .value_kind:     by_value
      - .offset:         8
        .size:           8
        .value_kind:     by_value
      - .offset:         16
        .size:           4
        .value_kind:     by_value
      - .actual_access:  read_only
        .address_space:  global
        .offset:         24
        .size:           8
        .value_kind:     global_buffer
      - .actual_access:  read_only
        .address_space:  global
        .offset:         32
        .size:           8
        .value_kind:     global_buffer
      - .actual_access:  read_only
        .address_space:  global
        .offset:         40
        .size:           8
        .value_kind:     global_buffer
      - .actual_access:  read_only
        .address_space:  global
        .offset:         48
        .size:           8
        .value_kind:     global_buffer
      - .actual_access:  read_only
        .address_space:  global
        .offset:         56
        .size:           8
        .value_kind:     global_buffer
      - .actual_access:  read_only
        .address_space:  global
        .offset:         64
        .size:           8
        .value_kind:     global_buffer
      - .offset:         72
        .size:           8
        .value_kind:     by_value
      - .address_space:  global
        .offset:         80
        .size:           8
        .value_kind:     global_buffer
      - .offset:         88
        .size:           4
        .value_kind:     by_value
      - .offset:         92
        .size:           1
        .value_kind:     by_value
    .group_segment_fixed_size: 0
    .kernarg_segment_align: 8
    .kernarg_segment_size: 96
    .language:       OpenCL C
    .language_version:
      - 2
      - 0
    .max_flat_workgroup_size: 128
    .name:           _ZN9rocsparseL18bsrxmvn_4x4_kernelILj128ELj64EdlidddEEvT3_20rocsparse_direction_NS_24const_host_device_scalarIT1_EES1_PKS1_PKT2_SA_S7_PKT4_PKT5_S5_PT6_21rocsparse_index_base_b
    .private_segment_fixed_size: 0
    .sgpr_count:     29
    .sgpr_spill_count: 0
    .symbol:         _ZN9rocsparseL18bsrxmvn_4x4_kernelILj128ELj64EdlidddEEvT3_20rocsparse_direction_NS_24const_host_device_scalarIT1_EES1_PKS1_PKT2_SA_S7_PKT4_PKT5_S5_PT6_21rocsparse_index_base_b.kd
    .uniform_work_group_size: 1
    .uses_dynamic_stack: false
    .vgpr_count:     106
    .vgpr_spill_count: 0
    .wavefront_size: 64
  - .agpr_count:     0
    .args:
      - .offset:         0
        .size:           4
        .value_kind:     by_value
      - .offset:         4
        .size:           4
        .value_kind:     by_value
      - .offset:         8
        .size:           8
        .value_kind:     by_value
      - .offset:         16
        .size:           4
        .value_kind:     by_value
      - .actual_access:  read_only
        .address_space:  global
        .offset:         24
        .size:           8
        .value_kind:     global_buffer
      - .actual_access:  read_only
        .address_space:  global
        .offset:         32
        .size:           8
        .value_kind:     global_buffer
      - .actual_access:  read_only
        .address_space:  global
        .offset:         40
        .size:           8
        .value_kind:     global_buffer
      - .actual_access:  read_only
        .address_space:  global
        .offset:         48
        .size:           8
        .value_kind:     global_buffer
      - .actual_access:  read_only
        .address_space:  global
        .offset:         56
        .size:           8
        .value_kind:     global_buffer
      - .actual_access:  read_only
        .address_space:  global
        .offset:         64
        .size:           8
        .value_kind:     global_buffer
      - .offset:         72
        .size:           8
        .value_kind:     by_value
      - .address_space:  global
        .offset:         80
        .size:           8
        .value_kind:     global_buffer
      - .offset:         88
        .size:           4
        .value_kind:     by_value
      - .offset:         92
        .size:           1
        .value_kind:     by_value
    .group_segment_fixed_size: 0
    .kernarg_segment_align: 8
    .kernarg_segment_size: 96
    .language:       OpenCL C
    .language_version:
      - 2
      - 0
    .max_flat_workgroup_size: 128
    .name:           _ZN9rocsparseL18bsrxmvn_4x4_kernelILj128ELj4E21rocsparse_complex_numIfEliS2_S2_S2_EEvT3_20rocsparse_direction_NS_24const_host_device_scalarIT1_EES3_PKS3_PKT2_SC_S9_PKT4_PKT5_S7_PT6_21rocsparse_index_base_b
    .private_segment_fixed_size: 0
    .sgpr_count:     22
    .sgpr_spill_count: 0
    .symbol:         _ZN9rocsparseL18bsrxmvn_4x4_kernelILj128ELj4E21rocsparse_complex_numIfEliS2_S2_S2_EEvT3_20rocsparse_direction_NS_24const_host_device_scalarIT1_EES3_PKS3_PKT2_SC_S9_PKT4_PKT5_S7_PT6_21rocsparse_index_base_b.kd
    .uniform_work_group_size: 1
    .uses_dynamic_stack: false
    .vgpr_count:     101
    .vgpr_spill_count: 0
    .wavefront_size: 64
  - .agpr_count:     0
    .args:
      - .offset:         0
        .size:           4
        .value_kind:     by_value
      - .offset:         4
        .size:           4
        .value_kind:     by_value
      - .offset:         8
        .size:           8
        .value_kind:     by_value
      - .offset:         16
        .size:           4
        .value_kind:     by_value
      - .actual_access:  read_only
        .address_space:  global
        .offset:         24
        .size:           8
        .value_kind:     global_buffer
      - .actual_access:  read_only
        .address_space:  global
        .offset:         32
        .size:           8
        .value_kind:     global_buffer
      - .actual_access:  read_only
        .address_space:  global
        .offset:         40
        .size:           8
        .value_kind:     global_buffer
      - .actual_access:  read_only
        .address_space:  global
        .offset:         48
        .size:           8
        .value_kind:     global_buffer
      - .actual_access:  read_only
        .address_space:  global
        .offset:         56
        .size:           8
        .value_kind:     global_buffer
      - .actual_access:  read_only
        .address_space:  global
        .offset:         64
        .size:           8
        .value_kind:     global_buffer
      - .offset:         72
        .size:           8
        .value_kind:     by_value
      - .address_space:  global
        .offset:         80
        .size:           8
        .value_kind:     global_buffer
      - .offset:         88
        .size:           4
        .value_kind:     by_value
      - .offset:         92
        .size:           1
        .value_kind:     by_value
    .group_segment_fixed_size: 0
    .kernarg_segment_align: 8
    .kernarg_segment_size: 96
    .language:       OpenCL C
    .language_version:
      - 2
      - 0
    .max_flat_workgroup_size: 128
    .name:           _ZN9rocsparseL18bsrxmvn_4x4_kernelILj128ELj8E21rocsparse_complex_numIfEliS2_S2_S2_EEvT3_20rocsparse_direction_NS_24const_host_device_scalarIT1_EES3_PKS3_PKT2_SC_S9_PKT4_PKT5_S7_PT6_21rocsparse_index_base_b
    .private_segment_fixed_size: 0
    .sgpr_count:     22
    .sgpr_spill_count: 0
    .symbol:         _ZN9rocsparseL18bsrxmvn_4x4_kernelILj128ELj8E21rocsparse_complex_numIfEliS2_S2_S2_EEvT3_20rocsparse_direction_NS_24const_host_device_scalarIT1_EES3_PKS3_PKT2_SC_S9_PKT4_PKT5_S7_PT6_21rocsparse_index_base_b.kd
    .uniform_work_group_size: 1
    .uses_dynamic_stack: false
    .vgpr_count:     103
    .vgpr_spill_count: 0
    .wavefront_size: 64
  - .agpr_count:     0
    .args:
      - .offset:         0
        .size:           4
        .value_kind:     by_value
      - .offset:         4
        .size:           4
        .value_kind:     by_value
      - .offset:         8
        .size:           8
        .value_kind:     by_value
      - .offset:         16
        .size:           4
        .value_kind:     by_value
      - .actual_access:  read_only
        .address_space:  global
        .offset:         24
        .size:           8
        .value_kind:     global_buffer
      - .actual_access:  read_only
        .address_space:  global
        .offset:         32
        .size:           8
        .value_kind:     global_buffer
      - .actual_access:  read_only
        .address_space:  global
        .offset:         40
        .size:           8
        .value_kind:     global_buffer
      - .actual_access:  read_only
        .address_space:  global
        .offset:         48
        .size:           8
        .value_kind:     global_buffer
      - .actual_access:  read_only
        .address_space:  global
        .offset:         56
        .size:           8
        .value_kind:     global_buffer
      - .actual_access:  read_only
        .address_space:  global
        .offset:         64
        .size:           8
        .value_kind:     global_buffer
      - .offset:         72
        .size:           8
        .value_kind:     by_value
      - .address_space:  global
        .offset:         80
        .size:           8
        .value_kind:     global_buffer
      - .offset:         88
        .size:           4
        .value_kind:     by_value
      - .offset:         92
        .size:           1
        .value_kind:     by_value
    .group_segment_fixed_size: 0
    .kernarg_segment_align: 8
    .kernarg_segment_size: 96
    .language:       OpenCL C
    .language_version:
      - 2
      - 0
    .max_flat_workgroup_size: 128
    .name:           _ZN9rocsparseL18bsrxmvn_4x4_kernelILj128ELj16E21rocsparse_complex_numIfEliS2_S2_S2_EEvT3_20rocsparse_direction_NS_24const_host_device_scalarIT1_EES3_PKS3_PKT2_SC_S9_PKT4_PKT5_S7_PT6_21rocsparse_index_base_b
    .private_segment_fixed_size: 0
    .sgpr_count:     23
    .sgpr_spill_count: 0
    .symbol:         _ZN9rocsparseL18bsrxmvn_4x4_kernelILj128ELj16E21rocsparse_complex_numIfEliS2_S2_S2_EEvT3_20rocsparse_direction_NS_24const_host_device_scalarIT1_EES3_PKS3_PKT2_SC_S9_PKT4_PKT5_S7_PT6_21rocsparse_index_base_b.kd
    .uniform_work_group_size: 1
    .uses_dynamic_stack: false
    .vgpr_count:     103
    .vgpr_spill_count: 0
    .wavefront_size: 64
  - .agpr_count:     0
    .args:
      - .offset:         0
        .size:           4
        .value_kind:     by_value
      - .offset:         4
        .size:           4
        .value_kind:     by_value
      - .offset:         8
        .size:           8
        .value_kind:     by_value
      - .offset:         16
        .size:           4
        .value_kind:     by_value
      - .actual_access:  read_only
        .address_space:  global
        .offset:         24
        .size:           8
        .value_kind:     global_buffer
      - .actual_access:  read_only
        .address_space:  global
        .offset:         32
        .size:           8
        .value_kind:     global_buffer
      - .actual_access:  read_only
        .address_space:  global
        .offset:         40
        .size:           8
        .value_kind:     global_buffer
      - .actual_access:  read_only
        .address_space:  global
        .offset:         48
        .size:           8
        .value_kind:     global_buffer
      - .actual_access:  read_only
        .address_space:  global
        .offset:         56
        .size:           8
        .value_kind:     global_buffer
      - .actual_access:  read_only
        .address_space:  global
        .offset:         64
        .size:           8
        .value_kind:     global_buffer
      - .offset:         72
        .size:           8
        .value_kind:     by_value
      - .address_space:  global
        .offset:         80
        .size:           8
        .value_kind:     global_buffer
      - .offset:         88
        .size:           4
        .value_kind:     by_value
      - .offset:         92
        .size:           1
        .value_kind:     by_value
    .group_segment_fixed_size: 0
    .kernarg_segment_align: 8
    .kernarg_segment_size: 96
    .language:       OpenCL C
    .language_version:
      - 2
      - 0
    .max_flat_workgroup_size: 128
    .name:           _ZN9rocsparseL18bsrxmvn_4x4_kernelILj128ELj32E21rocsparse_complex_numIfEliS2_S2_S2_EEvT3_20rocsparse_direction_NS_24const_host_device_scalarIT1_EES3_PKS3_PKT2_SC_S9_PKT4_PKT5_S7_PT6_21rocsparse_index_base_b
    .private_segment_fixed_size: 0
    .sgpr_count:     26
    .sgpr_spill_count: 0
    .symbol:         _ZN9rocsparseL18bsrxmvn_4x4_kernelILj128ELj32E21rocsparse_complex_numIfEliS2_S2_S2_EEvT3_20rocsparse_direction_NS_24const_host_device_scalarIT1_EES3_PKS3_PKT2_SC_S9_PKT4_PKT5_S7_PT6_21rocsparse_index_base_b.kd
    .uniform_work_group_size: 1
    .uses_dynamic_stack: false
    .vgpr_count:     104
    .vgpr_spill_count: 0
    .wavefront_size: 64
  - .agpr_count:     0
    .args:
      - .offset:         0
        .size:           4
        .value_kind:     by_value
      - .offset:         4
        .size:           4
        .value_kind:     by_value
      - .offset:         8
        .size:           8
        .value_kind:     by_value
      - .offset:         16
        .size:           4
        .value_kind:     by_value
      - .actual_access:  read_only
        .address_space:  global
        .offset:         24
        .size:           8
        .value_kind:     global_buffer
      - .actual_access:  read_only
        .address_space:  global
        .offset:         32
        .size:           8
        .value_kind:     global_buffer
      - .actual_access:  read_only
        .address_space:  global
        .offset:         40
        .size:           8
        .value_kind:     global_buffer
      - .actual_access:  read_only
        .address_space:  global
        .offset:         48
        .size:           8
        .value_kind:     global_buffer
      - .actual_access:  read_only
        .address_space:  global
        .offset:         56
        .size:           8
        .value_kind:     global_buffer
      - .actual_access:  read_only
        .address_space:  global
        .offset:         64
        .size:           8
        .value_kind:     global_buffer
      - .offset:         72
        .size:           8
        .value_kind:     by_value
      - .address_space:  global
        .offset:         80
        .size:           8
        .value_kind:     global_buffer
      - .offset:         88
        .size:           4
        .value_kind:     by_value
      - .offset:         92
        .size:           1
        .value_kind:     by_value
    .group_segment_fixed_size: 0
    .kernarg_segment_align: 8
    .kernarg_segment_size: 96
    .language:       OpenCL C
    .language_version:
      - 2
      - 0
    .max_flat_workgroup_size: 128
    .name:           _ZN9rocsparseL18bsrxmvn_4x4_kernelILj128ELj64E21rocsparse_complex_numIfEliS2_S2_S2_EEvT3_20rocsparse_direction_NS_24const_host_device_scalarIT1_EES3_PKS3_PKT2_SC_S9_PKT4_PKT5_S7_PT6_21rocsparse_index_base_b
    .private_segment_fixed_size: 0
    .sgpr_count:     26
    .sgpr_spill_count: 0
    .symbol:         _ZN9rocsparseL18bsrxmvn_4x4_kernelILj128ELj64E21rocsparse_complex_numIfEliS2_S2_S2_EEvT3_20rocsparse_direction_NS_24const_host_device_scalarIT1_EES3_PKS3_PKT2_SC_S9_PKT4_PKT5_S7_PT6_21rocsparse_index_base_b.kd
    .uniform_work_group_size: 1
    .uses_dynamic_stack: false
    .vgpr_count:     108
    .vgpr_spill_count: 0
    .wavefront_size: 64
  - .agpr_count:     0
    .args:
      - .offset:         0
        .size:           4
        .value_kind:     by_value
      - .offset:         4
        .size:           4
        .value_kind:     by_value
      - .offset:         8
        .size:           16
        .value_kind:     by_value
      - .offset:         24
        .size:           4
        .value_kind:     by_value
      - .actual_access:  read_only
        .address_space:  global
        .offset:         32
        .size:           8
        .value_kind:     global_buffer
      - .actual_access:  read_only
        .address_space:  global
        .offset:         40
        .size:           8
        .value_kind:     global_buffer
      - .actual_access:  read_only
        .address_space:  global
        .offset:         48
        .size:           8
        .value_kind:     global_buffer
      - .actual_access:  read_only
        .address_space:  global
        .offset:         56
        .size:           8
        .value_kind:     global_buffer
      - .actual_access:  read_only
        .address_space:  global
        .offset:         64
        .size:           8
        .value_kind:     global_buffer
      - .actual_access:  read_only
        .address_space:  global
        .offset:         72
        .size:           8
        .value_kind:     global_buffer
      - .offset:         80
        .size:           16
        .value_kind:     by_value
      - .address_space:  global
        .offset:         96
        .size:           8
        .value_kind:     global_buffer
      - .offset:         104
        .size:           4
        .value_kind:     by_value
      - .offset:         108
        .size:           1
        .value_kind:     by_value
    .group_segment_fixed_size: 2048
    .kernarg_segment_align: 8
    .kernarg_segment_size: 112
    .language:       OpenCL C
    .language_version:
      - 2
      - 0
    .max_flat_workgroup_size: 128
    .name:           _ZN9rocsparseL18bsrxmvn_4x4_kernelILj128ELj4E21rocsparse_complex_numIdEliS2_S2_S2_EEvT3_20rocsparse_direction_NS_24const_host_device_scalarIT1_EES3_PKS3_PKT2_SC_S9_PKT4_PKT5_S7_PT6_21rocsparse_index_base_b
    .private_segment_fixed_size: 0
    .sgpr_count:     26
    .sgpr_spill_count: 0
    .symbol:         _ZN9rocsparseL18bsrxmvn_4x4_kernelILj128ELj4E21rocsparse_complex_numIdEliS2_S2_S2_EEvT3_20rocsparse_direction_NS_24const_host_device_scalarIT1_EES3_PKS3_PKT2_SC_S9_PKT4_PKT5_S7_PT6_21rocsparse_index_base_b.kd
    .uniform_work_group_size: 1
    .uses_dynamic_stack: false
    .vgpr_count:     130
    .vgpr_spill_count: 0
    .wavefront_size: 64
  - .agpr_count:     0
    .args:
      - .offset:         0
        .size:           4
        .value_kind:     by_value
      - .offset:         4
        .size:           4
        .value_kind:     by_value
      - .offset:         8
        .size:           16
        .value_kind:     by_value
      - .offset:         24
        .size:           4
        .value_kind:     by_value
      - .actual_access:  read_only
        .address_space:  global
        .offset:         32
        .size:           8
        .value_kind:     global_buffer
      - .actual_access:  read_only
        .address_space:  global
        .offset:         40
        .size:           8
        .value_kind:     global_buffer
      - .actual_access:  read_only
        .address_space:  global
        .offset:         48
        .size:           8
        .value_kind:     global_buffer
      - .actual_access:  read_only
        .address_space:  global
        .offset:         56
        .size:           8
        .value_kind:     global_buffer
      - .actual_access:  read_only
        .address_space:  global
        .offset:         64
        .size:           8
        .value_kind:     global_buffer
      - .actual_access:  read_only
        .address_space:  global
        .offset:         72
        .size:           8
        .value_kind:     global_buffer
      - .offset:         80
        .size:           16
        .value_kind:     by_value
      - .address_space:  global
        .offset:         96
        .size:           8
        .value_kind:     global_buffer
      - .offset:         104
        .size:           4
        .value_kind:     by_value
      - .offset:         108
        .size:           1
        .value_kind:     by_value
    .group_segment_fixed_size: 2048
    .kernarg_segment_align: 8
    .kernarg_segment_size: 112
    .language:       OpenCL C
    .language_version:
      - 2
      - 0
    .max_flat_workgroup_size: 128
    .name:           _ZN9rocsparseL18bsrxmvn_4x4_kernelILj128ELj8E21rocsparse_complex_numIdEliS2_S2_S2_EEvT3_20rocsparse_direction_NS_24const_host_device_scalarIT1_EES3_PKS3_PKT2_SC_S9_PKT4_PKT5_S7_PT6_21rocsparse_index_base_b
    .private_segment_fixed_size: 0
    .sgpr_count:     26
    .sgpr_spill_count: 0
    .symbol:         _ZN9rocsparseL18bsrxmvn_4x4_kernelILj128ELj8E21rocsparse_complex_numIdEliS2_S2_S2_EEvT3_20rocsparse_direction_NS_24const_host_device_scalarIT1_EES3_PKS3_PKT2_SC_S9_PKT4_PKT5_S7_PT6_21rocsparse_index_base_b.kd
    .uniform_work_group_size: 1
    .uses_dynamic_stack: false
    .vgpr_count:     130
    .vgpr_spill_count: 0
    .wavefront_size: 64
  - .agpr_count:     0
    .args:
      - .offset:         0
        .size:           4
        .value_kind:     by_value
      - .offset:         4
        .size:           4
        .value_kind:     by_value
      - .offset:         8
        .size:           16
        .value_kind:     by_value
      - .offset:         24
        .size:           4
        .value_kind:     by_value
      - .actual_access:  read_only
        .address_space:  global
        .offset:         32
        .size:           8
        .value_kind:     global_buffer
      - .actual_access:  read_only
        .address_space:  global
        .offset:         40
        .size:           8
        .value_kind:     global_buffer
      - .actual_access:  read_only
        .address_space:  global
        .offset:         48
        .size:           8
        .value_kind:     global_buffer
      - .actual_access:  read_only
        .address_space:  global
        .offset:         56
        .size:           8
        .value_kind:     global_buffer
      - .actual_access:  read_only
        .address_space:  global
        .offset:         64
        .size:           8
        .value_kind:     global_buffer
      - .actual_access:  read_only
        .address_space:  global
        .offset:         72
        .size:           8
        .value_kind:     global_buffer
      - .offset:         80
        .size:           16
        .value_kind:     by_value
      - .address_space:  global
        .offset:         96
        .size:           8
        .value_kind:     global_buffer
      - .offset:         104
        .size:           4
        .value_kind:     by_value
      - .offset:         108
        .size:           1
        .value_kind:     by_value
    .group_segment_fixed_size: 2048
    .kernarg_segment_align: 8
    .kernarg_segment_size: 112
    .language:       OpenCL C
    .language_version:
      - 2
      - 0
    .max_flat_workgroup_size: 128
    .name:           _ZN9rocsparseL18bsrxmvn_4x4_kernelILj128ELj16E21rocsparse_complex_numIdEliS2_S2_S2_EEvT3_20rocsparse_direction_NS_24const_host_device_scalarIT1_EES3_PKS3_PKT2_SC_S9_PKT4_PKT5_S7_PT6_21rocsparse_index_base_b
    .private_segment_fixed_size: 0
    .sgpr_count:     27
    .sgpr_spill_count: 0
    .symbol:         _ZN9rocsparseL18bsrxmvn_4x4_kernelILj128ELj16E21rocsparse_complex_numIdEliS2_S2_S2_EEvT3_20rocsparse_direction_NS_24const_host_device_scalarIT1_EES3_PKS3_PKT2_SC_S9_PKT4_PKT5_S7_PT6_21rocsparse_index_base_b.kd
    .uniform_work_group_size: 1
    .uses_dynamic_stack: false
    .vgpr_count:     130
    .vgpr_spill_count: 0
    .wavefront_size: 64
  - .agpr_count:     0
    .args:
      - .offset:         0
        .size:           4
        .value_kind:     by_value
      - .offset:         4
        .size:           4
        .value_kind:     by_value
      - .offset:         8
        .size:           16
        .value_kind:     by_value
      - .offset:         24
        .size:           4
        .value_kind:     by_value
      - .actual_access:  read_only
        .address_space:  global
        .offset:         32
        .size:           8
        .value_kind:     global_buffer
      - .actual_access:  read_only
        .address_space:  global
        .offset:         40
        .size:           8
        .value_kind:     global_buffer
      - .actual_access:  read_only
        .address_space:  global
        .offset:         48
        .size:           8
        .value_kind:     global_buffer
      - .actual_access:  read_only
        .address_space:  global
        .offset:         56
        .size:           8
        .value_kind:     global_buffer
      - .actual_access:  read_only
        .address_space:  global
        .offset:         64
        .size:           8
        .value_kind:     global_buffer
      - .actual_access:  read_only
        .address_space:  global
        .offset:         72
        .size:           8
        .value_kind:     global_buffer
      - .offset:         80
        .size:           16
        .value_kind:     by_value
      - .address_space:  global
        .offset:         96
        .size:           8
        .value_kind:     global_buffer
      - .offset:         104
        .size:           4
        .value_kind:     by_value
      - .offset:         108
        .size:           1
        .value_kind:     by_value
    .group_segment_fixed_size: 2048
    .kernarg_segment_align: 8
    .kernarg_segment_size: 112
    .language:       OpenCL C
    .language_version:
      - 2
      - 0
    .max_flat_workgroup_size: 128
    .name:           _ZN9rocsparseL18bsrxmvn_4x4_kernelILj128ELj32E21rocsparse_complex_numIdEliS2_S2_S2_EEvT3_20rocsparse_direction_NS_24const_host_device_scalarIT1_EES3_PKS3_PKT2_SC_S9_PKT4_PKT5_S7_PT6_21rocsparse_index_base_b
    .private_segment_fixed_size: 0
    .sgpr_count:     27
    .sgpr_spill_count: 0
    .symbol:         _ZN9rocsparseL18bsrxmvn_4x4_kernelILj128ELj32E21rocsparse_complex_numIdEliS2_S2_S2_EEvT3_20rocsparse_direction_NS_24const_host_device_scalarIT1_EES3_PKS3_PKT2_SC_S9_PKT4_PKT5_S7_PT6_21rocsparse_index_base_b.kd
    .uniform_work_group_size: 1
    .uses_dynamic_stack: false
    .vgpr_count:     130
    .vgpr_spill_count: 0
    .wavefront_size: 64
  - .agpr_count:     0
    .args:
      - .offset:         0
        .size:           4
        .value_kind:     by_value
      - .offset:         4
        .size:           4
        .value_kind:     by_value
      - .offset:         8
        .size:           16
        .value_kind:     by_value
      - .offset:         24
        .size:           4
        .value_kind:     by_value
      - .actual_access:  read_only
        .address_space:  global
        .offset:         32
        .size:           8
        .value_kind:     global_buffer
      - .actual_access:  read_only
        .address_space:  global
        .offset:         40
        .size:           8
        .value_kind:     global_buffer
      - .actual_access:  read_only
        .address_space:  global
        .offset:         48
        .size:           8
        .value_kind:     global_buffer
      - .actual_access:  read_only
        .address_space:  global
        .offset:         56
        .size:           8
        .value_kind:     global_buffer
      - .actual_access:  read_only
        .address_space:  global
        .offset:         64
        .size:           8
        .value_kind:     global_buffer
      - .actual_access:  read_only
        .address_space:  global
        .offset:         72
        .size:           8
        .value_kind:     global_buffer
      - .offset:         80
        .size:           16
        .value_kind:     by_value
      - .address_space:  global
        .offset:         96
        .size:           8
        .value_kind:     global_buffer
      - .offset:         104
        .size:           4
        .value_kind:     by_value
      - .offset:         108
        .size:           1
        .value_kind:     by_value
    .group_segment_fixed_size: 2048
    .kernarg_segment_align: 8
    .kernarg_segment_size: 112
    .language:       OpenCL C
    .language_version:
      - 2
      - 0
    .max_flat_workgroup_size: 128
    .name:           _ZN9rocsparseL18bsrxmvn_4x4_kernelILj128ELj64E21rocsparse_complex_numIdEliS2_S2_S2_EEvT3_20rocsparse_direction_NS_24const_host_device_scalarIT1_EES3_PKS3_PKT2_SC_S9_PKT4_PKT5_S7_PT6_21rocsparse_index_base_b
    .private_segment_fixed_size: 0
    .sgpr_count:     27
    .sgpr_spill_count: 0
    .symbol:         _ZN9rocsparseL18bsrxmvn_4x4_kernelILj128ELj64E21rocsparse_complex_numIdEliS2_S2_S2_EEvT3_20rocsparse_direction_NS_24const_host_device_scalarIT1_EES3_PKS3_PKT2_SC_S9_PKT4_PKT5_S7_PT6_21rocsparse_index_base_b.kd
    .uniform_work_group_size: 1
    .uses_dynamic_stack: false
    .vgpr_count:     130
    .vgpr_spill_count: 0
    .wavefront_size: 64
  - .agpr_count:     0
    .args:
      - .offset:         0
        .size:           8
        .value_kind:     by_value
      - .offset:         8
        .size:           4
        .value_kind:     by_value
      - .offset:         16
        .size:           8
        .value_kind:     by_value
      - .offset:         24
        .size:           8
        .value_kind:     by_value
      - .actual_access:  read_only
        .address_space:  global
        .offset:         32
        .size:           8
        .value_kind:     global_buffer
      - .actual_access:  read_only
        .address_space:  global
        .offset:         40
        .size:           8
        .value_kind:     global_buffer
      - .actual_access:  read_only
        .address_space:  global
        .offset:         48
        .size:           8
        .value_kind:     global_buffer
      - .actual_access:  read_only
        .address_space:  global
        .offset:         56
        .size:           8
        .value_kind:     global_buffer
      - .actual_access:  read_only
        .address_space:  global
        .offset:         64
        .size:           8
        .value_kind:     global_buffer
      - .actual_access:  read_only
        .address_space:  global
        .offset:         72
        .size:           8
        .value_kind:     global_buffer
      - .offset:         80
        .size:           8
        .value_kind:     by_value
      - .address_space:  global
        .offset:         88
        .size:           8
        .value_kind:     global_buffer
      - .offset:         96
        .size:           4
        .value_kind:     by_value
      - .offset:         100
        .size:           1
        .value_kind:     by_value
    .group_segment_fixed_size: 0
    .kernarg_segment_align: 8
    .kernarg_segment_size: 104
    .language:       OpenCL C
    .language_version:
      - 2
      - 0
    .max_flat_workgroup_size: 128
    .name:           _ZN9rocsparseL18bsrxmvn_4x4_kernelILj128ELj4EfllfffEEvT3_20rocsparse_direction_NS_24const_host_device_scalarIT1_EES1_PKS1_PKT2_SA_S7_PKT4_PKT5_S5_PT6_21rocsparse_index_base_b
    .private_segment_fixed_size: 0
    .sgpr_count:     28
    .sgpr_spill_count: 0
    .symbol:         _ZN9rocsparseL18bsrxmvn_4x4_kernelILj128ELj4EfllfffEEvT3_20rocsparse_direction_NS_24const_host_device_scalarIT1_EES1_PKS1_PKT2_SA_S7_PKT4_PKT5_S5_PT6_21rocsparse_index_base_b.kd
    .uniform_work_group_size: 1
    .uses_dynamic_stack: false
    .vgpr_count:     114
    .vgpr_spill_count: 0
    .wavefront_size: 64
  - .agpr_count:     0
    .args:
      - .offset:         0
        .size:           8
        .value_kind:     by_value
      - .offset:         8
        .size:           4
        .value_kind:     by_value
      - .offset:         16
        .size:           8
        .value_kind:     by_value
      - .offset:         24
        .size:           8
        .value_kind:     by_value
      - .actual_access:  read_only
        .address_space:  global
        .offset:         32
        .size:           8
        .value_kind:     global_buffer
      - .actual_access:  read_only
        .address_space:  global
        .offset:         40
        .size:           8
        .value_kind:     global_buffer
      - .actual_access:  read_only
        .address_space:  global
        .offset:         48
        .size:           8
        .value_kind:     global_buffer
      - .actual_access:  read_only
        .address_space:  global
        .offset:         56
        .size:           8
        .value_kind:     global_buffer
      - .actual_access:  read_only
        .address_space:  global
        .offset:         64
        .size:           8
        .value_kind:     global_buffer
      - .actual_access:  read_only
        .address_space:  global
        .offset:         72
        .size:           8
        .value_kind:     global_buffer
      - .offset:         80
        .size:           8
        .value_kind:     by_value
      - .address_space:  global
        .offset:         88
        .size:           8
        .value_kind:     global_buffer
      - .offset:         96
        .size:           4
        .value_kind:     by_value
      - .offset:         100
        .size:           1
        .value_kind:     by_value
    .group_segment_fixed_size: 0
    .kernarg_segment_align: 8
    .kernarg_segment_size: 104
    .language:       OpenCL C
    .language_version:
      - 2
      - 0
    .max_flat_workgroup_size: 128
    .name:           _ZN9rocsparseL18bsrxmvn_4x4_kernelILj128ELj8EfllfffEEvT3_20rocsparse_direction_NS_24const_host_device_scalarIT1_EES1_PKS1_PKT2_SA_S7_PKT4_PKT5_S5_PT6_21rocsparse_index_base_b
    .private_segment_fixed_size: 0
    .sgpr_count:     28
    .sgpr_spill_count: 0
    .symbol:         _ZN9rocsparseL18bsrxmvn_4x4_kernelILj128ELj8EfllfffEEvT3_20rocsparse_direction_NS_24const_host_device_scalarIT1_EES1_PKS1_PKT2_SA_S7_PKT4_PKT5_S5_PT6_21rocsparse_index_base_b.kd
    .uniform_work_group_size: 1
    .uses_dynamic_stack: false
    .vgpr_count:     114
    .vgpr_spill_count: 0
    .wavefront_size: 64
  - .agpr_count:     0
    .args:
      - .offset:         0
        .size:           8
        .value_kind:     by_value
      - .offset:         8
        .size:           4
        .value_kind:     by_value
      - .offset:         16
        .size:           8
        .value_kind:     by_value
      - .offset:         24
        .size:           8
        .value_kind:     by_value
      - .actual_access:  read_only
        .address_space:  global
        .offset:         32
        .size:           8
        .value_kind:     global_buffer
      - .actual_access:  read_only
        .address_space:  global
        .offset:         40
        .size:           8
        .value_kind:     global_buffer
      - .actual_access:  read_only
        .address_space:  global
        .offset:         48
        .size:           8
        .value_kind:     global_buffer
      - .actual_access:  read_only
        .address_space:  global
        .offset:         56
        .size:           8
        .value_kind:     global_buffer
      - .actual_access:  read_only
        .address_space:  global
        .offset:         64
        .size:           8
        .value_kind:     global_buffer
      - .actual_access:  read_only
        .address_space:  global
        .offset:         72
        .size:           8
        .value_kind:     global_buffer
      - .offset:         80
        .size:           8
        .value_kind:     by_value
      - .address_space:  global
        .offset:         88
        .size:           8
        .value_kind:     global_buffer
      - .offset:         96
        .size:           4
        .value_kind:     by_value
      - .offset:         100
        .size:           1
        .value_kind:     by_value
    .group_segment_fixed_size: 0
    .kernarg_segment_align: 8
    .kernarg_segment_size: 104
    .language:       OpenCL C
    .language_version:
      - 2
      - 0
    .max_flat_workgroup_size: 128
    .name:           _ZN9rocsparseL18bsrxmvn_4x4_kernelILj128ELj16EfllfffEEvT3_20rocsparse_direction_NS_24const_host_device_scalarIT1_EES1_PKS1_PKT2_SA_S7_PKT4_PKT5_S5_PT6_21rocsparse_index_base_b
    .private_segment_fixed_size: 0
    .sgpr_count:     28
    .sgpr_spill_count: 0
    .symbol:         _ZN9rocsparseL18bsrxmvn_4x4_kernelILj128ELj16EfllfffEEvT3_20rocsparse_direction_NS_24const_host_device_scalarIT1_EES1_PKS1_PKT2_SA_S7_PKT4_PKT5_S5_PT6_21rocsparse_index_base_b.kd
    .uniform_work_group_size: 1
    .uses_dynamic_stack: false
    .vgpr_count:     114
    .vgpr_spill_count: 0
    .wavefront_size: 64
  - .agpr_count:     0
    .args:
      - .offset:         0
        .size:           8
        .value_kind:     by_value
      - .offset:         8
        .size:           4
        .value_kind:     by_value
      - .offset:         16
        .size:           8
        .value_kind:     by_value
      - .offset:         24
        .size:           8
        .value_kind:     by_value
      - .actual_access:  read_only
        .address_space:  global
        .offset:         32
        .size:           8
        .value_kind:     global_buffer
      - .actual_access:  read_only
        .address_space:  global
        .offset:         40
        .size:           8
        .value_kind:     global_buffer
      - .actual_access:  read_only
        .address_space:  global
        .offset:         48
        .size:           8
        .value_kind:     global_buffer
      - .actual_access:  read_only
        .address_space:  global
        .offset:         56
        .size:           8
        .value_kind:     global_buffer
      - .actual_access:  read_only
        .address_space:  global
        .offset:         64
        .size:           8
        .value_kind:     global_buffer
      - .actual_access:  read_only
        .address_space:  global
        .offset:         72
        .size:           8
        .value_kind:     global_buffer
      - .offset:         80
        .size:           8
        .value_kind:     by_value
      - .address_space:  global
        .offset:         88
        .size:           8
        .value_kind:     global_buffer
      - .offset:         96
        .size:           4
        .value_kind:     by_value
      - .offset:         100
        .size:           1
        .value_kind:     by_value
    .group_segment_fixed_size: 0
    .kernarg_segment_align: 8
    .kernarg_segment_size: 104
    .language:       OpenCL C
    .language_version:
      - 2
      - 0
    .max_flat_workgroup_size: 128
    .name:           _ZN9rocsparseL18bsrxmvn_4x4_kernelILj128ELj32EfllfffEEvT3_20rocsparse_direction_NS_24const_host_device_scalarIT1_EES1_PKS1_PKT2_SA_S7_PKT4_PKT5_S5_PT6_21rocsparse_index_base_b
    .private_segment_fixed_size: 0
    .sgpr_count:     30
    .sgpr_spill_count: 0
    .symbol:         _ZN9rocsparseL18bsrxmvn_4x4_kernelILj128ELj32EfllfffEEvT3_20rocsparse_direction_NS_24const_host_device_scalarIT1_EES1_PKS1_PKT2_SA_S7_PKT4_PKT5_S5_PT6_21rocsparse_index_base_b.kd
    .uniform_work_group_size: 1
    .uses_dynamic_stack: false
    .vgpr_count:     114
    .vgpr_spill_count: 0
    .wavefront_size: 64
  - .agpr_count:     0
    .args:
      - .offset:         0
        .size:           8
        .value_kind:     by_value
      - .offset:         8
        .size:           4
        .value_kind:     by_value
      - .offset:         16
        .size:           8
        .value_kind:     by_value
      - .offset:         24
        .size:           8
        .value_kind:     by_value
      - .actual_access:  read_only
        .address_space:  global
        .offset:         32
        .size:           8
        .value_kind:     global_buffer
      - .actual_access:  read_only
        .address_space:  global
        .offset:         40
        .size:           8
        .value_kind:     global_buffer
      - .actual_access:  read_only
        .address_space:  global
        .offset:         48
        .size:           8
        .value_kind:     global_buffer
      - .actual_access:  read_only
        .address_space:  global
        .offset:         56
        .size:           8
        .value_kind:     global_buffer
      - .actual_access:  read_only
        .address_space:  global
        .offset:         64
        .size:           8
        .value_kind:     global_buffer
      - .actual_access:  read_only
        .address_space:  global
        .offset:         72
        .size:           8
        .value_kind:     global_buffer
      - .offset:         80
        .size:           8
        .value_kind:     by_value
      - .address_space:  global
        .offset:         88
        .size:           8
        .value_kind:     global_buffer
      - .offset:         96
        .size:           4
        .value_kind:     by_value
      - .offset:         100
        .size:           1
        .value_kind:     by_value
    .group_segment_fixed_size: 0
    .kernarg_segment_align: 8
    .kernarg_segment_size: 104
    .language:       OpenCL C
    .language_version:
      - 2
      - 0
    .max_flat_workgroup_size: 128
    .name:           _ZN9rocsparseL18bsrxmvn_4x4_kernelILj128ELj64EfllfffEEvT3_20rocsparse_direction_NS_24const_host_device_scalarIT1_EES1_PKS1_PKT2_SA_S7_PKT4_PKT5_S5_PT6_21rocsparse_index_base_b
    .private_segment_fixed_size: 0
    .sgpr_count:     30
    .sgpr_spill_count: 0
    .symbol:         _ZN9rocsparseL18bsrxmvn_4x4_kernelILj128ELj64EfllfffEEvT3_20rocsparse_direction_NS_24const_host_device_scalarIT1_EES1_PKS1_PKT2_SA_S7_PKT4_PKT5_S5_PT6_21rocsparse_index_base_b.kd
    .uniform_work_group_size: 1
    .uses_dynamic_stack: false
    .vgpr_count:     114
    .vgpr_spill_count: 0
    .wavefront_size: 64
  - .agpr_count:     0
    .args:
      - .offset:         0
        .size:           8
        .value_kind:     by_value
      - .offset:         8
        .size:           4
        .value_kind:     by_value
      - .offset:         16
        .size:           8
        .value_kind:     by_value
      - .offset:         24
        .size:           8
        .value_kind:     by_value
      - .actual_access:  read_only
        .address_space:  global
        .offset:         32
        .size:           8
        .value_kind:     global_buffer
      - .actual_access:  read_only
        .address_space:  global
        .offset:         40
        .size:           8
        .value_kind:     global_buffer
      - .actual_access:  read_only
        .address_space:  global
        .offset:         48
        .size:           8
        .value_kind:     global_buffer
      - .actual_access:  read_only
        .address_space:  global
        .offset:         56
        .size:           8
        .value_kind:     global_buffer
      - .actual_access:  read_only
        .address_space:  global
        .offset:         64
        .size:           8
        .value_kind:     global_buffer
      - .actual_access:  read_only
        .address_space:  global
        .offset:         72
        .size:           8
        .value_kind:     global_buffer
      - .offset:         80
        .size:           8
        .value_kind:     by_value
      - .address_space:  global
        .offset:         88
        .size:           8
        .value_kind:     global_buffer
      - .offset:         96
        .size:           4
        .value_kind:     by_value
      - .offset:         100
        .size:           1
        .value_kind:     by_value
    .group_segment_fixed_size: 0
    .kernarg_segment_align: 8
    .kernarg_segment_size: 104
    .language:       OpenCL C
    .language_version:
      - 2
      - 0
    .max_flat_workgroup_size: 128
    .name:           _ZN9rocsparseL18bsrxmvn_4x4_kernelILj128ELj4EdlldddEEvT3_20rocsparse_direction_NS_24const_host_device_scalarIT1_EES1_PKS1_PKT2_SA_S7_PKT4_PKT5_S5_PT6_21rocsparse_index_base_b
    .private_segment_fixed_size: 0
    .sgpr_count:     26
    .sgpr_spill_count: 0
    .symbol:         _ZN9rocsparseL18bsrxmvn_4x4_kernelILj128ELj4EdlldddEEvT3_20rocsparse_direction_NS_24const_host_device_scalarIT1_EES1_PKS1_PKT2_SA_S7_PKT4_PKT5_S5_PT6_21rocsparse_index_base_b.kd
    .uniform_work_group_size: 1
    .uses_dynamic_stack: false
    .vgpr_count:     106
    .vgpr_spill_count: 0
    .wavefront_size: 64
  - .agpr_count:     0
    .args:
      - .offset:         0
        .size:           8
        .value_kind:     by_value
      - .offset:         8
        .size:           4
        .value_kind:     by_value
      - .offset:         16
        .size:           8
        .value_kind:     by_value
      - .offset:         24
        .size:           8
        .value_kind:     by_value
      - .actual_access:  read_only
        .address_space:  global
        .offset:         32
        .size:           8
        .value_kind:     global_buffer
      - .actual_access:  read_only
        .address_space:  global
        .offset:         40
        .size:           8
        .value_kind:     global_buffer
      - .actual_access:  read_only
        .address_space:  global
        .offset:         48
        .size:           8
        .value_kind:     global_buffer
      - .actual_access:  read_only
        .address_space:  global
        .offset:         56
        .size:           8
        .value_kind:     global_buffer
      - .actual_access:  read_only
        .address_space:  global
        .offset:         64
        .size:           8
        .value_kind:     global_buffer
      - .actual_access:  read_only
        .address_space:  global
        .offset:         72
        .size:           8
        .value_kind:     global_buffer
      - .offset:         80
        .size:           8
        .value_kind:     by_value
      - .address_space:  global
        .offset:         88
        .size:           8
        .value_kind:     global_buffer
      - .offset:         96
        .size:           4
        .value_kind:     by_value
      - .offset:         100
        .size:           1
        .value_kind:     by_value
    .group_segment_fixed_size: 0
    .kernarg_segment_align: 8
    .kernarg_segment_size: 104
    .language:       OpenCL C
    .language_version:
      - 2
      - 0
    .max_flat_workgroup_size: 128
    .name:           _ZN9rocsparseL18bsrxmvn_4x4_kernelILj128ELj8EdlldddEEvT3_20rocsparse_direction_NS_24const_host_device_scalarIT1_EES1_PKS1_PKT2_SA_S7_PKT4_PKT5_S5_PT6_21rocsparse_index_base_b
    .private_segment_fixed_size: 0
    .sgpr_count:     26
    .sgpr_spill_count: 0
    .symbol:         _ZN9rocsparseL18bsrxmvn_4x4_kernelILj128ELj8EdlldddEEvT3_20rocsparse_direction_NS_24const_host_device_scalarIT1_EES1_PKS1_PKT2_SA_S7_PKT4_PKT5_S5_PT6_21rocsparse_index_base_b.kd
    .uniform_work_group_size: 1
    .uses_dynamic_stack: false
    .vgpr_count:     106
    .vgpr_spill_count: 0
    .wavefront_size: 64
  - .agpr_count:     0
    .args:
      - .offset:         0
        .size:           8
        .value_kind:     by_value
      - .offset:         8
        .size:           4
        .value_kind:     by_value
      - .offset:         16
        .size:           8
        .value_kind:     by_value
      - .offset:         24
        .size:           8
        .value_kind:     by_value
      - .actual_access:  read_only
        .address_space:  global
        .offset:         32
        .size:           8
        .value_kind:     global_buffer
      - .actual_access:  read_only
        .address_space:  global
        .offset:         40
        .size:           8
        .value_kind:     global_buffer
      - .actual_access:  read_only
        .address_space:  global
        .offset:         48
        .size:           8
        .value_kind:     global_buffer
      - .actual_access:  read_only
        .address_space:  global
        .offset:         56
        .size:           8
        .value_kind:     global_buffer
      - .actual_access:  read_only
        .address_space:  global
        .offset:         64
        .size:           8
        .value_kind:     global_buffer
      - .actual_access:  read_only
        .address_space:  global
        .offset:         72
        .size:           8
        .value_kind:     global_buffer
      - .offset:         80
        .size:           8
        .value_kind:     by_value
      - .address_space:  global
        .offset:         88
        .size:           8
        .value_kind:     global_buffer
      - .offset:         96
        .size:           4
        .value_kind:     by_value
      - .offset:         100
        .size:           1
        .value_kind:     by_value
    .group_segment_fixed_size: 0
    .kernarg_segment_align: 8
    .kernarg_segment_size: 104
    .language:       OpenCL C
    .language_version:
      - 2
      - 0
    .max_flat_workgroup_size: 128
    .name:           _ZN9rocsparseL18bsrxmvn_4x4_kernelILj128ELj16EdlldddEEvT3_20rocsparse_direction_NS_24const_host_device_scalarIT1_EES1_PKS1_PKT2_SA_S7_PKT4_PKT5_S5_PT6_21rocsparse_index_base_b
    .private_segment_fixed_size: 0
    .sgpr_count:     28
    .sgpr_spill_count: 0
    .symbol:         _ZN9rocsparseL18bsrxmvn_4x4_kernelILj128ELj16EdlldddEEvT3_20rocsparse_direction_NS_24const_host_device_scalarIT1_EES1_PKS1_PKT2_SA_S7_PKT4_PKT5_S5_PT6_21rocsparse_index_base_b.kd
    .uniform_work_group_size: 1
    .uses_dynamic_stack: false
    .vgpr_count:     108
    .vgpr_spill_count: 0
    .wavefront_size: 64
  - .agpr_count:     0
    .args:
      - .offset:         0
        .size:           8
        .value_kind:     by_value
      - .offset:         8
        .size:           4
        .value_kind:     by_value
      - .offset:         16
        .size:           8
        .value_kind:     by_value
      - .offset:         24
        .size:           8
        .value_kind:     by_value
      - .actual_access:  read_only
        .address_space:  global
        .offset:         32
        .size:           8
        .value_kind:     global_buffer
      - .actual_access:  read_only
        .address_space:  global
        .offset:         40
        .size:           8
        .value_kind:     global_buffer
      - .actual_access:  read_only
        .address_space:  global
        .offset:         48
        .size:           8
        .value_kind:     global_buffer
      - .actual_access:  read_only
        .address_space:  global
        .offset:         56
        .size:           8
        .value_kind:     global_buffer
      - .actual_access:  read_only
        .address_space:  global
        .offset:         64
        .size:           8
        .value_kind:     global_buffer
      - .actual_access:  read_only
        .address_space:  global
        .offset:         72
        .size:           8
        .value_kind:     global_buffer
      - .offset:         80
        .size:           8
        .value_kind:     by_value
      - .address_space:  global
        .offset:         88
        .size:           8
        .value_kind:     global_buffer
      - .offset:         96
        .size:           4
        .value_kind:     by_value
      - .offset:         100
        .size:           1
        .value_kind:     by_value
    .group_segment_fixed_size: 0
    .kernarg_segment_align: 8
    .kernarg_segment_size: 104
    .language:       OpenCL C
    .language_version:
      - 2
      - 0
    .max_flat_workgroup_size: 128
    .name:           _ZN9rocsparseL18bsrxmvn_4x4_kernelILj128ELj32EdlldddEEvT3_20rocsparse_direction_NS_24const_host_device_scalarIT1_EES1_PKS1_PKT2_SA_S7_PKT4_PKT5_S5_PT6_21rocsparse_index_base_b
    .private_segment_fixed_size: 0
    .sgpr_count:     29
    .sgpr_spill_count: 0
    .symbol:         _ZN9rocsparseL18bsrxmvn_4x4_kernelILj128ELj32EdlldddEEvT3_20rocsparse_direction_NS_24const_host_device_scalarIT1_EES1_PKS1_PKT2_SA_S7_PKT4_PKT5_S5_PT6_21rocsparse_index_base_b.kd
    .uniform_work_group_size: 1
    .uses_dynamic_stack: false
    .vgpr_count:     112
    .vgpr_spill_count: 0
    .wavefront_size: 64
  - .agpr_count:     0
    .args:
      - .offset:         0
        .size:           8
        .value_kind:     by_value
      - .offset:         8
        .size:           4
        .value_kind:     by_value
      - .offset:         16
        .size:           8
        .value_kind:     by_value
      - .offset:         24
        .size:           8
        .value_kind:     by_value
      - .actual_access:  read_only
        .address_space:  global
        .offset:         32
        .size:           8
        .value_kind:     global_buffer
      - .actual_access:  read_only
        .address_space:  global
        .offset:         40
        .size:           8
        .value_kind:     global_buffer
      - .actual_access:  read_only
        .address_space:  global
        .offset:         48
        .size:           8
        .value_kind:     global_buffer
      - .actual_access:  read_only
        .address_space:  global
        .offset:         56
        .size:           8
        .value_kind:     global_buffer
      - .actual_access:  read_only
        .address_space:  global
        .offset:         64
        .size:           8
        .value_kind:     global_buffer
      - .actual_access:  read_only
        .address_space:  global
        .offset:         72
        .size:           8
        .value_kind:     global_buffer
      - .offset:         80
        .size:           8
        .value_kind:     by_value
      - .address_space:  global
        .offset:         88
        .size:           8
        .value_kind:     global_buffer
      - .offset:         96
        .size:           4
        .value_kind:     by_value
      - .offset:         100
        .size:           1
        .value_kind:     by_value
    .group_segment_fixed_size: 0
    .kernarg_segment_align: 8
    .kernarg_segment_size: 104
    .language:       OpenCL C
    .language_version:
      - 2
      - 0
    .max_flat_workgroup_size: 128
    .name:           _ZN9rocsparseL18bsrxmvn_4x4_kernelILj128ELj64EdlldddEEvT3_20rocsparse_direction_NS_24const_host_device_scalarIT1_EES1_PKS1_PKT2_SA_S7_PKT4_PKT5_S5_PT6_21rocsparse_index_base_b
    .private_segment_fixed_size: 0
    .sgpr_count:     29
    .sgpr_spill_count: 0
    .symbol:         _ZN9rocsparseL18bsrxmvn_4x4_kernelILj128ELj64EdlldddEEvT3_20rocsparse_direction_NS_24const_host_device_scalarIT1_EES1_PKS1_PKT2_SA_S7_PKT4_PKT5_S5_PT6_21rocsparse_index_base_b.kd
    .uniform_work_group_size: 1
    .uses_dynamic_stack: false
    .vgpr_count:     114
    .vgpr_spill_count: 0
    .wavefront_size: 64
  - .agpr_count:     0
    .args:
      - .offset:         0
        .size:           8
        .value_kind:     by_value
      - .offset:         8
        .size:           4
        .value_kind:     by_value
      - .offset:         16
        .size:           8
        .value_kind:     by_value
      - .offset:         24
        .size:           8
        .value_kind:     by_value
      - .actual_access:  read_only
        .address_space:  global
        .offset:         32
        .size:           8
        .value_kind:     global_buffer
      - .actual_access:  read_only
        .address_space:  global
        .offset:         40
        .size:           8
        .value_kind:     global_buffer
      - .actual_access:  read_only
        .address_space:  global
        .offset:         48
        .size:           8
        .value_kind:     global_buffer
      - .actual_access:  read_only
        .address_space:  global
        .offset:         56
        .size:           8
        .value_kind:     global_buffer
      - .actual_access:  read_only
        .address_space:  global
        .offset:         64
        .size:           8
        .value_kind:     global_buffer
      - .actual_access:  read_only
        .address_space:  global
        .offset:         72
        .size:           8
        .value_kind:     global_buffer
      - .offset:         80
        .size:           8
        .value_kind:     by_value
      - .address_space:  global
        .offset:         88
        .size:           8
        .value_kind:     global_buffer
      - .offset:         96
        .size:           4
        .value_kind:     by_value
      - .offset:         100
        .size:           1
        .value_kind:     by_value
    .group_segment_fixed_size: 0
    .kernarg_segment_align: 8
    .kernarg_segment_size: 104
    .language:       OpenCL C
    .language_version:
      - 2
      - 0
    .max_flat_workgroup_size: 128
    .name:           _ZN9rocsparseL18bsrxmvn_4x4_kernelILj128ELj4E21rocsparse_complex_numIfEllS2_S2_S2_EEvT3_20rocsparse_direction_NS_24const_host_device_scalarIT1_EES3_PKS3_PKT2_SC_S9_PKT4_PKT5_S7_PT6_21rocsparse_index_base_b
    .private_segment_fixed_size: 0
    .sgpr_count:     24
    .sgpr_spill_count: 0
    .symbol:         _ZN9rocsparseL18bsrxmvn_4x4_kernelILj128ELj4E21rocsparse_complex_numIfEllS2_S2_S2_EEvT3_20rocsparse_direction_NS_24const_host_device_scalarIT1_EES3_PKS3_PKT2_SC_S9_PKT4_PKT5_S7_PT6_21rocsparse_index_base_b.kd
    .uniform_work_group_size: 1
    .uses_dynamic_stack: false
    .vgpr_count:     104
    .vgpr_spill_count: 0
    .wavefront_size: 64
  - .agpr_count:     0
    .args:
      - .offset:         0
        .size:           8
        .value_kind:     by_value
      - .offset:         8
        .size:           4
        .value_kind:     by_value
      - .offset:         16
        .size:           8
        .value_kind:     by_value
      - .offset:         24
        .size:           8
        .value_kind:     by_value
      - .actual_access:  read_only
        .address_space:  global
        .offset:         32
        .size:           8
        .value_kind:     global_buffer
      - .actual_access:  read_only
        .address_space:  global
        .offset:         40
        .size:           8
        .value_kind:     global_buffer
      - .actual_access:  read_only
        .address_space:  global
        .offset:         48
        .size:           8
        .value_kind:     global_buffer
      - .actual_access:  read_only
        .address_space:  global
        .offset:         56
        .size:           8
        .value_kind:     global_buffer
      - .actual_access:  read_only
        .address_space:  global
        .offset:         64
        .size:           8
        .value_kind:     global_buffer
      - .actual_access:  read_only
        .address_space:  global
        .offset:         72
        .size:           8
        .value_kind:     global_buffer
      - .offset:         80
        .size:           8
        .value_kind:     by_value
      - .address_space:  global
        .offset:         88
        .size:           8
        .value_kind:     global_buffer
      - .offset:         96
        .size:           4
        .value_kind:     by_value
      - .offset:         100
        .size:           1
        .value_kind:     by_value
    .group_segment_fixed_size: 0
    .kernarg_segment_align: 8
    .kernarg_segment_size: 104
    .language:       OpenCL C
    .language_version:
      - 2
      - 0
    .max_flat_workgroup_size: 128
    .name:           _ZN9rocsparseL18bsrxmvn_4x4_kernelILj128ELj8E21rocsparse_complex_numIfEllS2_S2_S2_EEvT3_20rocsparse_direction_NS_24const_host_device_scalarIT1_EES3_PKS3_PKT2_SC_S9_PKT4_PKT5_S7_PT6_21rocsparse_index_base_b
    .private_segment_fixed_size: 0
    .sgpr_count:     24
    .sgpr_spill_count: 0
    .symbol:         _ZN9rocsparseL18bsrxmvn_4x4_kernelILj128ELj8E21rocsparse_complex_numIfEllS2_S2_S2_EEvT3_20rocsparse_direction_NS_24const_host_device_scalarIT1_EES3_PKS3_PKT2_SC_S9_PKT4_PKT5_S7_PT6_21rocsparse_index_base_b.kd
    .uniform_work_group_size: 1
    .uses_dynamic_stack: false
    .vgpr_count:     104
    .vgpr_spill_count: 0
    .wavefront_size: 64
  - .agpr_count:     0
    .args:
      - .offset:         0
        .size:           8
        .value_kind:     by_value
      - .offset:         8
        .size:           4
        .value_kind:     by_value
      - .offset:         16
        .size:           8
        .value_kind:     by_value
      - .offset:         24
        .size:           8
        .value_kind:     by_value
      - .actual_access:  read_only
        .address_space:  global
        .offset:         32
        .size:           8
        .value_kind:     global_buffer
      - .actual_access:  read_only
        .address_space:  global
        .offset:         40
        .size:           8
        .value_kind:     global_buffer
      - .actual_access:  read_only
        .address_space:  global
        .offset:         48
        .size:           8
        .value_kind:     global_buffer
      - .actual_access:  read_only
        .address_space:  global
        .offset:         56
        .size:           8
        .value_kind:     global_buffer
      - .actual_access:  read_only
        .address_space:  global
        .offset:         64
        .size:           8
        .value_kind:     global_buffer
      - .actual_access:  read_only
        .address_space:  global
        .offset:         72
        .size:           8
        .value_kind:     global_buffer
      - .offset:         80
        .size:           8
        .value_kind:     by_value
      - .address_space:  global
        .offset:         88
        .size:           8
        .value_kind:     global_buffer
      - .offset:         96
        .size:           4
        .value_kind:     by_value
      - .offset:         100
        .size:           1
        .value_kind:     by_value
    .group_segment_fixed_size: 0
    .kernarg_segment_align: 8
    .kernarg_segment_size: 104
    .language:       OpenCL C
    .language_version:
      - 2
      - 0
    .max_flat_workgroup_size: 128
    .name:           _ZN9rocsparseL18bsrxmvn_4x4_kernelILj128ELj16E21rocsparse_complex_numIfEllS2_S2_S2_EEvT3_20rocsparse_direction_NS_24const_host_device_scalarIT1_EES3_PKS3_PKT2_SC_S9_PKT4_PKT5_S7_PT6_21rocsparse_index_base_b
    .private_segment_fixed_size: 0
    .sgpr_count:     24
    .sgpr_spill_count: 0
    .symbol:         _ZN9rocsparseL18bsrxmvn_4x4_kernelILj128ELj16E21rocsparse_complex_numIfEllS2_S2_S2_EEvT3_20rocsparse_direction_NS_24const_host_device_scalarIT1_EES3_PKS3_PKT2_SC_S9_PKT4_PKT5_S7_PT6_21rocsparse_index_base_b.kd
    .uniform_work_group_size: 1
    .uses_dynamic_stack: false
    .vgpr_count:     106
    .vgpr_spill_count: 0
    .wavefront_size: 64
  - .agpr_count:     0
    .args:
      - .offset:         0
        .size:           8
        .value_kind:     by_value
      - .offset:         8
        .size:           4
        .value_kind:     by_value
      - .offset:         16
        .size:           8
        .value_kind:     by_value
      - .offset:         24
        .size:           8
        .value_kind:     by_value
      - .actual_access:  read_only
        .address_space:  global
        .offset:         32
        .size:           8
        .value_kind:     global_buffer
      - .actual_access:  read_only
        .address_space:  global
        .offset:         40
        .size:           8
        .value_kind:     global_buffer
      - .actual_access:  read_only
        .address_space:  global
        .offset:         48
        .size:           8
        .value_kind:     global_buffer
      - .actual_access:  read_only
        .address_space:  global
        .offset:         56
        .size:           8
        .value_kind:     global_buffer
      - .actual_access:  read_only
        .address_space:  global
        .offset:         64
        .size:           8
        .value_kind:     global_buffer
      - .actual_access:  read_only
        .address_space:  global
        .offset:         72
        .size:           8
        .value_kind:     global_buffer
      - .offset:         80
        .size:           8
        .value_kind:     by_value
      - .address_space:  global
        .offset:         88
        .size:           8
        .value_kind:     global_buffer
      - .offset:         96
        .size:           4
        .value_kind:     by_value
      - .offset:         100
        .size:           1
        .value_kind:     by_value
    .group_segment_fixed_size: 0
    .kernarg_segment_align: 8
    .kernarg_segment_size: 104
    .language:       OpenCL C
    .language_version:
      - 2
      - 0
    .max_flat_workgroup_size: 128
    .name:           _ZN9rocsparseL18bsrxmvn_4x4_kernelILj128ELj32E21rocsparse_complex_numIfEllS2_S2_S2_EEvT3_20rocsparse_direction_NS_24const_host_device_scalarIT1_EES3_PKS3_PKT2_SC_S9_PKT4_PKT5_S7_PT6_21rocsparse_index_base_b
    .private_segment_fixed_size: 0
    .sgpr_count:     26
    .sgpr_spill_count: 0
    .symbol:         _ZN9rocsparseL18bsrxmvn_4x4_kernelILj128ELj32E21rocsparse_complex_numIfEllS2_S2_S2_EEvT3_20rocsparse_direction_NS_24const_host_device_scalarIT1_EES3_PKS3_PKT2_SC_S9_PKT4_PKT5_S7_PT6_21rocsparse_index_base_b.kd
    .uniform_work_group_size: 1
    .uses_dynamic_stack: false
    .vgpr_count:     106
    .vgpr_spill_count: 0
    .wavefront_size: 64
  - .agpr_count:     0
    .args:
      - .offset:         0
        .size:           8
        .value_kind:     by_value
      - .offset:         8
        .size:           4
        .value_kind:     by_value
      - .offset:         16
        .size:           8
        .value_kind:     by_value
      - .offset:         24
        .size:           8
        .value_kind:     by_value
      - .actual_access:  read_only
        .address_space:  global
        .offset:         32
        .size:           8
        .value_kind:     global_buffer
      - .actual_access:  read_only
        .address_space:  global
        .offset:         40
        .size:           8
        .value_kind:     global_buffer
      - .actual_access:  read_only
        .address_space:  global
        .offset:         48
        .size:           8
        .value_kind:     global_buffer
      - .actual_access:  read_only
        .address_space:  global
        .offset:         56
        .size:           8
        .value_kind:     global_buffer
      - .actual_access:  read_only
        .address_space:  global
        .offset:         64
        .size:           8
        .value_kind:     global_buffer
      - .actual_access:  read_only
        .address_space:  global
        .offset:         72
        .size:           8
        .value_kind:     global_buffer
      - .offset:         80
        .size:           8
        .value_kind:     by_value
      - .address_space:  global
        .offset:         88
        .size:           8
        .value_kind:     global_buffer
      - .offset:         96
        .size:           4
        .value_kind:     by_value
      - .offset:         100
        .size:           1
        .value_kind:     by_value
    .group_segment_fixed_size: 0
    .kernarg_segment_align: 8
    .kernarg_segment_size: 104
    .language:       OpenCL C
    .language_version:
      - 2
      - 0
    .max_flat_workgroup_size: 128
    .name:           _ZN9rocsparseL18bsrxmvn_4x4_kernelILj128ELj64E21rocsparse_complex_numIfEllS2_S2_S2_EEvT3_20rocsparse_direction_NS_24const_host_device_scalarIT1_EES3_PKS3_PKT2_SC_S9_PKT4_PKT5_S7_PT6_21rocsparse_index_base_b
    .private_segment_fixed_size: 0
    .sgpr_count:     26
    .sgpr_spill_count: 0
    .symbol:         _ZN9rocsparseL18bsrxmvn_4x4_kernelILj128ELj64E21rocsparse_complex_numIfEllS2_S2_S2_EEvT3_20rocsparse_direction_NS_24const_host_device_scalarIT1_EES3_PKS3_PKT2_SC_S9_PKT4_PKT5_S7_PT6_21rocsparse_index_base_b.kd
    .uniform_work_group_size: 1
    .uses_dynamic_stack: false
    .vgpr_count:     106
    .vgpr_spill_count: 0
    .wavefront_size: 64
  - .agpr_count:     0
    .args:
      - .offset:         0
        .size:           8
        .value_kind:     by_value
      - .offset:         8
        .size:           4
        .value_kind:     by_value
      - .offset:         16
        .size:           16
        .value_kind:     by_value
      - .offset:         32
        .size:           8
        .value_kind:     by_value
      - .actual_access:  read_only
        .address_space:  global
        .offset:         40
        .size:           8
        .value_kind:     global_buffer
      - .actual_access:  read_only
        .address_space:  global
        .offset:         48
        .size:           8
        .value_kind:     global_buffer
      - .actual_access:  read_only
        .address_space:  global
        .offset:         56
        .size:           8
        .value_kind:     global_buffer
      - .actual_access:  read_only
        .address_space:  global
        .offset:         64
        .size:           8
        .value_kind:     global_buffer
      - .actual_access:  read_only
        .address_space:  global
        .offset:         72
        .size:           8
        .value_kind:     global_buffer
      - .actual_access:  read_only
        .address_space:  global
        .offset:         80
        .size:           8
        .value_kind:     global_buffer
      - .offset:         88
        .size:           16
        .value_kind:     by_value
      - .address_space:  global
        .offset:         104
        .size:           8
        .value_kind:     global_buffer
      - .offset:         112
        .size:           4
        .value_kind:     by_value
      - .offset:         116
        .size:           1
        .value_kind:     by_value
    .group_segment_fixed_size: 2048
    .kernarg_segment_align: 8
    .kernarg_segment_size: 120
    .language:       OpenCL C
    .language_version:
      - 2
      - 0
    .max_flat_workgroup_size: 128
    .name:           _ZN9rocsparseL18bsrxmvn_4x4_kernelILj128ELj4E21rocsparse_complex_numIdEllS2_S2_S2_EEvT3_20rocsparse_direction_NS_24const_host_device_scalarIT1_EES3_PKS3_PKT2_SC_S9_PKT4_PKT5_S7_PT6_21rocsparse_index_base_b
    .private_segment_fixed_size: 0
    .sgpr_count:     26
    .sgpr_spill_count: 0
    .symbol:         _ZN9rocsparseL18bsrxmvn_4x4_kernelILj128ELj4E21rocsparse_complex_numIdEllS2_S2_S2_EEvT3_20rocsparse_direction_NS_24const_host_device_scalarIT1_EES3_PKS3_PKT2_SC_S9_PKT4_PKT5_S7_PT6_21rocsparse_index_base_b.kd
    .uniform_work_group_size: 1
    .uses_dynamic_stack: false
    .vgpr_count:     124
    .vgpr_spill_count: 0
    .wavefront_size: 64
  - .agpr_count:     0
    .args:
      - .offset:         0
        .size:           8
        .value_kind:     by_value
      - .offset:         8
        .size:           4
        .value_kind:     by_value
      - .offset:         16
        .size:           16
        .value_kind:     by_value
      - .offset:         32
        .size:           8
        .value_kind:     by_value
      - .actual_access:  read_only
        .address_space:  global
        .offset:         40
        .size:           8
        .value_kind:     global_buffer
      - .actual_access:  read_only
        .address_space:  global
        .offset:         48
        .size:           8
        .value_kind:     global_buffer
      - .actual_access:  read_only
        .address_space:  global
        .offset:         56
        .size:           8
        .value_kind:     global_buffer
      - .actual_access:  read_only
        .address_space:  global
        .offset:         64
        .size:           8
        .value_kind:     global_buffer
      - .actual_access:  read_only
        .address_space:  global
        .offset:         72
        .size:           8
        .value_kind:     global_buffer
      - .actual_access:  read_only
        .address_space:  global
        .offset:         80
        .size:           8
        .value_kind:     global_buffer
      - .offset:         88
        .size:           16
        .value_kind:     by_value
      - .address_space:  global
        .offset:         104
        .size:           8
        .value_kind:     global_buffer
      - .offset:         112
        .size:           4
        .value_kind:     by_value
      - .offset:         116
        .size:           1
        .value_kind:     by_value
    .group_segment_fixed_size: 2048
    .kernarg_segment_align: 8
    .kernarg_segment_size: 120
    .language:       OpenCL C
    .language_version:
      - 2
      - 0
    .max_flat_workgroup_size: 128
    .name:           _ZN9rocsparseL18bsrxmvn_4x4_kernelILj128ELj8E21rocsparse_complex_numIdEllS2_S2_S2_EEvT3_20rocsparse_direction_NS_24const_host_device_scalarIT1_EES3_PKS3_PKT2_SC_S9_PKT4_PKT5_S7_PT6_21rocsparse_index_base_b
    .private_segment_fixed_size: 0
    .sgpr_count:     26
    .sgpr_spill_count: 0
    .symbol:         _ZN9rocsparseL18bsrxmvn_4x4_kernelILj128ELj8E21rocsparse_complex_numIdEllS2_S2_S2_EEvT3_20rocsparse_direction_NS_24const_host_device_scalarIT1_EES3_PKS3_PKT2_SC_S9_PKT4_PKT5_S7_PT6_21rocsparse_index_base_b.kd
    .uniform_work_group_size: 1
    .uses_dynamic_stack: false
    .vgpr_count:     124
    .vgpr_spill_count: 0
    .wavefront_size: 64
  - .agpr_count:     0
    .args:
      - .offset:         0
        .size:           8
        .value_kind:     by_value
      - .offset:         8
        .size:           4
        .value_kind:     by_value
      - .offset:         16
        .size:           16
        .value_kind:     by_value
      - .offset:         32
        .size:           8
        .value_kind:     by_value
      - .actual_access:  read_only
        .address_space:  global
        .offset:         40
        .size:           8
        .value_kind:     global_buffer
      - .actual_access:  read_only
        .address_space:  global
        .offset:         48
        .size:           8
        .value_kind:     global_buffer
      - .actual_access:  read_only
        .address_space:  global
        .offset:         56
        .size:           8
        .value_kind:     global_buffer
      - .actual_access:  read_only
        .address_space:  global
        .offset:         64
        .size:           8
        .value_kind:     global_buffer
      - .actual_access:  read_only
        .address_space:  global
        .offset:         72
        .size:           8
        .value_kind:     global_buffer
      - .actual_access:  read_only
        .address_space:  global
        .offset:         80
        .size:           8
        .value_kind:     global_buffer
      - .offset:         88
        .size:           16
        .value_kind:     by_value
      - .address_space:  global
        .offset:         104
        .size:           8
        .value_kind:     global_buffer
      - .offset:         112
        .size:           4
        .value_kind:     by_value
      - .offset:         116
        .size:           1
        .value_kind:     by_value
    .group_segment_fixed_size: 2048
    .kernarg_segment_align: 8
    .kernarg_segment_size: 120
    .language:       OpenCL C
    .language_version:
      - 2
      - 0
    .max_flat_workgroup_size: 128
    .name:           _ZN9rocsparseL18bsrxmvn_4x4_kernelILj128ELj16E21rocsparse_complex_numIdEllS2_S2_S2_EEvT3_20rocsparse_direction_NS_24const_host_device_scalarIT1_EES3_PKS3_PKT2_SC_S9_PKT4_PKT5_S7_PT6_21rocsparse_index_base_b
    .private_segment_fixed_size: 0
    .sgpr_count:     27
    .sgpr_spill_count: 0
    .symbol:         _ZN9rocsparseL18bsrxmvn_4x4_kernelILj128ELj16E21rocsparse_complex_numIdEllS2_S2_S2_EEvT3_20rocsparse_direction_NS_24const_host_device_scalarIT1_EES3_PKS3_PKT2_SC_S9_PKT4_PKT5_S7_PT6_21rocsparse_index_base_b.kd
    .uniform_work_group_size: 1
    .uses_dynamic_stack: false
    .vgpr_count:     124
    .vgpr_spill_count: 0
    .wavefront_size: 64
  - .agpr_count:     0
    .args:
      - .offset:         0
        .size:           8
        .value_kind:     by_value
      - .offset:         8
        .size:           4
        .value_kind:     by_value
      - .offset:         16
        .size:           16
        .value_kind:     by_value
      - .offset:         32
        .size:           8
        .value_kind:     by_value
      - .actual_access:  read_only
        .address_space:  global
        .offset:         40
        .size:           8
        .value_kind:     global_buffer
      - .actual_access:  read_only
        .address_space:  global
        .offset:         48
        .size:           8
        .value_kind:     global_buffer
      - .actual_access:  read_only
        .address_space:  global
        .offset:         56
        .size:           8
        .value_kind:     global_buffer
      - .actual_access:  read_only
        .address_space:  global
        .offset:         64
        .size:           8
        .value_kind:     global_buffer
      - .actual_access:  read_only
        .address_space:  global
        .offset:         72
        .size:           8
        .value_kind:     global_buffer
      - .actual_access:  read_only
        .address_space:  global
        .offset:         80
        .size:           8
        .value_kind:     global_buffer
      - .offset:         88
        .size:           16
        .value_kind:     by_value
      - .address_space:  global
        .offset:         104
        .size:           8
        .value_kind:     global_buffer
      - .offset:         112
        .size:           4
        .value_kind:     by_value
      - .offset:         116
        .size:           1
        .value_kind:     by_value
    .group_segment_fixed_size: 2048
    .kernarg_segment_align: 8
    .kernarg_segment_size: 120
    .language:       OpenCL C
    .language_version:
      - 2
      - 0
    .max_flat_workgroup_size: 128
    .name:           _ZN9rocsparseL18bsrxmvn_4x4_kernelILj128ELj32E21rocsparse_complex_numIdEllS2_S2_S2_EEvT3_20rocsparse_direction_NS_24const_host_device_scalarIT1_EES3_PKS3_PKT2_SC_S9_PKT4_PKT5_S7_PT6_21rocsparse_index_base_b
    .private_segment_fixed_size: 0
    .sgpr_count:     27
    .sgpr_spill_count: 0
    .symbol:         _ZN9rocsparseL18bsrxmvn_4x4_kernelILj128ELj32E21rocsparse_complex_numIdEllS2_S2_S2_EEvT3_20rocsparse_direction_NS_24const_host_device_scalarIT1_EES3_PKS3_PKT2_SC_S9_PKT4_PKT5_S7_PT6_21rocsparse_index_base_b.kd
    .uniform_work_group_size: 1
    .uses_dynamic_stack: false
    .vgpr_count:     124
    .vgpr_spill_count: 0
    .wavefront_size: 64
  - .agpr_count:     0
    .args:
      - .offset:         0
        .size:           8
        .value_kind:     by_value
      - .offset:         8
        .size:           4
        .value_kind:     by_value
      - .offset:         16
        .size:           16
        .value_kind:     by_value
      - .offset:         32
        .size:           8
        .value_kind:     by_value
      - .actual_access:  read_only
        .address_space:  global
        .offset:         40
        .size:           8
        .value_kind:     global_buffer
      - .actual_access:  read_only
        .address_space:  global
        .offset:         48
        .size:           8
        .value_kind:     global_buffer
      - .actual_access:  read_only
        .address_space:  global
        .offset:         56
        .size:           8
        .value_kind:     global_buffer
      - .actual_access:  read_only
        .address_space:  global
        .offset:         64
        .size:           8
        .value_kind:     global_buffer
      - .actual_access:  read_only
        .address_space:  global
        .offset:         72
        .size:           8
        .value_kind:     global_buffer
      - .actual_access:  read_only
        .address_space:  global
        .offset:         80
        .size:           8
        .value_kind:     global_buffer
      - .offset:         88
        .size:           16
        .value_kind:     by_value
      - .address_space:  global
        .offset:         104
        .size:           8
        .value_kind:     global_buffer
      - .offset:         112
        .size:           4
        .value_kind:     by_value
      - .offset:         116
        .size:           1
        .value_kind:     by_value
    .group_segment_fixed_size: 2048
    .kernarg_segment_align: 8
    .kernarg_segment_size: 120
    .language:       OpenCL C
    .language_version:
      - 2
      - 0
    .max_flat_workgroup_size: 128
    .name:           _ZN9rocsparseL18bsrxmvn_4x4_kernelILj128ELj64E21rocsparse_complex_numIdEllS2_S2_S2_EEvT3_20rocsparse_direction_NS_24const_host_device_scalarIT1_EES3_PKS3_PKT2_SC_S9_PKT4_PKT5_S7_PT6_21rocsparse_index_base_b
    .private_segment_fixed_size: 0
    .sgpr_count:     27
    .sgpr_spill_count: 0
    .symbol:         _ZN9rocsparseL18bsrxmvn_4x4_kernelILj128ELj64E21rocsparse_complex_numIdEllS2_S2_S2_EEvT3_20rocsparse_direction_NS_24const_host_device_scalarIT1_EES3_PKS3_PKT2_SC_S9_PKT4_PKT5_S7_PT6_21rocsparse_index_base_b.kd
    .uniform_work_group_size: 1
    .uses_dynamic_stack: false
    .vgpr_count:     124
    .vgpr_spill_count: 0
    .wavefront_size: 64
  - .agpr_count:     0
    .args:
      - .offset:         0
        .size:           4
        .value_kind:     by_value
      - .offset:         4
        .size:           4
        .value_kind:     by_value
      - .offset:         8
        .size:           8
        .value_kind:     by_value
      - .offset:         16
        .size:           4
        .value_kind:     by_value
      - .actual_access:  read_only
        .address_space:  global
        .offset:         24
        .size:           8
        .value_kind:     global_buffer
      - .actual_access:  read_only
        .address_space:  global
        .offset:         32
        .size:           8
        .value_kind:     global_buffer
      - .actual_access:  read_only
        .address_space:  global
        .offset:         40
        .size:           8
        .value_kind:     global_buffer
      - .actual_access:  read_only
        .address_space:  global
        .offset:         48
        .size:           8
        .value_kind:     global_buffer
      - .actual_access:  read_only
        .address_space:  global
        .offset:         56
        .size:           8
        .value_kind:     global_buffer
      - .actual_access:  read_only
        .address_space:  global
        .offset:         64
        .size:           8
        .value_kind:     global_buffer
      - .offset:         72
        .size:           8
        .value_kind:     by_value
      - .address_space:  global
        .offset:         80
        .size:           8
        .value_kind:     global_buffer
      - .offset:         88
        .size:           4
        .value_kind:     by_value
      - .offset:         92
        .size:           1
        .value_kind:     by_value
    .group_segment_fixed_size: 0
    .kernarg_segment_align: 8
    .kernarg_segment_size: 96
    .language:       OpenCL C
    .language_version:
      - 2
      - 0
    .max_flat_workgroup_size: 128
    .name:           _ZN9rocsparseL18bsrxmvn_4x4_kernelILj128ELj4EiiiaaiEEvT3_20rocsparse_direction_NS_24const_host_device_scalarIT1_EES1_PKS1_PKT2_SA_S7_PKT4_PKT5_S5_PT6_21rocsparse_index_base_b
    .private_segment_fixed_size: 0
    .sgpr_count:     33
    .sgpr_spill_count: 0
    .symbol:         _ZN9rocsparseL18bsrxmvn_4x4_kernelILj128ELj4EiiiaaiEEvT3_20rocsparse_direction_NS_24const_host_device_scalarIT1_EES1_PKS1_PKT2_SA_S7_PKT4_PKT5_S5_PT6_21rocsparse_index_base_b.kd
    .uniform_work_group_size: 1
    .uses_dynamic_stack: false
    .vgpr_count:     54
    .vgpr_spill_count: 0
    .wavefront_size: 64
  - .agpr_count:     0
    .args:
      - .offset:         0
        .size:           4
        .value_kind:     by_value
      - .offset:         4
        .size:           4
        .value_kind:     by_value
      - .offset:         8
        .size:           8
        .value_kind:     by_value
      - .offset:         16
        .size:           4
        .value_kind:     by_value
      - .actual_access:  read_only
        .address_space:  global
        .offset:         24
        .size:           8
        .value_kind:     global_buffer
      - .actual_access:  read_only
        .address_space:  global
        .offset:         32
        .size:           8
        .value_kind:     global_buffer
      - .actual_access:  read_only
        .address_space:  global
        .offset:         40
        .size:           8
        .value_kind:     global_buffer
      - .actual_access:  read_only
        .address_space:  global
        .offset:         48
        .size:           8
        .value_kind:     global_buffer
      - .actual_access:  read_only
        .address_space:  global
        .offset:         56
        .size:           8
        .value_kind:     global_buffer
      - .actual_access:  read_only
        .address_space:  global
        .offset:         64
        .size:           8
        .value_kind:     global_buffer
      - .offset:         72
        .size:           8
        .value_kind:     by_value
      - .address_space:  global
        .offset:         80
        .size:           8
        .value_kind:     global_buffer
      - .offset:         88
        .size:           4
        .value_kind:     by_value
      - .offset:         92
        .size:           1
        .value_kind:     by_value
    .group_segment_fixed_size: 0
    .kernarg_segment_align: 8
    .kernarg_segment_size: 96
    .language:       OpenCL C
    .language_version:
      - 2
      - 0
    .max_flat_workgroup_size: 128
    .name:           _ZN9rocsparseL18bsrxmvn_4x4_kernelILj128ELj8EiiiaaiEEvT3_20rocsparse_direction_NS_24const_host_device_scalarIT1_EES1_PKS1_PKT2_SA_S7_PKT4_PKT5_S5_PT6_21rocsparse_index_base_b
    .private_segment_fixed_size: 0
    .sgpr_count:     33
    .sgpr_spill_count: 0
    .symbol:         _ZN9rocsparseL18bsrxmvn_4x4_kernelILj128ELj8EiiiaaiEEvT3_20rocsparse_direction_NS_24const_host_device_scalarIT1_EES1_PKS1_PKT2_SA_S7_PKT4_PKT5_S5_PT6_21rocsparse_index_base_b.kd
    .uniform_work_group_size: 1
    .uses_dynamic_stack: false
    .vgpr_count:     54
    .vgpr_spill_count: 0
    .wavefront_size: 64
  - .agpr_count:     0
    .args:
      - .offset:         0
        .size:           4
        .value_kind:     by_value
      - .offset:         4
        .size:           4
        .value_kind:     by_value
      - .offset:         8
        .size:           8
        .value_kind:     by_value
      - .offset:         16
        .size:           4
        .value_kind:     by_value
      - .actual_access:  read_only
        .address_space:  global
        .offset:         24
        .size:           8
        .value_kind:     global_buffer
      - .actual_access:  read_only
        .address_space:  global
        .offset:         32
        .size:           8
        .value_kind:     global_buffer
      - .actual_access:  read_only
        .address_space:  global
        .offset:         40
        .size:           8
        .value_kind:     global_buffer
      - .actual_access:  read_only
        .address_space:  global
        .offset:         48
        .size:           8
        .value_kind:     global_buffer
      - .actual_access:  read_only
        .address_space:  global
        .offset:         56
        .size:           8
        .value_kind:     global_buffer
      - .actual_access:  read_only
        .address_space:  global
        .offset:         64
        .size:           8
        .value_kind:     global_buffer
      - .offset:         72
        .size:           8
        .value_kind:     by_value
      - .address_space:  global
        .offset:         80
        .size:           8
        .value_kind:     global_buffer
      - .offset:         88
        .size:           4
        .value_kind:     by_value
      - .offset:         92
        .size:           1
        .value_kind:     by_value
    .group_segment_fixed_size: 0
    .kernarg_segment_align: 8
    .kernarg_segment_size: 96
    .language:       OpenCL C
    .language_version:
      - 2
      - 0
    .max_flat_workgroup_size: 128
    .name:           _ZN9rocsparseL18bsrxmvn_4x4_kernelILj128ELj16EiiiaaiEEvT3_20rocsparse_direction_NS_24const_host_device_scalarIT1_EES1_PKS1_PKT2_SA_S7_PKT4_PKT5_S5_PT6_21rocsparse_index_base_b
    .private_segment_fixed_size: 0
    .sgpr_count:     33
    .sgpr_spill_count: 0
    .symbol:         _ZN9rocsparseL18bsrxmvn_4x4_kernelILj128ELj16EiiiaaiEEvT3_20rocsparse_direction_NS_24const_host_device_scalarIT1_EES1_PKS1_PKT2_SA_S7_PKT4_PKT5_S5_PT6_21rocsparse_index_base_b.kd
    .uniform_work_group_size: 1
    .uses_dynamic_stack: false
    .vgpr_count:     54
    .vgpr_spill_count: 0
    .wavefront_size: 64
  - .agpr_count:     0
    .args:
      - .offset:         0
        .size:           4
        .value_kind:     by_value
      - .offset:         4
        .size:           4
        .value_kind:     by_value
      - .offset:         8
        .size:           8
        .value_kind:     by_value
      - .offset:         16
        .size:           4
        .value_kind:     by_value
      - .actual_access:  read_only
        .address_space:  global
        .offset:         24
        .size:           8
        .value_kind:     global_buffer
      - .actual_access:  read_only
        .address_space:  global
        .offset:         32
        .size:           8
        .value_kind:     global_buffer
      - .actual_access:  read_only
        .address_space:  global
        .offset:         40
        .size:           8
        .value_kind:     global_buffer
      - .actual_access:  read_only
        .address_space:  global
        .offset:         48
        .size:           8
        .value_kind:     global_buffer
      - .actual_access:  read_only
        .address_space:  global
        .offset:         56
        .size:           8
        .value_kind:     global_buffer
      - .actual_access:  read_only
        .address_space:  global
        .offset:         64
        .size:           8
        .value_kind:     global_buffer
      - .offset:         72
        .size:           8
        .value_kind:     by_value
      - .address_space:  global
        .offset:         80
        .size:           8
        .value_kind:     global_buffer
      - .offset:         88
        .size:           4
        .value_kind:     by_value
      - .offset:         92
        .size:           1
        .value_kind:     by_value
    .group_segment_fixed_size: 0
    .kernarg_segment_align: 8
    .kernarg_segment_size: 96
    .language:       OpenCL C
    .language_version:
      - 2
      - 0
    .max_flat_workgroup_size: 128
    .name:           _ZN9rocsparseL18bsrxmvn_4x4_kernelILj128ELj32EiiiaaiEEvT3_20rocsparse_direction_NS_24const_host_device_scalarIT1_EES1_PKS1_PKT2_SA_S7_PKT4_PKT5_S5_PT6_21rocsparse_index_base_b
    .private_segment_fixed_size: 0
    .sgpr_count:     33
    .sgpr_spill_count: 0
    .symbol:         _ZN9rocsparseL18bsrxmvn_4x4_kernelILj128ELj32EiiiaaiEEvT3_20rocsparse_direction_NS_24const_host_device_scalarIT1_EES1_PKS1_PKT2_SA_S7_PKT4_PKT5_S5_PT6_21rocsparse_index_base_b.kd
    .uniform_work_group_size: 1
    .uses_dynamic_stack: false
    .vgpr_count:     54
    .vgpr_spill_count: 0
    .wavefront_size: 64
  - .agpr_count:     0
    .args:
      - .offset:         0
        .size:           4
        .value_kind:     by_value
      - .offset:         4
        .size:           4
        .value_kind:     by_value
      - .offset:         8
        .size:           8
        .value_kind:     by_value
      - .offset:         16
        .size:           4
        .value_kind:     by_value
      - .actual_access:  read_only
        .address_space:  global
        .offset:         24
        .size:           8
        .value_kind:     global_buffer
      - .actual_access:  read_only
        .address_space:  global
        .offset:         32
        .size:           8
        .value_kind:     global_buffer
      - .actual_access:  read_only
        .address_space:  global
        .offset:         40
        .size:           8
        .value_kind:     global_buffer
      - .actual_access:  read_only
        .address_space:  global
        .offset:         48
        .size:           8
        .value_kind:     global_buffer
      - .actual_access:  read_only
        .address_space:  global
        .offset:         56
        .size:           8
        .value_kind:     global_buffer
      - .actual_access:  read_only
        .address_space:  global
        .offset:         64
        .size:           8
        .value_kind:     global_buffer
      - .offset:         72
        .size:           8
        .value_kind:     by_value
      - .address_space:  global
        .offset:         80
        .size:           8
        .value_kind:     global_buffer
      - .offset:         88
        .size:           4
        .value_kind:     by_value
      - .offset:         92
        .size:           1
        .value_kind:     by_value
    .group_segment_fixed_size: 0
    .kernarg_segment_align: 8
    .kernarg_segment_size: 96
    .language:       OpenCL C
    .language_version:
      - 2
      - 0
    .max_flat_workgroup_size: 128
    .name:           _ZN9rocsparseL18bsrxmvn_4x4_kernelILj128ELj64EiiiaaiEEvT3_20rocsparse_direction_NS_24const_host_device_scalarIT1_EES1_PKS1_PKT2_SA_S7_PKT4_PKT5_S5_PT6_21rocsparse_index_base_b
    .private_segment_fixed_size: 0
    .sgpr_count:     33
    .sgpr_spill_count: 0
    .symbol:         _ZN9rocsparseL18bsrxmvn_4x4_kernelILj128ELj64EiiiaaiEEvT3_20rocsparse_direction_NS_24const_host_device_scalarIT1_EES1_PKS1_PKT2_SA_S7_PKT4_PKT5_S5_PT6_21rocsparse_index_base_b.kd
    .uniform_work_group_size: 1
    .uses_dynamic_stack: false
    .vgpr_count:     51
    .vgpr_spill_count: 0
    .wavefront_size: 64
  - .agpr_count:     0
    .args:
      - .offset:         0
        .size:           4
        .value_kind:     by_value
      - .offset:         4
        .size:           4
        .value_kind:     by_value
      - .offset:         8
        .size:           8
        .value_kind:     by_value
      - .offset:         16
        .size:           4
        .value_kind:     by_value
      - .actual_access:  read_only
        .address_space:  global
        .offset:         24
        .size:           8
        .value_kind:     global_buffer
      - .actual_access:  read_only
        .address_space:  global
        .offset:         32
        .size:           8
        .value_kind:     global_buffer
      - .actual_access:  read_only
        .address_space:  global
        .offset:         40
        .size:           8
        .value_kind:     global_buffer
      - .actual_access:  read_only
        .address_space:  global
        .offset:         48
        .size:           8
        .value_kind:     global_buffer
      - .actual_access:  read_only
        .address_space:  global
        .offset:         56
        .size:           8
        .value_kind:     global_buffer
      - .actual_access:  read_only
        .address_space:  global
        .offset:         64
        .size:           8
        .value_kind:     global_buffer
      - .offset:         72
        .size:           8
        .value_kind:     by_value
      - .address_space:  global
        .offset:         80
        .size:           8
        .value_kind:     global_buffer
      - .offset:         88
        .size:           4
        .value_kind:     by_value
      - .offset:         92
        .size:           1
        .value_kind:     by_value
    .group_segment_fixed_size: 0
    .kernarg_segment_align: 8
    .kernarg_segment_size: 96
    .language:       OpenCL C
    .language_version:
      - 2
      - 0
    .max_flat_workgroup_size: 128
    .name:           _ZN9rocsparseL18bsrxmvn_4x4_kernelILj128ELj4EiliaaiEEvT3_20rocsparse_direction_NS_24const_host_device_scalarIT1_EES1_PKS1_PKT2_SA_S7_PKT4_PKT5_S5_PT6_21rocsparse_index_base_b
    .private_segment_fixed_size: 0
    .sgpr_count:     36
    .sgpr_spill_count: 0
    .symbol:         _ZN9rocsparseL18bsrxmvn_4x4_kernelILj128ELj4EiliaaiEEvT3_20rocsparse_direction_NS_24const_host_device_scalarIT1_EES1_PKS1_PKT2_SA_S7_PKT4_PKT5_S5_PT6_21rocsparse_index_base_b.kd
    .uniform_work_group_size: 1
    .uses_dynamic_stack: false
    .vgpr_count:     56
    .vgpr_spill_count: 0
    .wavefront_size: 64
  - .agpr_count:     0
    .args:
      - .offset:         0
        .size:           4
        .value_kind:     by_value
      - .offset:         4
        .size:           4
        .value_kind:     by_value
      - .offset:         8
        .size:           8
        .value_kind:     by_value
      - .offset:         16
        .size:           4
        .value_kind:     by_value
      - .actual_access:  read_only
        .address_space:  global
        .offset:         24
        .size:           8
        .value_kind:     global_buffer
      - .actual_access:  read_only
        .address_space:  global
        .offset:         32
        .size:           8
        .value_kind:     global_buffer
      - .actual_access:  read_only
        .address_space:  global
        .offset:         40
        .size:           8
        .value_kind:     global_buffer
      - .actual_access:  read_only
        .address_space:  global
        .offset:         48
        .size:           8
        .value_kind:     global_buffer
      - .actual_access:  read_only
        .address_space:  global
        .offset:         56
        .size:           8
        .value_kind:     global_buffer
      - .actual_access:  read_only
        .address_space:  global
        .offset:         64
        .size:           8
        .value_kind:     global_buffer
      - .offset:         72
        .size:           8
        .value_kind:     by_value
      - .address_space:  global
        .offset:         80
        .size:           8
        .value_kind:     global_buffer
      - .offset:         88
        .size:           4
        .value_kind:     by_value
      - .offset:         92
        .size:           1
        .value_kind:     by_value
    .group_segment_fixed_size: 0
    .kernarg_segment_align: 8
    .kernarg_segment_size: 96
    .language:       OpenCL C
    .language_version:
      - 2
      - 0
    .max_flat_workgroup_size: 128
    .name:           _ZN9rocsparseL18bsrxmvn_4x4_kernelILj128ELj8EiliaaiEEvT3_20rocsparse_direction_NS_24const_host_device_scalarIT1_EES1_PKS1_PKT2_SA_S7_PKT4_PKT5_S5_PT6_21rocsparse_index_base_b
    .private_segment_fixed_size: 0
    .sgpr_count:     39
    .sgpr_spill_count: 0
    .symbol:         _ZN9rocsparseL18bsrxmvn_4x4_kernelILj128ELj8EiliaaiEEvT3_20rocsparse_direction_NS_24const_host_device_scalarIT1_EES1_PKS1_PKT2_SA_S7_PKT4_PKT5_S5_PT6_21rocsparse_index_base_b.kd
    .uniform_work_group_size: 1
    .uses_dynamic_stack: false
    .vgpr_count:     56
    .vgpr_spill_count: 0
    .wavefront_size: 64
  - .agpr_count:     0
    .args:
      - .offset:         0
        .size:           4
        .value_kind:     by_value
      - .offset:         4
        .size:           4
        .value_kind:     by_value
      - .offset:         8
        .size:           8
        .value_kind:     by_value
      - .offset:         16
        .size:           4
        .value_kind:     by_value
      - .actual_access:  read_only
        .address_space:  global
        .offset:         24
        .size:           8
        .value_kind:     global_buffer
      - .actual_access:  read_only
        .address_space:  global
        .offset:         32
        .size:           8
        .value_kind:     global_buffer
      - .actual_access:  read_only
        .address_space:  global
        .offset:         40
        .size:           8
        .value_kind:     global_buffer
      - .actual_access:  read_only
        .address_space:  global
        .offset:         48
        .size:           8
        .value_kind:     global_buffer
      - .actual_access:  read_only
        .address_space:  global
        .offset:         56
        .size:           8
        .value_kind:     global_buffer
      - .actual_access:  read_only
        .address_space:  global
        .offset:         64
        .size:           8
        .value_kind:     global_buffer
      - .offset:         72
        .size:           8
        .value_kind:     by_value
      - .address_space:  global
        .offset:         80
        .size:           8
        .value_kind:     global_buffer
      - .offset:         88
        .size:           4
        .value_kind:     by_value
      - .offset:         92
        .size:           1
        .value_kind:     by_value
    .group_segment_fixed_size: 0
    .kernarg_segment_align: 8
    .kernarg_segment_size: 96
    .language:       OpenCL C
    .language_version:
      - 2
      - 0
    .max_flat_workgroup_size: 128
    .name:           _ZN9rocsparseL18bsrxmvn_4x4_kernelILj128ELj16EiliaaiEEvT3_20rocsparse_direction_NS_24const_host_device_scalarIT1_EES1_PKS1_PKT2_SA_S7_PKT4_PKT5_S5_PT6_21rocsparse_index_base_b
    .private_segment_fixed_size: 0
    .sgpr_count:     39
    .sgpr_spill_count: 0
    .symbol:         _ZN9rocsparseL18bsrxmvn_4x4_kernelILj128ELj16EiliaaiEEvT3_20rocsparse_direction_NS_24const_host_device_scalarIT1_EES1_PKS1_PKT2_SA_S7_PKT4_PKT5_S5_PT6_21rocsparse_index_base_b.kd
    .uniform_work_group_size: 1
    .uses_dynamic_stack: false
    .vgpr_count:     56
    .vgpr_spill_count: 0
    .wavefront_size: 64
  - .agpr_count:     0
    .args:
      - .offset:         0
        .size:           4
        .value_kind:     by_value
      - .offset:         4
        .size:           4
        .value_kind:     by_value
      - .offset:         8
        .size:           8
        .value_kind:     by_value
      - .offset:         16
        .size:           4
        .value_kind:     by_value
      - .actual_access:  read_only
        .address_space:  global
        .offset:         24
        .size:           8
        .value_kind:     global_buffer
      - .actual_access:  read_only
        .address_space:  global
        .offset:         32
        .size:           8
        .value_kind:     global_buffer
      - .actual_access:  read_only
        .address_space:  global
        .offset:         40
        .size:           8
        .value_kind:     global_buffer
      - .actual_access:  read_only
        .address_space:  global
        .offset:         48
        .size:           8
        .value_kind:     global_buffer
      - .actual_access:  read_only
        .address_space:  global
        .offset:         56
        .size:           8
        .value_kind:     global_buffer
      - .actual_access:  read_only
        .address_space:  global
        .offset:         64
        .size:           8
        .value_kind:     global_buffer
      - .offset:         72
        .size:           8
        .value_kind:     by_value
      - .address_space:  global
        .offset:         80
        .size:           8
        .value_kind:     global_buffer
      - .offset:         88
        .size:           4
        .value_kind:     by_value
      - .offset:         92
        .size:           1
        .value_kind:     by_value
    .group_segment_fixed_size: 0
    .kernarg_segment_align: 8
    .kernarg_segment_size: 96
    .language:       OpenCL C
    .language_version:
      - 2
      - 0
    .max_flat_workgroup_size: 128
    .name:           _ZN9rocsparseL18bsrxmvn_4x4_kernelILj128ELj32EiliaaiEEvT3_20rocsparse_direction_NS_24const_host_device_scalarIT1_EES1_PKS1_PKT2_SA_S7_PKT4_PKT5_S5_PT6_21rocsparse_index_base_b
    .private_segment_fixed_size: 0
    .sgpr_count:     40
    .sgpr_spill_count: 0
    .symbol:         _ZN9rocsparseL18bsrxmvn_4x4_kernelILj128ELj32EiliaaiEEvT3_20rocsparse_direction_NS_24const_host_device_scalarIT1_EES1_PKS1_PKT2_SA_S7_PKT4_PKT5_S5_PT6_21rocsparse_index_base_b.kd
    .uniform_work_group_size: 1
    .uses_dynamic_stack: false
    .vgpr_count:     56
    .vgpr_spill_count: 0
    .wavefront_size: 64
  - .agpr_count:     0
    .args:
      - .offset:         0
        .size:           4
        .value_kind:     by_value
      - .offset:         4
        .size:           4
        .value_kind:     by_value
      - .offset:         8
        .size:           8
        .value_kind:     by_value
      - .offset:         16
        .size:           4
        .value_kind:     by_value
      - .actual_access:  read_only
        .address_space:  global
        .offset:         24
        .size:           8
        .value_kind:     global_buffer
      - .actual_access:  read_only
        .address_space:  global
        .offset:         32
        .size:           8
        .value_kind:     global_buffer
      - .actual_access:  read_only
        .address_space:  global
        .offset:         40
        .size:           8
        .value_kind:     global_buffer
      - .actual_access:  read_only
        .address_space:  global
        .offset:         48
        .size:           8
        .value_kind:     global_buffer
      - .actual_access:  read_only
        .address_space:  global
        .offset:         56
        .size:           8
        .value_kind:     global_buffer
      - .actual_access:  read_only
        .address_space:  global
        .offset:         64
        .size:           8
        .value_kind:     global_buffer
      - .offset:         72
        .size:           8
        .value_kind:     by_value
      - .address_space:  global
        .offset:         80
        .size:           8
        .value_kind:     global_buffer
      - .offset:         88
        .size:           4
        .value_kind:     by_value
      - .offset:         92
        .size:           1
        .value_kind:     by_value
    .group_segment_fixed_size: 0
    .kernarg_segment_align: 8
    .kernarg_segment_size: 96
    .language:       OpenCL C
    .language_version:
      - 2
      - 0
    .max_flat_workgroup_size: 128
    .name:           _ZN9rocsparseL18bsrxmvn_4x4_kernelILj128ELj64EiliaaiEEvT3_20rocsparse_direction_NS_24const_host_device_scalarIT1_EES1_PKS1_PKT2_SA_S7_PKT4_PKT5_S5_PT6_21rocsparse_index_base_b
    .private_segment_fixed_size: 0
    .sgpr_count:     40
    .sgpr_spill_count: 0
    .symbol:         _ZN9rocsparseL18bsrxmvn_4x4_kernelILj128ELj64EiliaaiEEvT3_20rocsparse_direction_NS_24const_host_device_scalarIT1_EES1_PKS1_PKT2_SA_S7_PKT4_PKT5_S5_PT6_21rocsparse_index_base_b.kd
    .uniform_work_group_size: 1
    .uses_dynamic_stack: false
    .vgpr_count:     56
    .vgpr_spill_count: 0
    .wavefront_size: 64
  - .agpr_count:     0
    .args:
      - .offset:         0
        .size:           8
        .value_kind:     by_value
      - .offset:         8
        .size:           4
        .value_kind:     by_value
      - .offset:         16
        .size:           8
        .value_kind:     by_value
      - .offset:         24
        .size:           8
        .value_kind:     by_value
      - .actual_access:  read_only
        .address_space:  global
        .offset:         32
        .size:           8
        .value_kind:     global_buffer
      - .actual_access:  read_only
        .address_space:  global
        .offset:         40
        .size:           8
        .value_kind:     global_buffer
      - .actual_access:  read_only
        .address_space:  global
        .offset:         48
        .size:           8
        .value_kind:     global_buffer
      - .actual_access:  read_only
        .address_space:  global
        .offset:         56
        .size:           8
        .value_kind:     global_buffer
      - .actual_access:  read_only
        .address_space:  global
        .offset:         64
        .size:           8
        .value_kind:     global_buffer
      - .actual_access:  read_only
        .address_space:  global
        .offset:         72
        .size:           8
        .value_kind:     global_buffer
      - .offset:         80
        .size:           8
        .value_kind:     by_value
      - .address_space:  global
        .offset:         88
        .size:           8
        .value_kind:     global_buffer
      - .offset:         96
        .size:           4
        .value_kind:     by_value
      - .offset:         100
        .size:           1
        .value_kind:     by_value
    .group_segment_fixed_size: 0
    .kernarg_segment_align: 8
    .kernarg_segment_size: 104
    .language:       OpenCL C
    .language_version:
      - 2
      - 0
    .max_flat_workgroup_size: 128
    .name:           _ZN9rocsparseL18bsrxmvn_4x4_kernelILj128ELj4EillaaiEEvT3_20rocsparse_direction_NS_24const_host_device_scalarIT1_EES1_PKS1_PKT2_SA_S7_PKT4_PKT5_S5_PT6_21rocsparse_index_base_b
    .private_segment_fixed_size: 0
    .sgpr_count:     33
    .sgpr_spill_count: 0
    .symbol:         _ZN9rocsparseL18bsrxmvn_4x4_kernelILj128ELj4EillaaiEEvT3_20rocsparse_direction_NS_24const_host_device_scalarIT1_EES1_PKS1_PKT2_SA_S7_PKT4_PKT5_S5_PT6_21rocsparse_index_base_b.kd
    .uniform_work_group_size: 1
    .uses_dynamic_stack: false
    .vgpr_count:     58
    .vgpr_spill_count: 0
    .wavefront_size: 64
  - .agpr_count:     0
    .args:
      - .offset:         0
        .size:           8
        .value_kind:     by_value
      - .offset:         8
        .size:           4
        .value_kind:     by_value
      - .offset:         16
        .size:           8
        .value_kind:     by_value
      - .offset:         24
        .size:           8
        .value_kind:     by_value
      - .actual_access:  read_only
        .address_space:  global
        .offset:         32
        .size:           8
        .value_kind:     global_buffer
      - .actual_access:  read_only
        .address_space:  global
        .offset:         40
        .size:           8
        .value_kind:     global_buffer
      - .actual_access:  read_only
        .address_space:  global
        .offset:         48
        .size:           8
        .value_kind:     global_buffer
      - .actual_access:  read_only
        .address_space:  global
        .offset:         56
        .size:           8
        .value_kind:     global_buffer
      - .actual_access:  read_only
        .address_space:  global
        .offset:         64
        .size:           8
        .value_kind:     global_buffer
      - .actual_access:  read_only
        .address_space:  global
        .offset:         72
        .size:           8
        .value_kind:     global_buffer
      - .offset:         80
        .size:           8
        .value_kind:     by_value
      - .address_space:  global
        .offset:         88
        .size:           8
        .value_kind:     global_buffer
      - .offset:         96
        .size:           4
        .value_kind:     by_value
      - .offset:         100
        .size:           1
        .value_kind:     by_value
    .group_segment_fixed_size: 0
    .kernarg_segment_align: 8
    .kernarg_segment_size: 104
    .language:       OpenCL C
    .language_version:
      - 2
      - 0
    .max_flat_workgroup_size: 128
    .name:           _ZN9rocsparseL18bsrxmvn_4x4_kernelILj128ELj8EillaaiEEvT3_20rocsparse_direction_NS_24const_host_device_scalarIT1_EES1_PKS1_PKT2_SA_S7_PKT4_PKT5_S5_PT6_21rocsparse_index_base_b
    .private_segment_fixed_size: 0
    .sgpr_count:     33
    .sgpr_spill_count: 0
    .symbol:         _ZN9rocsparseL18bsrxmvn_4x4_kernelILj128ELj8EillaaiEEvT3_20rocsparse_direction_NS_24const_host_device_scalarIT1_EES1_PKS1_PKT2_SA_S7_PKT4_PKT5_S5_PT6_21rocsparse_index_base_b.kd
    .uniform_work_group_size: 1
    .uses_dynamic_stack: false
    .vgpr_count:     58
    .vgpr_spill_count: 0
    .wavefront_size: 64
  - .agpr_count:     0
    .args:
      - .offset:         0
        .size:           8
        .value_kind:     by_value
      - .offset:         8
        .size:           4
        .value_kind:     by_value
      - .offset:         16
        .size:           8
        .value_kind:     by_value
      - .offset:         24
        .size:           8
        .value_kind:     by_value
      - .actual_access:  read_only
        .address_space:  global
        .offset:         32
        .size:           8
        .value_kind:     global_buffer
      - .actual_access:  read_only
        .address_space:  global
        .offset:         40
        .size:           8
        .value_kind:     global_buffer
      - .actual_access:  read_only
        .address_space:  global
        .offset:         48
        .size:           8
        .value_kind:     global_buffer
      - .actual_access:  read_only
        .address_space:  global
        .offset:         56
        .size:           8
        .value_kind:     global_buffer
      - .actual_access:  read_only
        .address_space:  global
        .offset:         64
        .size:           8
        .value_kind:     global_buffer
      - .actual_access:  read_only
        .address_space:  global
        .offset:         72
        .size:           8
        .value_kind:     global_buffer
      - .offset:         80
        .size:           8
        .value_kind:     by_value
      - .address_space:  global
        .offset:         88
        .size:           8
        .value_kind:     global_buffer
      - .offset:         96
        .size:           4
        .value_kind:     by_value
      - .offset:         100
        .size:           1
        .value_kind:     by_value
    .group_segment_fixed_size: 0
    .kernarg_segment_align: 8
    .kernarg_segment_size: 104
    .language:       OpenCL C
    .language_version:
      - 2
      - 0
    .max_flat_workgroup_size: 128
    .name:           _ZN9rocsparseL18bsrxmvn_4x4_kernelILj128ELj16EillaaiEEvT3_20rocsparse_direction_NS_24const_host_device_scalarIT1_EES1_PKS1_PKT2_SA_S7_PKT4_PKT5_S5_PT6_21rocsparse_index_base_b
    .private_segment_fixed_size: 0
    .sgpr_count:     33
    .sgpr_spill_count: 0
    .symbol:         _ZN9rocsparseL18bsrxmvn_4x4_kernelILj128ELj16EillaaiEEvT3_20rocsparse_direction_NS_24const_host_device_scalarIT1_EES1_PKS1_PKT2_SA_S7_PKT4_PKT5_S5_PT6_21rocsparse_index_base_b.kd
    .uniform_work_group_size: 1
    .uses_dynamic_stack: false
    .vgpr_count:     58
    .vgpr_spill_count: 0
    .wavefront_size: 64
  - .agpr_count:     0
    .args:
      - .offset:         0
        .size:           8
        .value_kind:     by_value
      - .offset:         8
        .size:           4
        .value_kind:     by_value
      - .offset:         16
        .size:           8
        .value_kind:     by_value
      - .offset:         24
        .size:           8
        .value_kind:     by_value
      - .actual_access:  read_only
        .address_space:  global
        .offset:         32
        .size:           8
        .value_kind:     global_buffer
      - .actual_access:  read_only
        .address_space:  global
        .offset:         40
        .size:           8
        .value_kind:     global_buffer
      - .actual_access:  read_only
        .address_space:  global
        .offset:         48
        .size:           8
        .value_kind:     global_buffer
      - .actual_access:  read_only
        .address_space:  global
        .offset:         56
        .size:           8
        .value_kind:     global_buffer
      - .actual_access:  read_only
        .address_space:  global
        .offset:         64
        .size:           8
        .value_kind:     global_buffer
      - .actual_access:  read_only
        .address_space:  global
        .offset:         72
        .size:           8
        .value_kind:     global_buffer
      - .offset:         80
        .size:           8
        .value_kind:     by_value
      - .address_space:  global
        .offset:         88
        .size:           8
        .value_kind:     global_buffer
      - .offset:         96
        .size:           4
        .value_kind:     by_value
      - .offset:         100
        .size:           1
        .value_kind:     by_value
    .group_segment_fixed_size: 0
    .kernarg_segment_align: 8
    .kernarg_segment_size: 104
    .language:       OpenCL C
    .language_version:
      - 2
      - 0
    .max_flat_workgroup_size: 128
    .name:           _ZN9rocsparseL18bsrxmvn_4x4_kernelILj128ELj32EillaaiEEvT3_20rocsparse_direction_NS_24const_host_device_scalarIT1_EES1_PKS1_PKT2_SA_S7_PKT4_PKT5_S5_PT6_21rocsparse_index_base_b
    .private_segment_fixed_size: 0
    .sgpr_count:     34
    .sgpr_spill_count: 0
    .symbol:         _ZN9rocsparseL18bsrxmvn_4x4_kernelILj128ELj32EillaaiEEvT3_20rocsparse_direction_NS_24const_host_device_scalarIT1_EES1_PKS1_PKT2_SA_S7_PKT4_PKT5_S5_PT6_21rocsparse_index_base_b.kd
    .uniform_work_group_size: 1
    .uses_dynamic_stack: false
    .vgpr_count:     58
    .vgpr_spill_count: 0
    .wavefront_size: 64
  - .agpr_count:     0
    .args:
      - .offset:         0
        .size:           8
        .value_kind:     by_value
      - .offset:         8
        .size:           4
        .value_kind:     by_value
      - .offset:         16
        .size:           8
        .value_kind:     by_value
      - .offset:         24
        .size:           8
        .value_kind:     by_value
      - .actual_access:  read_only
        .address_space:  global
        .offset:         32
        .size:           8
        .value_kind:     global_buffer
      - .actual_access:  read_only
        .address_space:  global
        .offset:         40
        .size:           8
        .value_kind:     global_buffer
      - .actual_access:  read_only
        .address_space:  global
        .offset:         48
        .size:           8
        .value_kind:     global_buffer
      - .actual_access:  read_only
        .address_space:  global
        .offset:         56
        .size:           8
        .value_kind:     global_buffer
      - .actual_access:  read_only
        .address_space:  global
        .offset:         64
        .size:           8
        .value_kind:     global_buffer
      - .actual_access:  read_only
        .address_space:  global
        .offset:         72
        .size:           8
        .value_kind:     global_buffer
      - .offset:         80
        .size:           8
        .value_kind:     by_value
      - .address_space:  global
        .offset:         88
        .size:           8
        .value_kind:     global_buffer
      - .offset:         96
        .size:           4
        .value_kind:     by_value
      - .offset:         100
        .size:           1
        .value_kind:     by_value
    .group_segment_fixed_size: 0
    .kernarg_segment_align: 8
    .kernarg_segment_size: 104
    .language:       OpenCL C
    .language_version:
      - 2
      - 0
    .max_flat_workgroup_size: 128
    .name:           _ZN9rocsparseL18bsrxmvn_4x4_kernelILj128ELj64EillaaiEEvT3_20rocsparse_direction_NS_24const_host_device_scalarIT1_EES1_PKS1_PKT2_SA_S7_PKT4_PKT5_S5_PT6_21rocsparse_index_base_b
    .private_segment_fixed_size: 0
    .sgpr_count:     34
    .sgpr_spill_count: 0
    .symbol:         _ZN9rocsparseL18bsrxmvn_4x4_kernelILj128ELj64EillaaiEEvT3_20rocsparse_direction_NS_24const_host_device_scalarIT1_EES1_PKS1_PKT2_SA_S7_PKT4_PKT5_S5_PT6_21rocsparse_index_base_b.kd
    .uniform_work_group_size: 1
    .uses_dynamic_stack: false
    .vgpr_count:     58
    .vgpr_spill_count: 0
    .wavefront_size: 64
  - .agpr_count:     0
    .args:
      - .offset:         0
        .size:           4
        .value_kind:     by_value
      - .offset:         4
        .size:           4
        .value_kind:     by_value
      - .offset:         8
        .size:           8
        .value_kind:     by_value
      - .offset:         16
        .size:           4
        .value_kind:     by_value
      - .actual_access:  read_only
        .address_space:  global
        .offset:         24
        .size:           8
        .value_kind:     global_buffer
      - .actual_access:  read_only
        .address_space:  global
        .offset:         32
        .size:           8
        .value_kind:     global_buffer
      - .actual_access:  read_only
        .address_space:  global
        .offset:         40
        .size:           8
        .value_kind:     global_buffer
      - .actual_access:  read_only
        .address_space:  global
        .offset:         48
        .size:           8
        .value_kind:     global_buffer
      - .actual_access:  read_only
        .address_space:  global
        .offset:         56
        .size:           8
        .value_kind:     global_buffer
      - .actual_access:  read_only
        .address_space:  global
        .offset:         64
        .size:           8
        .value_kind:     global_buffer
      - .offset:         72
        .size:           8
        .value_kind:     by_value
      - .address_space:  global
        .offset:         80
        .size:           8
        .value_kind:     global_buffer
      - .offset:         88
        .size:           4
        .value_kind:     by_value
      - .offset:         92
        .size:           1
        .value_kind:     by_value
    .group_segment_fixed_size: 0
    .kernarg_segment_align: 8
    .kernarg_segment_size: 96
    .language:       OpenCL C
    .language_version:
      - 2
      - 0
    .max_flat_workgroup_size: 128
    .name:           _ZN9rocsparseL18bsrxmvn_4x4_kernelILj128ELj4EfiiaafEEvT3_20rocsparse_direction_NS_24const_host_device_scalarIT1_EES1_PKS1_PKT2_SA_S7_PKT4_PKT5_S5_PT6_21rocsparse_index_base_b
    .private_segment_fixed_size: 0
    .sgpr_count:     26
    .sgpr_spill_count: 0
    .symbol:         _ZN9rocsparseL18bsrxmvn_4x4_kernelILj128ELj4EfiiaafEEvT3_20rocsparse_direction_NS_24const_host_device_scalarIT1_EES1_PKS1_PKT2_SA_S7_PKT4_PKT5_S5_PT6_21rocsparse_index_base_b.kd
    .uniform_work_group_size: 1
    .uses_dynamic_stack: false
    .vgpr_count:     74
    .vgpr_spill_count: 0
    .wavefront_size: 64
  - .agpr_count:     0
    .args:
      - .offset:         0
        .size:           4
        .value_kind:     by_value
      - .offset:         4
        .size:           4
        .value_kind:     by_value
      - .offset:         8
        .size:           8
        .value_kind:     by_value
      - .offset:         16
        .size:           4
        .value_kind:     by_value
      - .actual_access:  read_only
        .address_space:  global
        .offset:         24
        .size:           8
        .value_kind:     global_buffer
      - .actual_access:  read_only
        .address_space:  global
        .offset:         32
        .size:           8
        .value_kind:     global_buffer
      - .actual_access:  read_only
        .address_space:  global
        .offset:         40
        .size:           8
        .value_kind:     global_buffer
      - .actual_access:  read_only
        .address_space:  global
        .offset:         48
        .size:           8
        .value_kind:     global_buffer
      - .actual_access:  read_only
        .address_space:  global
        .offset:         56
        .size:           8
        .value_kind:     global_buffer
      - .actual_access:  read_only
        .address_space:  global
        .offset:         64
        .size:           8
        .value_kind:     global_buffer
      - .offset:         72
        .size:           8
        .value_kind:     by_value
      - .address_space:  global
        .offset:         80
        .size:           8
        .value_kind:     global_buffer
      - .offset:         88
        .size:           4
        .value_kind:     by_value
      - .offset:         92
        .size:           1
        .value_kind:     by_value
    .group_segment_fixed_size: 0
    .kernarg_segment_align: 8
    .kernarg_segment_size: 96
    .language:       OpenCL C
    .language_version:
      - 2
      - 0
    .max_flat_workgroup_size: 128
    .name:           _ZN9rocsparseL18bsrxmvn_4x4_kernelILj128ELj8EfiiaafEEvT3_20rocsparse_direction_NS_24const_host_device_scalarIT1_EES1_PKS1_PKT2_SA_S7_PKT4_PKT5_S5_PT6_21rocsparse_index_base_b
    .private_segment_fixed_size: 0
    .sgpr_count:     26
    .sgpr_spill_count: 0
    .symbol:         _ZN9rocsparseL18bsrxmvn_4x4_kernelILj128ELj8EfiiaafEEvT3_20rocsparse_direction_NS_24const_host_device_scalarIT1_EES1_PKS1_PKT2_SA_S7_PKT4_PKT5_S5_PT6_21rocsparse_index_base_b.kd
    .uniform_work_group_size: 1
    .uses_dynamic_stack: false
    .vgpr_count:     71
    .vgpr_spill_count: 0
    .wavefront_size: 64
  - .agpr_count:     0
    .args:
      - .offset:         0
        .size:           4
        .value_kind:     by_value
      - .offset:         4
        .size:           4
        .value_kind:     by_value
      - .offset:         8
        .size:           8
        .value_kind:     by_value
      - .offset:         16
        .size:           4
        .value_kind:     by_value
      - .actual_access:  read_only
        .address_space:  global
        .offset:         24
        .size:           8
        .value_kind:     global_buffer
      - .actual_access:  read_only
        .address_space:  global
        .offset:         32
        .size:           8
        .value_kind:     global_buffer
      - .actual_access:  read_only
        .address_space:  global
        .offset:         40
        .size:           8
        .value_kind:     global_buffer
      - .actual_access:  read_only
        .address_space:  global
        .offset:         48
        .size:           8
        .value_kind:     global_buffer
      - .actual_access:  read_only
        .address_space:  global
        .offset:         56
        .size:           8
        .value_kind:     global_buffer
      - .actual_access:  read_only
        .address_space:  global
        .offset:         64
        .size:           8
        .value_kind:     global_buffer
      - .offset:         72
        .size:           8
        .value_kind:     by_value
      - .address_space:  global
        .offset:         80
        .size:           8
        .value_kind:     global_buffer
      - .offset:         88
        .size:           4
        .value_kind:     by_value
      - .offset:         92
        .size:           1
        .value_kind:     by_value
    .group_segment_fixed_size: 0
    .kernarg_segment_align: 8
    .kernarg_segment_size: 96
    .language:       OpenCL C
    .language_version:
      - 2
      - 0
    .max_flat_workgroup_size: 128
    .name:           _ZN9rocsparseL18bsrxmvn_4x4_kernelILj128ELj16EfiiaafEEvT3_20rocsparse_direction_NS_24const_host_device_scalarIT1_EES1_PKS1_PKT2_SA_S7_PKT4_PKT5_S5_PT6_21rocsparse_index_base_b
    .private_segment_fixed_size: 0
    .sgpr_count:     26
    .sgpr_spill_count: 0
    .symbol:         _ZN9rocsparseL18bsrxmvn_4x4_kernelILj128ELj16EfiiaafEEvT3_20rocsparse_direction_NS_24const_host_device_scalarIT1_EES1_PKS1_PKT2_SA_S7_PKT4_PKT5_S5_PT6_21rocsparse_index_base_b.kd
    .uniform_work_group_size: 1
    .uses_dynamic_stack: false
    .vgpr_count:     69
    .vgpr_spill_count: 0
    .wavefront_size: 64
  - .agpr_count:     0
    .args:
      - .offset:         0
        .size:           4
        .value_kind:     by_value
      - .offset:         4
        .size:           4
        .value_kind:     by_value
      - .offset:         8
        .size:           8
        .value_kind:     by_value
      - .offset:         16
        .size:           4
        .value_kind:     by_value
      - .actual_access:  read_only
        .address_space:  global
        .offset:         24
        .size:           8
        .value_kind:     global_buffer
      - .actual_access:  read_only
        .address_space:  global
        .offset:         32
        .size:           8
        .value_kind:     global_buffer
      - .actual_access:  read_only
        .address_space:  global
        .offset:         40
        .size:           8
        .value_kind:     global_buffer
      - .actual_access:  read_only
        .address_space:  global
        .offset:         48
        .size:           8
        .value_kind:     global_buffer
      - .actual_access:  read_only
        .address_space:  global
        .offset:         56
        .size:           8
        .value_kind:     global_buffer
      - .actual_access:  read_only
        .address_space:  global
        .offset:         64
        .size:           8
        .value_kind:     global_buffer
      - .offset:         72
        .size:           8
        .value_kind:     by_value
      - .address_space:  global
        .offset:         80
        .size:           8
        .value_kind:     global_buffer
      - .offset:         88
        .size:           4
        .value_kind:     by_value
      - .offset:         92
        .size:           1
        .value_kind:     by_value
    .group_segment_fixed_size: 0
    .kernarg_segment_align: 8
    .kernarg_segment_size: 96
    .language:       OpenCL C
    .language_version:
      - 2
      - 0
    .max_flat_workgroup_size: 128
    .name:           _ZN9rocsparseL18bsrxmvn_4x4_kernelILj128ELj32EfiiaafEEvT3_20rocsparse_direction_NS_24const_host_device_scalarIT1_EES1_PKS1_PKT2_SA_S7_PKT4_PKT5_S5_PT6_21rocsparse_index_base_b
    .private_segment_fixed_size: 0
    .sgpr_count:     24
    .sgpr_spill_count: 0
    .symbol:         _ZN9rocsparseL18bsrxmvn_4x4_kernelILj128ELj32EfiiaafEEvT3_20rocsparse_direction_NS_24const_host_device_scalarIT1_EES1_PKS1_PKT2_SA_S7_PKT4_PKT5_S5_PT6_21rocsparse_index_base_b.kd
    .uniform_work_group_size: 1
    .uses_dynamic_stack: false
    .vgpr_count:     70
    .vgpr_spill_count: 0
    .wavefront_size: 64
  - .agpr_count:     0
    .args:
      - .offset:         0
        .size:           4
        .value_kind:     by_value
      - .offset:         4
        .size:           4
        .value_kind:     by_value
      - .offset:         8
        .size:           8
        .value_kind:     by_value
      - .offset:         16
        .size:           4
        .value_kind:     by_value
      - .actual_access:  read_only
        .address_space:  global
        .offset:         24
        .size:           8
        .value_kind:     global_buffer
      - .actual_access:  read_only
        .address_space:  global
        .offset:         32
        .size:           8
        .value_kind:     global_buffer
      - .actual_access:  read_only
        .address_space:  global
        .offset:         40
        .size:           8
        .value_kind:     global_buffer
      - .actual_access:  read_only
        .address_space:  global
        .offset:         48
        .size:           8
        .value_kind:     global_buffer
      - .actual_access:  read_only
        .address_space:  global
        .offset:         56
        .size:           8
        .value_kind:     global_buffer
      - .actual_access:  read_only
        .address_space:  global
        .offset:         64
        .size:           8
        .value_kind:     global_buffer
      - .offset:         72
        .size:           8
        .value_kind:     by_value
      - .address_space:  global
        .offset:         80
        .size:           8
        .value_kind:     global_buffer
      - .offset:         88
        .size:           4
        .value_kind:     by_value
      - .offset:         92
        .size:           1
        .value_kind:     by_value
    .group_segment_fixed_size: 0
    .kernarg_segment_align: 8
    .kernarg_segment_size: 96
    .language:       OpenCL C
    .language_version:
      - 2
      - 0
    .max_flat_workgroup_size: 128
    .name:           _ZN9rocsparseL18bsrxmvn_4x4_kernelILj128ELj64EfiiaafEEvT3_20rocsparse_direction_NS_24const_host_device_scalarIT1_EES1_PKS1_PKT2_SA_S7_PKT4_PKT5_S5_PT6_21rocsparse_index_base_b
    .private_segment_fixed_size: 0
    .sgpr_count:     24
    .sgpr_spill_count: 0
    .symbol:         _ZN9rocsparseL18bsrxmvn_4x4_kernelILj128ELj64EfiiaafEEvT3_20rocsparse_direction_NS_24const_host_device_scalarIT1_EES1_PKS1_PKT2_SA_S7_PKT4_PKT5_S5_PT6_21rocsparse_index_base_b.kd
    .uniform_work_group_size: 1
    .uses_dynamic_stack: false
    .vgpr_count:     96
    .vgpr_spill_count: 0
    .wavefront_size: 64
  - .agpr_count:     0
    .args:
      - .offset:         0
        .size:           4
        .value_kind:     by_value
      - .offset:         4
        .size:           4
        .value_kind:     by_value
      - .offset:         8
        .size:           8
        .value_kind:     by_value
      - .offset:         16
        .size:           4
        .value_kind:     by_value
      - .actual_access:  read_only
        .address_space:  global
        .offset:         24
        .size:           8
        .value_kind:     global_buffer
      - .actual_access:  read_only
        .address_space:  global
        .offset:         32
        .size:           8
        .value_kind:     global_buffer
      - .actual_access:  read_only
        .address_space:  global
        .offset:         40
        .size:           8
        .value_kind:     global_buffer
      - .actual_access:  read_only
        .address_space:  global
        .offset:         48
        .size:           8
        .value_kind:     global_buffer
      - .actual_access:  read_only
        .address_space:  global
        .offset:         56
        .size:           8
        .value_kind:     global_buffer
      - .actual_access:  read_only
        .address_space:  global
        .offset:         64
        .size:           8
        .value_kind:     global_buffer
      - .offset:         72
        .size:           8
        .value_kind:     by_value
      - .address_space:  global
        .offset:         80
        .size:           8
        .value_kind:     global_buffer
      - .offset:         88
        .size:           4
        .value_kind:     by_value
      - .offset:         92
        .size:           1
        .value_kind:     by_value
    .group_segment_fixed_size: 0
    .kernarg_segment_align: 8
    .kernarg_segment_size: 96
    .language:       OpenCL C
    .language_version:
      - 2
      - 0
    .max_flat_workgroup_size: 128
    .name:           _ZN9rocsparseL18bsrxmvn_4x4_kernelILj128ELj4EfliaafEEvT3_20rocsparse_direction_NS_24const_host_device_scalarIT1_EES1_PKS1_PKT2_SA_S7_PKT4_PKT5_S5_PT6_21rocsparse_index_base_b
    .private_segment_fixed_size: 0
    .sgpr_count:     30
    .sgpr_spill_count: 0
    .symbol:         _ZN9rocsparseL18bsrxmvn_4x4_kernelILj128ELj4EfliaafEEvT3_20rocsparse_direction_NS_24const_host_device_scalarIT1_EES1_PKS1_PKT2_SA_S7_PKT4_PKT5_S5_PT6_21rocsparse_index_base_b.kd
    .uniform_work_group_size: 1
    .uses_dynamic_stack: false
    .vgpr_count:     113
    .vgpr_spill_count: 0
    .wavefront_size: 64
  - .agpr_count:     0
    .args:
      - .offset:         0
        .size:           4
        .value_kind:     by_value
      - .offset:         4
        .size:           4
        .value_kind:     by_value
      - .offset:         8
        .size:           8
        .value_kind:     by_value
      - .offset:         16
        .size:           4
        .value_kind:     by_value
      - .actual_access:  read_only
        .address_space:  global
        .offset:         24
        .size:           8
        .value_kind:     global_buffer
      - .actual_access:  read_only
        .address_space:  global
        .offset:         32
        .size:           8
        .value_kind:     global_buffer
      - .actual_access:  read_only
        .address_space:  global
        .offset:         40
        .size:           8
        .value_kind:     global_buffer
      - .actual_access:  read_only
        .address_space:  global
        .offset:         48
        .size:           8
        .value_kind:     global_buffer
      - .actual_access:  read_only
        .address_space:  global
        .offset:         56
        .size:           8
        .value_kind:     global_buffer
      - .actual_access:  read_only
        .address_space:  global
        .offset:         64
        .size:           8
        .value_kind:     global_buffer
      - .offset:         72
        .size:           8
        .value_kind:     by_value
      - .address_space:  global
        .offset:         80
        .size:           8
        .value_kind:     global_buffer
      - .offset:         88
        .size:           4
        .value_kind:     by_value
      - .offset:         92
        .size:           1
        .value_kind:     by_value
    .group_segment_fixed_size: 0
    .kernarg_segment_align: 8
    .kernarg_segment_size: 96
    .language:       OpenCL C
    .language_version:
      - 2
      - 0
    .max_flat_workgroup_size: 128
    .name:           _ZN9rocsparseL18bsrxmvn_4x4_kernelILj128ELj8EfliaafEEvT3_20rocsparse_direction_NS_24const_host_device_scalarIT1_EES1_PKS1_PKT2_SA_S7_PKT4_PKT5_S5_PT6_21rocsparse_index_base_b
    .private_segment_fixed_size: 0
    .sgpr_count:     26
    .sgpr_spill_count: 0
    .symbol:         _ZN9rocsparseL18bsrxmvn_4x4_kernelILj128ELj8EfliaafEEvT3_20rocsparse_direction_NS_24const_host_device_scalarIT1_EES1_PKS1_PKT2_SA_S7_PKT4_PKT5_S5_PT6_21rocsparse_index_base_b.kd
    .uniform_work_group_size: 1
    .uses_dynamic_stack: false
    .vgpr_count:     103
    .vgpr_spill_count: 0
    .wavefront_size: 64
  - .agpr_count:     0
    .args:
      - .offset:         0
        .size:           4
        .value_kind:     by_value
      - .offset:         4
        .size:           4
        .value_kind:     by_value
      - .offset:         8
        .size:           8
        .value_kind:     by_value
      - .offset:         16
        .size:           4
        .value_kind:     by_value
      - .actual_access:  read_only
        .address_space:  global
        .offset:         24
        .size:           8
        .value_kind:     global_buffer
      - .actual_access:  read_only
        .address_space:  global
        .offset:         32
        .size:           8
        .value_kind:     global_buffer
      - .actual_access:  read_only
        .address_space:  global
        .offset:         40
        .size:           8
        .value_kind:     global_buffer
      - .actual_access:  read_only
        .address_space:  global
        .offset:         48
        .size:           8
        .value_kind:     global_buffer
      - .actual_access:  read_only
        .address_space:  global
        .offset:         56
        .size:           8
        .value_kind:     global_buffer
      - .actual_access:  read_only
        .address_space:  global
        .offset:         64
        .size:           8
        .value_kind:     global_buffer
      - .offset:         72
        .size:           8
        .value_kind:     by_value
      - .address_space:  global
        .offset:         80
        .size:           8
        .value_kind:     global_buffer
      - .offset:         88
        .size:           4
        .value_kind:     by_value
      - .offset:         92
        .size:           1
        .value_kind:     by_value
    .group_segment_fixed_size: 0
    .kernarg_segment_align: 8
    .kernarg_segment_size: 96
    .language:       OpenCL C
    .language_version:
      - 2
      - 0
    .max_flat_workgroup_size: 128
    .name:           _ZN9rocsparseL18bsrxmvn_4x4_kernelILj128ELj16EfliaafEEvT3_20rocsparse_direction_NS_24const_host_device_scalarIT1_EES1_PKS1_PKT2_SA_S7_PKT4_PKT5_S5_PT6_21rocsparse_index_base_b
    .private_segment_fixed_size: 0
    .sgpr_count:     26
    .sgpr_spill_count: 0
    .symbol:         _ZN9rocsparseL18bsrxmvn_4x4_kernelILj128ELj16EfliaafEEvT3_20rocsparse_direction_NS_24const_host_device_scalarIT1_EES1_PKS1_PKT2_SA_S7_PKT4_PKT5_S5_PT6_21rocsparse_index_base_b.kd
    .uniform_work_group_size: 1
    .uses_dynamic_stack: false
    .vgpr_count:     98
    .vgpr_spill_count: 0
    .wavefront_size: 64
  - .agpr_count:     0
    .args:
      - .offset:         0
        .size:           4
        .value_kind:     by_value
      - .offset:         4
        .size:           4
        .value_kind:     by_value
      - .offset:         8
        .size:           8
        .value_kind:     by_value
      - .offset:         16
        .size:           4
        .value_kind:     by_value
      - .actual_access:  read_only
        .address_space:  global
        .offset:         24
        .size:           8
        .value_kind:     global_buffer
      - .actual_access:  read_only
        .address_space:  global
        .offset:         32
        .size:           8
        .value_kind:     global_buffer
      - .actual_access:  read_only
        .address_space:  global
        .offset:         40
        .size:           8
        .value_kind:     global_buffer
      - .actual_access:  read_only
        .address_space:  global
        .offset:         48
        .size:           8
        .value_kind:     global_buffer
      - .actual_access:  read_only
        .address_space:  global
        .offset:         56
        .size:           8
        .value_kind:     global_buffer
      - .actual_access:  read_only
        .address_space:  global
        .offset:         64
        .size:           8
        .value_kind:     global_buffer
      - .offset:         72
        .size:           8
        .value_kind:     by_value
      - .address_space:  global
        .offset:         80
        .size:           8
        .value_kind:     global_buffer
      - .offset:         88
        .size:           4
        .value_kind:     by_value
      - .offset:         92
        .size:           1
        .value_kind:     by_value
    .group_segment_fixed_size: 0
    .kernarg_segment_align: 8
    .kernarg_segment_size: 96
    .language:       OpenCL C
    .language_version:
      - 2
      - 0
    .max_flat_workgroup_size: 128
    .name:           _ZN9rocsparseL18bsrxmvn_4x4_kernelILj128ELj32EfliaafEEvT3_20rocsparse_direction_NS_24const_host_device_scalarIT1_EES1_PKS1_PKT2_SA_S7_PKT4_PKT5_S5_PT6_21rocsparse_index_base_b
    .private_segment_fixed_size: 0
    .sgpr_count:     28
    .sgpr_spill_count: 0
    .symbol:         _ZN9rocsparseL18bsrxmvn_4x4_kernelILj128ELj32EfliaafEEvT3_20rocsparse_direction_NS_24const_host_device_scalarIT1_EES1_PKS1_PKT2_SA_S7_PKT4_PKT5_S5_PT6_21rocsparse_index_base_b.kd
    .uniform_work_group_size: 1
    .uses_dynamic_stack: false
    .vgpr_count:     98
    .vgpr_spill_count: 0
    .wavefront_size: 64
  - .agpr_count:     0
    .args:
      - .offset:         0
        .size:           4
        .value_kind:     by_value
      - .offset:         4
        .size:           4
        .value_kind:     by_value
      - .offset:         8
        .size:           8
        .value_kind:     by_value
      - .offset:         16
        .size:           4
        .value_kind:     by_value
      - .actual_access:  read_only
        .address_space:  global
        .offset:         24
        .size:           8
        .value_kind:     global_buffer
      - .actual_access:  read_only
        .address_space:  global
        .offset:         32
        .size:           8
        .value_kind:     global_buffer
      - .actual_access:  read_only
        .address_space:  global
        .offset:         40
        .size:           8
        .value_kind:     global_buffer
      - .actual_access:  read_only
        .address_space:  global
        .offset:         48
        .size:           8
        .value_kind:     global_buffer
      - .actual_access:  read_only
        .address_space:  global
        .offset:         56
        .size:           8
        .value_kind:     global_buffer
      - .actual_access:  read_only
        .address_space:  global
        .offset:         64
        .size:           8
        .value_kind:     global_buffer
      - .offset:         72
        .size:           8
        .value_kind:     by_value
      - .address_space:  global
        .offset:         80
        .size:           8
        .value_kind:     global_buffer
      - .offset:         88
        .size:           4
        .value_kind:     by_value
      - .offset:         92
        .size:           1
        .value_kind:     by_value
    .group_segment_fixed_size: 0
    .kernarg_segment_align: 8
    .kernarg_segment_size: 96
    .language:       OpenCL C
    .language_version:
      - 2
      - 0
    .max_flat_workgroup_size: 128
    .name:           _ZN9rocsparseL18bsrxmvn_4x4_kernelILj128ELj64EfliaafEEvT3_20rocsparse_direction_NS_24const_host_device_scalarIT1_EES1_PKS1_PKT2_SA_S7_PKT4_PKT5_S5_PT6_21rocsparse_index_base_b
    .private_segment_fixed_size: 0
    .sgpr_count:     30
    .sgpr_spill_count: 0
    .symbol:         _ZN9rocsparseL18bsrxmvn_4x4_kernelILj128ELj64EfliaafEEvT3_20rocsparse_direction_NS_24const_host_device_scalarIT1_EES1_PKS1_PKT2_SA_S7_PKT4_PKT5_S5_PT6_21rocsparse_index_base_b.kd
    .uniform_work_group_size: 1
    .uses_dynamic_stack: false
    .vgpr_count:     106
    .vgpr_spill_count: 0
    .wavefront_size: 64
  - .agpr_count:     0
    .args:
      - .offset:         0
        .size:           8
        .value_kind:     by_value
      - .offset:         8
        .size:           4
        .value_kind:     by_value
      - .offset:         16
        .size:           8
        .value_kind:     by_value
      - .offset:         24
        .size:           8
        .value_kind:     by_value
      - .actual_access:  read_only
        .address_space:  global
        .offset:         32
        .size:           8
        .value_kind:     global_buffer
      - .actual_access:  read_only
        .address_space:  global
        .offset:         40
        .size:           8
        .value_kind:     global_buffer
      - .actual_access:  read_only
        .address_space:  global
        .offset:         48
        .size:           8
        .value_kind:     global_buffer
      - .actual_access:  read_only
        .address_space:  global
        .offset:         56
        .size:           8
        .value_kind:     global_buffer
      - .actual_access:  read_only
        .address_space:  global
        .offset:         64
        .size:           8
        .value_kind:     global_buffer
      - .actual_access:  read_only
        .address_space:  global
        .offset:         72
        .size:           8
        .value_kind:     global_buffer
      - .offset:         80
        .size:           8
        .value_kind:     by_value
      - .address_space:  global
        .offset:         88
        .size:           8
        .value_kind:     global_buffer
      - .offset:         96
        .size:           4
        .value_kind:     by_value
      - .offset:         100
        .size:           1
        .value_kind:     by_value
    .group_segment_fixed_size: 0
    .kernarg_segment_align: 8
    .kernarg_segment_size: 104
    .language:       OpenCL C
    .language_version:
      - 2
      - 0
    .max_flat_workgroup_size: 128
    .name:           _ZN9rocsparseL18bsrxmvn_4x4_kernelILj128ELj4EfllaafEEvT3_20rocsparse_direction_NS_24const_host_device_scalarIT1_EES1_PKS1_PKT2_SA_S7_PKT4_PKT5_S5_PT6_21rocsparse_index_base_b
    .private_segment_fixed_size: 0
    .sgpr_count:     28
    .sgpr_spill_count: 0
    .symbol:         _ZN9rocsparseL18bsrxmvn_4x4_kernelILj128ELj4EfllaafEEvT3_20rocsparse_direction_NS_24const_host_device_scalarIT1_EES1_PKS1_PKT2_SA_S7_PKT4_PKT5_S5_PT6_21rocsparse_index_base_b.kd
    .uniform_work_group_size: 1
    .uses_dynamic_stack: false
    .vgpr_count:     116
    .vgpr_spill_count: 0
    .wavefront_size: 64
  - .agpr_count:     0
    .args:
      - .offset:         0
        .size:           8
        .value_kind:     by_value
      - .offset:         8
        .size:           4
        .value_kind:     by_value
      - .offset:         16
        .size:           8
        .value_kind:     by_value
      - .offset:         24
        .size:           8
        .value_kind:     by_value
      - .actual_access:  read_only
        .address_space:  global
        .offset:         32
        .size:           8
        .value_kind:     global_buffer
      - .actual_access:  read_only
        .address_space:  global
        .offset:         40
        .size:           8
        .value_kind:     global_buffer
      - .actual_access:  read_only
        .address_space:  global
        .offset:         48
        .size:           8
        .value_kind:     global_buffer
      - .actual_access:  read_only
        .address_space:  global
        .offset:         56
        .size:           8
        .value_kind:     global_buffer
      - .actual_access:  read_only
        .address_space:  global
        .offset:         64
        .size:           8
        .value_kind:     global_buffer
      - .actual_access:  read_only
        .address_space:  global
        .offset:         72
        .size:           8
        .value_kind:     global_buffer
      - .offset:         80
        .size:           8
        .value_kind:     by_value
      - .address_space:  global
        .offset:         88
        .size:           8
        .value_kind:     global_buffer
      - .offset:         96
        .size:           4
        .value_kind:     by_value
      - .offset:         100
        .size:           1
        .value_kind:     by_value
    .group_segment_fixed_size: 0
    .kernarg_segment_align: 8
    .kernarg_segment_size: 104
    .language:       OpenCL C
    .language_version:
      - 2
      - 0
    .max_flat_workgroup_size: 128
    .name:           _ZN9rocsparseL18bsrxmvn_4x4_kernelILj128ELj8EfllaafEEvT3_20rocsparse_direction_NS_24const_host_device_scalarIT1_EES1_PKS1_PKT2_SA_S7_PKT4_PKT5_S5_PT6_21rocsparse_index_base_b
    .private_segment_fixed_size: 0
    .sgpr_count:     28
    .sgpr_spill_count: 0
    .symbol:         _ZN9rocsparseL18bsrxmvn_4x4_kernelILj128ELj8EfllaafEEvT3_20rocsparse_direction_NS_24const_host_device_scalarIT1_EES1_PKS1_PKT2_SA_S7_PKT4_PKT5_S5_PT6_21rocsparse_index_base_b.kd
    .uniform_work_group_size: 1
    .uses_dynamic_stack: false
    .vgpr_count:     96
    .vgpr_spill_count: 0
    .wavefront_size: 64
  - .agpr_count:     0
    .args:
      - .offset:         0
        .size:           8
        .value_kind:     by_value
      - .offset:         8
        .size:           4
        .value_kind:     by_value
      - .offset:         16
        .size:           8
        .value_kind:     by_value
      - .offset:         24
        .size:           8
        .value_kind:     by_value
      - .actual_access:  read_only
        .address_space:  global
        .offset:         32
        .size:           8
        .value_kind:     global_buffer
      - .actual_access:  read_only
        .address_space:  global
        .offset:         40
        .size:           8
        .value_kind:     global_buffer
      - .actual_access:  read_only
        .address_space:  global
        .offset:         48
        .size:           8
        .value_kind:     global_buffer
      - .actual_access:  read_only
        .address_space:  global
        .offset:         56
        .size:           8
        .value_kind:     global_buffer
      - .actual_access:  read_only
        .address_space:  global
        .offset:         64
        .size:           8
        .value_kind:     global_buffer
      - .actual_access:  read_only
        .address_space:  global
        .offset:         72
        .size:           8
        .value_kind:     global_buffer
      - .offset:         80
        .size:           8
        .value_kind:     by_value
      - .address_space:  global
        .offset:         88
        .size:           8
        .value_kind:     global_buffer
      - .offset:         96
        .size:           4
        .value_kind:     by_value
      - .offset:         100
        .size:           1
        .value_kind:     by_value
    .group_segment_fixed_size: 0
    .kernarg_segment_align: 8
    .kernarg_segment_size: 104
    .language:       OpenCL C
    .language_version:
      - 2
      - 0
    .max_flat_workgroup_size: 128
    .name:           _ZN9rocsparseL18bsrxmvn_4x4_kernelILj128ELj16EfllaafEEvT3_20rocsparse_direction_NS_24const_host_device_scalarIT1_EES1_PKS1_PKT2_SA_S7_PKT4_PKT5_S5_PT6_21rocsparse_index_base_b
    .private_segment_fixed_size: 0
    .sgpr_count:     28
    .sgpr_spill_count: 0
    .symbol:         _ZN9rocsparseL18bsrxmvn_4x4_kernelILj128ELj16EfllaafEEvT3_20rocsparse_direction_NS_24const_host_device_scalarIT1_EES1_PKS1_PKT2_SA_S7_PKT4_PKT5_S5_PT6_21rocsparse_index_base_b.kd
    .uniform_work_group_size: 1
    .uses_dynamic_stack: false
    .vgpr_count:     90
    .vgpr_spill_count: 0
    .wavefront_size: 64
  - .agpr_count:     0
    .args:
      - .offset:         0
        .size:           8
        .value_kind:     by_value
      - .offset:         8
        .size:           4
        .value_kind:     by_value
      - .offset:         16
        .size:           8
        .value_kind:     by_value
      - .offset:         24
        .size:           8
        .value_kind:     by_value
      - .actual_access:  read_only
        .address_space:  global
        .offset:         32
        .size:           8
        .value_kind:     global_buffer
      - .actual_access:  read_only
        .address_space:  global
        .offset:         40
        .size:           8
        .value_kind:     global_buffer
      - .actual_access:  read_only
        .address_space:  global
        .offset:         48
        .size:           8
        .value_kind:     global_buffer
      - .actual_access:  read_only
        .address_space:  global
        .offset:         56
        .size:           8
        .value_kind:     global_buffer
      - .actual_access:  read_only
        .address_space:  global
        .offset:         64
        .size:           8
        .value_kind:     global_buffer
      - .actual_access:  read_only
        .address_space:  global
        .offset:         72
        .size:           8
        .value_kind:     global_buffer
      - .offset:         80
        .size:           8
        .value_kind:     by_value
      - .address_space:  global
        .offset:         88
        .size:           8
        .value_kind:     global_buffer
      - .offset:         96
        .size:           4
        .value_kind:     by_value
      - .offset:         100
        .size:           1
        .value_kind:     by_value
    .group_segment_fixed_size: 0
    .kernarg_segment_align: 8
    .kernarg_segment_size: 104
    .language:       OpenCL C
    .language_version:
      - 2
      - 0
    .max_flat_workgroup_size: 128
    .name:           _ZN9rocsparseL18bsrxmvn_4x4_kernelILj128ELj32EfllaafEEvT3_20rocsparse_direction_NS_24const_host_device_scalarIT1_EES1_PKS1_PKT2_SA_S7_PKT4_PKT5_S5_PT6_21rocsparse_index_base_b
    .private_segment_fixed_size: 0
    .sgpr_count:     28
    .sgpr_spill_count: 0
    .symbol:         _ZN9rocsparseL18bsrxmvn_4x4_kernelILj128ELj32EfllaafEEvT3_20rocsparse_direction_NS_24const_host_device_scalarIT1_EES1_PKS1_PKT2_SA_S7_PKT4_PKT5_S5_PT6_21rocsparse_index_base_b.kd
    .uniform_work_group_size: 1
    .uses_dynamic_stack: false
    .vgpr_count:     90
    .vgpr_spill_count: 0
    .wavefront_size: 64
  - .agpr_count:     0
    .args:
      - .offset:         0
        .size:           8
        .value_kind:     by_value
      - .offset:         8
        .size:           4
        .value_kind:     by_value
      - .offset:         16
        .size:           8
        .value_kind:     by_value
      - .offset:         24
        .size:           8
        .value_kind:     by_value
      - .actual_access:  read_only
        .address_space:  global
        .offset:         32
        .size:           8
        .value_kind:     global_buffer
      - .actual_access:  read_only
        .address_space:  global
        .offset:         40
        .size:           8
        .value_kind:     global_buffer
      - .actual_access:  read_only
        .address_space:  global
        .offset:         48
        .size:           8
        .value_kind:     global_buffer
      - .actual_access:  read_only
        .address_space:  global
        .offset:         56
        .size:           8
        .value_kind:     global_buffer
      - .actual_access:  read_only
        .address_space:  global
        .offset:         64
        .size:           8
        .value_kind:     global_buffer
      - .actual_access:  read_only
        .address_space:  global
        .offset:         72
        .size:           8
        .value_kind:     global_buffer
      - .offset:         80
        .size:           8
        .value_kind:     by_value
      - .address_space:  global
        .offset:         88
        .size:           8
        .value_kind:     global_buffer
      - .offset:         96
        .size:           4
        .value_kind:     by_value
      - .offset:         100
        .size:           1
        .value_kind:     by_value
    .group_segment_fixed_size: 0
    .kernarg_segment_align: 8
    .kernarg_segment_size: 104
    .language:       OpenCL C
    .language_version:
      - 2
      - 0
    .max_flat_workgroup_size: 128
    .name:           _ZN9rocsparseL18bsrxmvn_4x4_kernelILj128ELj64EfllaafEEvT3_20rocsparse_direction_NS_24const_host_device_scalarIT1_EES1_PKS1_PKT2_SA_S7_PKT4_PKT5_S5_PT6_21rocsparse_index_base_b
    .private_segment_fixed_size: 0
    .sgpr_count:     28
    .sgpr_spill_count: 0
    .symbol:         _ZN9rocsparseL18bsrxmvn_4x4_kernelILj128ELj64EfllaafEEvT3_20rocsparse_direction_NS_24const_host_device_scalarIT1_EES1_PKS1_PKT2_SA_S7_PKT4_PKT5_S5_PT6_21rocsparse_index_base_b.kd
    .uniform_work_group_size: 1
    .uses_dynamic_stack: false
    .vgpr_count:     115
    .vgpr_spill_count: 0
    .wavefront_size: 64
  - .agpr_count:     0
    .args:
      - .offset:         0
        .size:           4
        .value_kind:     by_value
      - .offset:         4
        .size:           4
        .value_kind:     by_value
      - .offset:         8
        .size:           8
        .value_kind:     by_value
      - .offset:         16
        .size:           4
        .value_kind:     by_value
      - .actual_access:  read_only
        .address_space:  global
        .offset:         24
        .size:           8
        .value_kind:     global_buffer
      - .actual_access:  read_only
        .address_space:  global
        .offset:         32
        .size:           8
        .value_kind:     global_buffer
      - .actual_access:  read_only
        .address_space:  global
        .offset:         40
        .size:           8
        .value_kind:     global_buffer
      - .actual_access:  read_only
        .address_space:  global
        .offset:         48
        .size:           8
        .value_kind:     global_buffer
      - .actual_access:  read_only
        .address_space:  global
        .offset:         56
        .size:           8
        .value_kind:     global_buffer
      - .actual_access:  read_only
        .address_space:  global
        .offset:         64
        .size:           8
        .value_kind:     global_buffer
      - .offset:         72
        .size:           8
        .value_kind:     by_value
      - .address_space:  global
        .offset:         80
        .size:           8
        .value_kind:     global_buffer
      - .offset:         88
        .size:           4
        .value_kind:     by_value
      - .offset:         92
        .size:           1
        .value_kind:     by_value
    .group_segment_fixed_size: 0
    .kernarg_segment_align: 8
    .kernarg_segment_size: 96
    .language:       OpenCL C
    .language_version:
      - 2
      - 0
    .max_flat_workgroup_size: 128
    .name:           _ZN9rocsparseL18bsrxmvn_4x4_kernelILj128ELj4EfiiDF16_DF16_fEEvT3_20rocsparse_direction_NS_24const_host_device_scalarIT1_EES1_PKS1_PKT2_SA_S7_PKT4_PKT5_S5_PT6_21rocsparse_index_base_b
    .private_segment_fixed_size: 0
    .sgpr_count:     24
    .sgpr_spill_count: 0
    .symbol:         _ZN9rocsparseL18bsrxmvn_4x4_kernelILj128ELj4EfiiDF16_DF16_fEEvT3_20rocsparse_direction_NS_24const_host_device_scalarIT1_EES1_PKS1_PKT2_SA_S7_PKT4_PKT5_S5_PT6_21rocsparse_index_base_b.kd
    .uniform_work_group_size: 1
    .uses_dynamic_stack: false
    .vgpr_count:     100
    .vgpr_spill_count: 0
    .wavefront_size: 64
  - .agpr_count:     0
    .args:
      - .offset:         0
        .size:           4
        .value_kind:     by_value
      - .offset:         4
        .size:           4
        .value_kind:     by_value
      - .offset:         8
        .size:           8
        .value_kind:     by_value
      - .offset:         16
        .size:           4
        .value_kind:     by_value
      - .actual_access:  read_only
        .address_space:  global
        .offset:         24
        .size:           8
        .value_kind:     global_buffer
      - .actual_access:  read_only
        .address_space:  global
        .offset:         32
        .size:           8
        .value_kind:     global_buffer
      - .actual_access:  read_only
        .address_space:  global
        .offset:         40
        .size:           8
        .value_kind:     global_buffer
      - .actual_access:  read_only
        .address_space:  global
        .offset:         48
        .size:           8
        .value_kind:     global_buffer
      - .actual_access:  read_only
        .address_space:  global
        .offset:         56
        .size:           8
        .value_kind:     global_buffer
      - .actual_access:  read_only
        .address_space:  global
        .offset:         64
        .size:           8
        .value_kind:     global_buffer
      - .offset:         72
        .size:           8
        .value_kind:     by_value
      - .address_space:  global
        .offset:         80
        .size:           8
        .value_kind:     global_buffer
      - .offset:         88
        .size:           4
        .value_kind:     by_value
      - .offset:         92
        .size:           1
        .value_kind:     by_value
    .group_segment_fixed_size: 0
    .kernarg_segment_align: 8
    .kernarg_segment_size: 96
    .language:       OpenCL C
    .language_version:
      - 2
      - 0
    .max_flat_workgroup_size: 128
    .name:           _ZN9rocsparseL18bsrxmvn_4x4_kernelILj128ELj8EfiiDF16_DF16_fEEvT3_20rocsparse_direction_NS_24const_host_device_scalarIT1_EES1_PKS1_PKT2_SA_S7_PKT4_PKT5_S5_PT6_21rocsparse_index_base_b
    .private_segment_fixed_size: 0
    .sgpr_count:     24
    .sgpr_spill_count: 0
    .symbol:         _ZN9rocsparseL18bsrxmvn_4x4_kernelILj128ELj8EfiiDF16_DF16_fEEvT3_20rocsparse_direction_NS_24const_host_device_scalarIT1_EES1_PKS1_PKT2_SA_S7_PKT4_PKT5_S5_PT6_21rocsparse_index_base_b.kd
    .uniform_work_group_size: 1
    .uses_dynamic_stack: false
    .vgpr_count:     100
    .vgpr_spill_count: 0
    .wavefront_size: 64
  - .agpr_count:     0
    .args:
      - .offset:         0
        .size:           4
        .value_kind:     by_value
      - .offset:         4
        .size:           4
        .value_kind:     by_value
      - .offset:         8
        .size:           8
        .value_kind:     by_value
      - .offset:         16
        .size:           4
        .value_kind:     by_value
      - .actual_access:  read_only
        .address_space:  global
        .offset:         24
        .size:           8
        .value_kind:     global_buffer
      - .actual_access:  read_only
        .address_space:  global
        .offset:         32
        .size:           8
        .value_kind:     global_buffer
      - .actual_access:  read_only
        .address_space:  global
        .offset:         40
        .size:           8
        .value_kind:     global_buffer
      - .actual_access:  read_only
        .address_space:  global
        .offset:         48
        .size:           8
        .value_kind:     global_buffer
      - .actual_access:  read_only
        .address_space:  global
        .offset:         56
        .size:           8
        .value_kind:     global_buffer
      - .actual_access:  read_only
        .address_space:  global
        .offset:         64
        .size:           8
        .value_kind:     global_buffer
      - .offset:         72
        .size:           8
        .value_kind:     by_value
      - .address_space:  global
        .offset:         80
        .size:           8
        .value_kind:     global_buffer
      - .offset:         88
        .size:           4
        .value_kind:     by_value
      - .offset:         92
        .size:           1
        .value_kind:     by_value
    .group_segment_fixed_size: 0
    .kernarg_segment_align: 8
    .kernarg_segment_size: 96
    .language:       OpenCL C
    .language_version:
      - 2
      - 0
    .max_flat_workgroup_size: 128
    .name:           _ZN9rocsparseL18bsrxmvn_4x4_kernelILj128ELj16EfiiDF16_DF16_fEEvT3_20rocsparse_direction_NS_24const_host_device_scalarIT1_EES1_PKS1_PKT2_SA_S7_PKT4_PKT5_S5_PT6_21rocsparse_index_base_b
    .private_segment_fixed_size: 0
    .sgpr_count:     24
    .sgpr_spill_count: 0
    .symbol:         _ZN9rocsparseL18bsrxmvn_4x4_kernelILj128ELj16EfiiDF16_DF16_fEEvT3_20rocsparse_direction_NS_24const_host_device_scalarIT1_EES1_PKS1_PKT2_SA_S7_PKT4_PKT5_S5_PT6_21rocsparse_index_base_b.kd
    .uniform_work_group_size: 1
    .uses_dynamic_stack: false
    .vgpr_count:     100
    .vgpr_spill_count: 0
    .wavefront_size: 64
  - .agpr_count:     0
    .args:
      - .offset:         0
        .size:           4
        .value_kind:     by_value
      - .offset:         4
        .size:           4
        .value_kind:     by_value
      - .offset:         8
        .size:           8
        .value_kind:     by_value
      - .offset:         16
        .size:           4
        .value_kind:     by_value
      - .actual_access:  read_only
        .address_space:  global
        .offset:         24
        .size:           8
        .value_kind:     global_buffer
      - .actual_access:  read_only
        .address_space:  global
        .offset:         32
        .size:           8
        .value_kind:     global_buffer
      - .actual_access:  read_only
        .address_space:  global
        .offset:         40
        .size:           8
        .value_kind:     global_buffer
      - .actual_access:  read_only
        .address_space:  global
        .offset:         48
        .size:           8
        .value_kind:     global_buffer
      - .actual_access:  read_only
        .address_space:  global
        .offset:         56
        .size:           8
        .value_kind:     global_buffer
      - .actual_access:  read_only
        .address_space:  global
        .offset:         64
        .size:           8
        .value_kind:     global_buffer
      - .offset:         72
        .size:           8
        .value_kind:     by_value
      - .address_space:  global
        .offset:         80
        .size:           8
        .value_kind:     global_buffer
      - .offset:         88
        .size:           4
        .value_kind:     by_value
      - .offset:         92
        .size:           1
        .value_kind:     by_value
    .group_segment_fixed_size: 0
    .kernarg_segment_align: 8
    .kernarg_segment_size: 96
    .language:       OpenCL C
    .language_version:
      - 2
      - 0
    .max_flat_workgroup_size: 128
    .name:           _ZN9rocsparseL18bsrxmvn_4x4_kernelILj128ELj32EfiiDF16_DF16_fEEvT3_20rocsparse_direction_NS_24const_host_device_scalarIT1_EES1_PKS1_PKT2_SA_S7_PKT4_PKT5_S5_PT6_21rocsparse_index_base_b
    .private_segment_fixed_size: 0
    .sgpr_count:     24
    .sgpr_spill_count: 0
    .symbol:         _ZN9rocsparseL18bsrxmvn_4x4_kernelILj128ELj32EfiiDF16_DF16_fEEvT3_20rocsparse_direction_NS_24const_host_device_scalarIT1_EES1_PKS1_PKT2_SA_S7_PKT4_PKT5_S5_PT6_21rocsparse_index_base_b.kd
    .uniform_work_group_size: 1
    .uses_dynamic_stack: false
    .vgpr_count:     100
    .vgpr_spill_count: 0
    .wavefront_size: 64
  - .agpr_count:     0
    .args:
      - .offset:         0
        .size:           4
        .value_kind:     by_value
      - .offset:         4
        .size:           4
        .value_kind:     by_value
      - .offset:         8
        .size:           8
        .value_kind:     by_value
      - .offset:         16
        .size:           4
        .value_kind:     by_value
      - .actual_access:  read_only
        .address_space:  global
        .offset:         24
        .size:           8
        .value_kind:     global_buffer
      - .actual_access:  read_only
        .address_space:  global
        .offset:         32
        .size:           8
        .value_kind:     global_buffer
      - .actual_access:  read_only
        .address_space:  global
        .offset:         40
        .size:           8
        .value_kind:     global_buffer
      - .actual_access:  read_only
        .address_space:  global
        .offset:         48
        .size:           8
        .value_kind:     global_buffer
      - .actual_access:  read_only
        .address_space:  global
        .offset:         56
        .size:           8
        .value_kind:     global_buffer
      - .actual_access:  read_only
        .address_space:  global
        .offset:         64
        .size:           8
        .value_kind:     global_buffer
      - .offset:         72
        .size:           8
        .value_kind:     by_value
      - .address_space:  global
        .offset:         80
        .size:           8
        .value_kind:     global_buffer
      - .offset:         88
        .size:           4
        .value_kind:     by_value
      - .offset:         92
        .size:           1
        .value_kind:     by_value
    .group_segment_fixed_size: 0
    .kernarg_segment_align: 8
    .kernarg_segment_size: 96
    .language:       OpenCL C
    .language_version:
      - 2
      - 0
    .max_flat_workgroup_size: 128
    .name:           _ZN9rocsparseL18bsrxmvn_4x4_kernelILj128ELj64EfiiDF16_DF16_fEEvT3_20rocsparse_direction_NS_24const_host_device_scalarIT1_EES1_PKS1_PKT2_SA_S7_PKT4_PKT5_S5_PT6_21rocsparse_index_base_b
    .private_segment_fixed_size: 0
    .sgpr_count:     24
    .sgpr_spill_count: 0
    .symbol:         _ZN9rocsparseL18bsrxmvn_4x4_kernelILj128ELj64EfiiDF16_DF16_fEEvT3_20rocsparse_direction_NS_24const_host_device_scalarIT1_EES1_PKS1_PKT2_SA_S7_PKT4_PKT5_S5_PT6_21rocsparse_index_base_b.kd
    .uniform_work_group_size: 1
    .uses_dynamic_stack: false
    .vgpr_count:     100
    .vgpr_spill_count: 0
    .wavefront_size: 64
  - .agpr_count:     0
    .args:
      - .offset:         0
        .size:           4
        .value_kind:     by_value
      - .offset:         4
        .size:           4
        .value_kind:     by_value
      - .offset:         8
        .size:           8
        .value_kind:     by_value
      - .offset:         16
        .size:           4
        .value_kind:     by_value
      - .actual_access:  read_only
        .address_space:  global
        .offset:         24
        .size:           8
        .value_kind:     global_buffer
      - .actual_access:  read_only
        .address_space:  global
        .offset:         32
        .size:           8
        .value_kind:     global_buffer
      - .actual_access:  read_only
        .address_space:  global
        .offset:         40
        .size:           8
        .value_kind:     global_buffer
      - .actual_access:  read_only
        .address_space:  global
        .offset:         48
        .size:           8
        .value_kind:     global_buffer
      - .actual_access:  read_only
        .address_space:  global
        .offset:         56
        .size:           8
        .value_kind:     global_buffer
      - .actual_access:  read_only
        .address_space:  global
        .offset:         64
        .size:           8
        .value_kind:     global_buffer
      - .offset:         72
        .size:           8
        .value_kind:     by_value
      - .address_space:  global
        .offset:         80
        .size:           8
        .value_kind:     global_buffer
      - .offset:         88
        .size:           4
        .value_kind:     by_value
      - .offset:         92
        .size:           1
        .value_kind:     by_value
    .group_segment_fixed_size: 0
    .kernarg_segment_align: 8
    .kernarg_segment_size: 96
    .language:       OpenCL C
    .language_version:
      - 2
      - 0
    .max_flat_workgroup_size: 128
    .name:           _ZN9rocsparseL18bsrxmvn_4x4_kernelILj128ELj4EfliDF16_DF16_fEEvT3_20rocsparse_direction_NS_24const_host_device_scalarIT1_EES1_PKS1_PKT2_SA_S7_PKT4_PKT5_S5_PT6_21rocsparse_index_base_b
    .private_segment_fixed_size: 0
    .sgpr_count:     26
    .sgpr_spill_count: 0
    .symbol:         _ZN9rocsparseL18bsrxmvn_4x4_kernelILj128ELj4EfliDF16_DF16_fEEvT3_20rocsparse_direction_NS_24const_host_device_scalarIT1_EES1_PKS1_PKT2_SA_S7_PKT4_PKT5_S5_PT6_21rocsparse_index_base_b.kd
    .uniform_work_group_size: 1
    .uses_dynamic_stack: false
    .vgpr_count:     100
    .vgpr_spill_count: 0
    .wavefront_size: 64
  - .agpr_count:     0
    .args:
      - .offset:         0
        .size:           4
        .value_kind:     by_value
      - .offset:         4
        .size:           4
        .value_kind:     by_value
      - .offset:         8
        .size:           8
        .value_kind:     by_value
      - .offset:         16
        .size:           4
        .value_kind:     by_value
      - .actual_access:  read_only
        .address_space:  global
        .offset:         24
        .size:           8
        .value_kind:     global_buffer
      - .actual_access:  read_only
        .address_space:  global
        .offset:         32
        .size:           8
        .value_kind:     global_buffer
      - .actual_access:  read_only
        .address_space:  global
        .offset:         40
        .size:           8
        .value_kind:     global_buffer
      - .actual_access:  read_only
        .address_space:  global
        .offset:         48
        .size:           8
        .value_kind:     global_buffer
      - .actual_access:  read_only
        .address_space:  global
        .offset:         56
        .size:           8
        .value_kind:     global_buffer
      - .actual_access:  read_only
        .address_space:  global
        .offset:         64
        .size:           8
        .value_kind:     global_buffer
      - .offset:         72
        .size:           8
        .value_kind:     by_value
      - .address_space:  global
        .offset:         80
        .size:           8
        .value_kind:     global_buffer
      - .offset:         88
        .size:           4
        .value_kind:     by_value
      - .offset:         92
        .size:           1
        .value_kind:     by_value
    .group_segment_fixed_size: 0
    .kernarg_segment_align: 8
    .kernarg_segment_size: 96
    .language:       OpenCL C
    .language_version:
      - 2
      - 0
    .max_flat_workgroup_size: 128
    .name:           _ZN9rocsparseL18bsrxmvn_4x4_kernelILj128ELj8EfliDF16_DF16_fEEvT3_20rocsparse_direction_NS_24const_host_device_scalarIT1_EES1_PKS1_PKT2_SA_S7_PKT4_PKT5_S5_PT6_21rocsparse_index_base_b
    .private_segment_fixed_size: 0
    .sgpr_count:     26
    .sgpr_spill_count: 0
    .symbol:         _ZN9rocsparseL18bsrxmvn_4x4_kernelILj128ELj8EfliDF16_DF16_fEEvT3_20rocsparse_direction_NS_24const_host_device_scalarIT1_EES1_PKS1_PKT2_SA_S7_PKT4_PKT5_S5_PT6_21rocsparse_index_base_b.kd
    .uniform_work_group_size: 1
    .uses_dynamic_stack: false
    .vgpr_count:     100
    .vgpr_spill_count: 0
    .wavefront_size: 64
  - .agpr_count:     0
    .args:
      - .offset:         0
        .size:           4
        .value_kind:     by_value
      - .offset:         4
        .size:           4
        .value_kind:     by_value
      - .offset:         8
        .size:           8
        .value_kind:     by_value
      - .offset:         16
        .size:           4
        .value_kind:     by_value
      - .actual_access:  read_only
        .address_space:  global
        .offset:         24
        .size:           8
        .value_kind:     global_buffer
      - .actual_access:  read_only
        .address_space:  global
        .offset:         32
        .size:           8
        .value_kind:     global_buffer
      - .actual_access:  read_only
        .address_space:  global
        .offset:         40
        .size:           8
        .value_kind:     global_buffer
      - .actual_access:  read_only
        .address_space:  global
        .offset:         48
        .size:           8
        .value_kind:     global_buffer
      - .actual_access:  read_only
        .address_space:  global
        .offset:         56
        .size:           8
        .value_kind:     global_buffer
      - .actual_access:  read_only
        .address_space:  global
        .offset:         64
        .size:           8
        .value_kind:     global_buffer
      - .offset:         72
        .size:           8
        .value_kind:     by_value
      - .address_space:  global
        .offset:         80
        .size:           8
        .value_kind:     global_buffer
      - .offset:         88
        .size:           4
        .value_kind:     by_value
      - .offset:         92
        .size:           1
        .value_kind:     by_value
    .group_segment_fixed_size: 0
    .kernarg_segment_align: 8
    .kernarg_segment_size: 96
    .language:       OpenCL C
    .language_version:
      - 2
      - 0
    .max_flat_workgroup_size: 128
    .name:           _ZN9rocsparseL18bsrxmvn_4x4_kernelILj128ELj16EfliDF16_DF16_fEEvT3_20rocsparse_direction_NS_24const_host_device_scalarIT1_EES1_PKS1_PKT2_SA_S7_PKT4_PKT5_S5_PT6_21rocsparse_index_base_b
    .private_segment_fixed_size: 0
    .sgpr_count:     26
    .sgpr_spill_count: 0
    .symbol:         _ZN9rocsparseL18bsrxmvn_4x4_kernelILj128ELj16EfliDF16_DF16_fEEvT3_20rocsparse_direction_NS_24const_host_device_scalarIT1_EES1_PKS1_PKT2_SA_S7_PKT4_PKT5_S5_PT6_21rocsparse_index_base_b.kd
    .uniform_work_group_size: 1
    .uses_dynamic_stack: false
    .vgpr_count:     100
    .vgpr_spill_count: 0
    .wavefront_size: 64
  - .agpr_count:     0
    .args:
      - .offset:         0
        .size:           4
        .value_kind:     by_value
      - .offset:         4
        .size:           4
        .value_kind:     by_value
      - .offset:         8
        .size:           8
        .value_kind:     by_value
      - .offset:         16
        .size:           4
        .value_kind:     by_value
      - .actual_access:  read_only
        .address_space:  global
        .offset:         24
        .size:           8
        .value_kind:     global_buffer
      - .actual_access:  read_only
        .address_space:  global
        .offset:         32
        .size:           8
        .value_kind:     global_buffer
      - .actual_access:  read_only
        .address_space:  global
        .offset:         40
        .size:           8
        .value_kind:     global_buffer
      - .actual_access:  read_only
        .address_space:  global
        .offset:         48
        .size:           8
        .value_kind:     global_buffer
      - .actual_access:  read_only
        .address_space:  global
        .offset:         56
        .size:           8
        .value_kind:     global_buffer
      - .actual_access:  read_only
        .address_space:  global
        .offset:         64
        .size:           8
        .value_kind:     global_buffer
      - .offset:         72
        .size:           8
        .value_kind:     by_value
      - .address_space:  global
        .offset:         80
        .size:           8
        .value_kind:     global_buffer
      - .offset:         88
        .size:           4
        .value_kind:     by_value
      - .offset:         92
        .size:           1
        .value_kind:     by_value
    .group_segment_fixed_size: 0
    .kernarg_segment_align: 8
    .kernarg_segment_size: 96
    .language:       OpenCL C
    .language_version:
      - 2
      - 0
    .max_flat_workgroup_size: 128
    .name:           _ZN9rocsparseL18bsrxmvn_4x4_kernelILj128ELj32EfliDF16_DF16_fEEvT3_20rocsparse_direction_NS_24const_host_device_scalarIT1_EES1_PKS1_PKT2_SA_S7_PKT4_PKT5_S5_PT6_21rocsparse_index_base_b
    .private_segment_fixed_size: 0
    .sgpr_count:     26
    .sgpr_spill_count: 0
    .symbol:         _ZN9rocsparseL18bsrxmvn_4x4_kernelILj128ELj32EfliDF16_DF16_fEEvT3_20rocsparse_direction_NS_24const_host_device_scalarIT1_EES1_PKS1_PKT2_SA_S7_PKT4_PKT5_S5_PT6_21rocsparse_index_base_b.kd
    .uniform_work_group_size: 1
    .uses_dynamic_stack: false
    .vgpr_count:     100
    .vgpr_spill_count: 0
    .wavefront_size: 64
  - .agpr_count:     0
    .args:
      - .offset:         0
        .size:           4
        .value_kind:     by_value
      - .offset:         4
        .size:           4
        .value_kind:     by_value
      - .offset:         8
        .size:           8
        .value_kind:     by_value
      - .offset:         16
        .size:           4
        .value_kind:     by_value
      - .actual_access:  read_only
        .address_space:  global
        .offset:         24
        .size:           8
        .value_kind:     global_buffer
      - .actual_access:  read_only
        .address_space:  global
        .offset:         32
        .size:           8
        .value_kind:     global_buffer
      - .actual_access:  read_only
        .address_space:  global
        .offset:         40
        .size:           8
        .value_kind:     global_buffer
      - .actual_access:  read_only
        .address_space:  global
        .offset:         48
        .size:           8
        .value_kind:     global_buffer
      - .actual_access:  read_only
        .address_space:  global
        .offset:         56
        .size:           8
        .value_kind:     global_buffer
      - .actual_access:  read_only
        .address_space:  global
        .offset:         64
        .size:           8
        .value_kind:     global_buffer
      - .offset:         72
        .size:           8
        .value_kind:     by_value
      - .address_space:  global
        .offset:         80
        .size:           8
        .value_kind:     global_buffer
      - .offset:         88
        .size:           4
        .value_kind:     by_value
      - .offset:         92
        .size:           1
        .value_kind:     by_value
    .group_segment_fixed_size: 0
    .kernarg_segment_align: 8
    .kernarg_segment_size: 96
    .language:       OpenCL C
    .language_version:
      - 2
      - 0
    .max_flat_workgroup_size: 128
    .name:           _ZN9rocsparseL18bsrxmvn_4x4_kernelILj128ELj64EfliDF16_DF16_fEEvT3_20rocsparse_direction_NS_24const_host_device_scalarIT1_EES1_PKS1_PKT2_SA_S7_PKT4_PKT5_S5_PT6_21rocsparse_index_base_b
    .private_segment_fixed_size: 0
    .sgpr_count:     26
    .sgpr_spill_count: 0
    .symbol:         _ZN9rocsparseL18bsrxmvn_4x4_kernelILj128ELj64EfliDF16_DF16_fEEvT3_20rocsparse_direction_NS_24const_host_device_scalarIT1_EES1_PKS1_PKT2_SA_S7_PKT4_PKT5_S5_PT6_21rocsparse_index_base_b.kd
    .uniform_work_group_size: 1
    .uses_dynamic_stack: false
    .vgpr_count:     100
    .vgpr_spill_count: 0
    .wavefront_size: 64
  - .agpr_count:     0
    .args:
      - .offset:         0
        .size:           8
        .value_kind:     by_value
      - .offset:         8
        .size:           4
        .value_kind:     by_value
      - .offset:         16
        .size:           8
        .value_kind:     by_value
      - .offset:         24
        .size:           8
        .value_kind:     by_value
      - .actual_access:  read_only
        .address_space:  global
        .offset:         32
        .size:           8
        .value_kind:     global_buffer
      - .actual_access:  read_only
        .address_space:  global
        .offset:         40
        .size:           8
        .value_kind:     global_buffer
      - .actual_access:  read_only
        .address_space:  global
        .offset:         48
        .size:           8
        .value_kind:     global_buffer
      - .actual_access:  read_only
        .address_space:  global
        .offset:         56
        .size:           8
        .value_kind:     global_buffer
      - .actual_access:  read_only
        .address_space:  global
        .offset:         64
        .size:           8
        .value_kind:     global_buffer
      - .actual_access:  read_only
        .address_space:  global
        .offset:         72
        .size:           8
        .value_kind:     global_buffer
      - .offset:         80
        .size:           8
        .value_kind:     by_value
      - .address_space:  global
        .offset:         88
        .size:           8
        .value_kind:     global_buffer
      - .offset:         96
        .size:           4
        .value_kind:     by_value
      - .offset:         100
        .size:           1
        .value_kind:     by_value
    .group_segment_fixed_size: 0
    .kernarg_segment_align: 8
    .kernarg_segment_size: 104
    .language:       OpenCL C
    .language_version:
      - 2
      - 0
    .max_flat_workgroup_size: 128
    .name:           _ZN9rocsparseL18bsrxmvn_4x4_kernelILj128ELj4EfllDF16_DF16_fEEvT3_20rocsparse_direction_NS_24const_host_device_scalarIT1_EES1_PKS1_PKT2_SA_S7_PKT4_PKT5_S5_PT6_21rocsparse_index_base_b
    .private_segment_fixed_size: 0
    .sgpr_count:     28
    .sgpr_spill_count: 0
    .symbol:         _ZN9rocsparseL18bsrxmvn_4x4_kernelILj128ELj4EfllDF16_DF16_fEEvT3_20rocsparse_direction_NS_24const_host_device_scalarIT1_EES1_PKS1_PKT2_SA_S7_PKT4_PKT5_S5_PT6_21rocsparse_index_base_b.kd
    .uniform_work_group_size: 1
    .uses_dynamic_stack: false
    .vgpr_count:     102
    .vgpr_spill_count: 0
    .wavefront_size: 64
  - .agpr_count:     0
    .args:
      - .offset:         0
        .size:           8
        .value_kind:     by_value
      - .offset:         8
        .size:           4
        .value_kind:     by_value
      - .offset:         16
        .size:           8
        .value_kind:     by_value
      - .offset:         24
        .size:           8
        .value_kind:     by_value
      - .actual_access:  read_only
        .address_space:  global
        .offset:         32
        .size:           8
        .value_kind:     global_buffer
      - .actual_access:  read_only
        .address_space:  global
        .offset:         40
        .size:           8
        .value_kind:     global_buffer
      - .actual_access:  read_only
        .address_space:  global
        .offset:         48
        .size:           8
        .value_kind:     global_buffer
      - .actual_access:  read_only
        .address_space:  global
        .offset:         56
        .size:           8
        .value_kind:     global_buffer
      - .actual_access:  read_only
        .address_space:  global
        .offset:         64
        .size:           8
        .value_kind:     global_buffer
      - .actual_access:  read_only
        .address_space:  global
        .offset:         72
        .size:           8
        .value_kind:     global_buffer
      - .offset:         80
        .size:           8
        .value_kind:     by_value
      - .address_space:  global
        .offset:         88
        .size:           8
        .value_kind:     global_buffer
      - .offset:         96
        .size:           4
        .value_kind:     by_value
      - .offset:         100
        .size:           1
        .value_kind:     by_value
    .group_segment_fixed_size: 0
    .kernarg_segment_align: 8
    .kernarg_segment_size: 104
    .language:       OpenCL C
    .language_version:
      - 2
      - 0
    .max_flat_workgroup_size: 128
    .name:           _ZN9rocsparseL18bsrxmvn_4x4_kernelILj128ELj8EfllDF16_DF16_fEEvT3_20rocsparse_direction_NS_24const_host_device_scalarIT1_EES1_PKS1_PKT2_SA_S7_PKT4_PKT5_S5_PT6_21rocsparse_index_base_b
    .private_segment_fixed_size: 0
    .sgpr_count:     28
    .sgpr_spill_count: 0
    .symbol:         _ZN9rocsparseL18bsrxmvn_4x4_kernelILj128ELj8EfllDF16_DF16_fEEvT3_20rocsparse_direction_NS_24const_host_device_scalarIT1_EES1_PKS1_PKT2_SA_S7_PKT4_PKT5_S5_PT6_21rocsparse_index_base_b.kd
    .uniform_work_group_size: 1
    .uses_dynamic_stack: false
    .vgpr_count:     102
    .vgpr_spill_count: 0
    .wavefront_size: 64
  - .agpr_count:     0
    .args:
      - .offset:         0
        .size:           8
        .value_kind:     by_value
      - .offset:         8
        .size:           4
        .value_kind:     by_value
      - .offset:         16
        .size:           8
        .value_kind:     by_value
      - .offset:         24
        .size:           8
        .value_kind:     by_value
      - .actual_access:  read_only
        .address_space:  global
        .offset:         32
        .size:           8
        .value_kind:     global_buffer
      - .actual_access:  read_only
        .address_space:  global
        .offset:         40
        .size:           8
        .value_kind:     global_buffer
      - .actual_access:  read_only
        .address_space:  global
        .offset:         48
        .size:           8
        .value_kind:     global_buffer
      - .actual_access:  read_only
        .address_space:  global
        .offset:         56
        .size:           8
        .value_kind:     global_buffer
      - .actual_access:  read_only
        .address_space:  global
        .offset:         64
        .size:           8
        .value_kind:     global_buffer
      - .actual_access:  read_only
        .address_space:  global
        .offset:         72
        .size:           8
        .value_kind:     global_buffer
      - .offset:         80
        .size:           8
        .value_kind:     by_value
      - .address_space:  global
        .offset:         88
        .size:           8
        .value_kind:     global_buffer
      - .offset:         96
        .size:           4
        .value_kind:     by_value
      - .offset:         100
        .size:           1
        .value_kind:     by_value
    .group_segment_fixed_size: 0
    .kernarg_segment_align: 8
    .kernarg_segment_size: 104
    .language:       OpenCL C
    .language_version:
      - 2
      - 0
    .max_flat_workgroup_size: 128
    .name:           _ZN9rocsparseL18bsrxmvn_4x4_kernelILj128ELj16EfllDF16_DF16_fEEvT3_20rocsparse_direction_NS_24const_host_device_scalarIT1_EES1_PKS1_PKT2_SA_S7_PKT4_PKT5_S5_PT6_21rocsparse_index_base_b
    .private_segment_fixed_size: 0
    .sgpr_count:     28
    .sgpr_spill_count: 0
    .symbol:         _ZN9rocsparseL18bsrxmvn_4x4_kernelILj128ELj16EfllDF16_DF16_fEEvT3_20rocsparse_direction_NS_24const_host_device_scalarIT1_EES1_PKS1_PKT2_SA_S7_PKT4_PKT5_S5_PT6_21rocsparse_index_base_b.kd
    .uniform_work_group_size: 1
    .uses_dynamic_stack: false
    .vgpr_count:     102
    .vgpr_spill_count: 0
    .wavefront_size: 64
  - .agpr_count:     0
    .args:
      - .offset:         0
        .size:           8
        .value_kind:     by_value
      - .offset:         8
        .size:           4
        .value_kind:     by_value
      - .offset:         16
        .size:           8
        .value_kind:     by_value
      - .offset:         24
        .size:           8
        .value_kind:     by_value
      - .actual_access:  read_only
        .address_space:  global
        .offset:         32
        .size:           8
        .value_kind:     global_buffer
      - .actual_access:  read_only
        .address_space:  global
        .offset:         40
        .size:           8
        .value_kind:     global_buffer
      - .actual_access:  read_only
        .address_space:  global
        .offset:         48
        .size:           8
        .value_kind:     global_buffer
      - .actual_access:  read_only
        .address_space:  global
        .offset:         56
        .size:           8
        .value_kind:     global_buffer
      - .actual_access:  read_only
        .address_space:  global
        .offset:         64
        .size:           8
        .value_kind:     global_buffer
      - .actual_access:  read_only
        .address_space:  global
        .offset:         72
        .size:           8
        .value_kind:     global_buffer
      - .offset:         80
        .size:           8
        .value_kind:     by_value
      - .address_space:  global
        .offset:         88
        .size:           8
        .value_kind:     global_buffer
      - .offset:         96
        .size:           4
        .value_kind:     by_value
      - .offset:         100
        .size:           1
        .value_kind:     by_value
    .group_segment_fixed_size: 0
    .kernarg_segment_align: 8
    .kernarg_segment_size: 104
    .language:       OpenCL C
    .language_version:
      - 2
      - 0
    .max_flat_workgroup_size: 128
    .name:           _ZN9rocsparseL18bsrxmvn_4x4_kernelILj128ELj32EfllDF16_DF16_fEEvT3_20rocsparse_direction_NS_24const_host_device_scalarIT1_EES1_PKS1_PKT2_SA_S7_PKT4_PKT5_S5_PT6_21rocsparse_index_base_b
    .private_segment_fixed_size: 0
    .sgpr_count:     28
    .sgpr_spill_count: 0
    .symbol:         _ZN9rocsparseL18bsrxmvn_4x4_kernelILj128ELj32EfllDF16_DF16_fEEvT3_20rocsparse_direction_NS_24const_host_device_scalarIT1_EES1_PKS1_PKT2_SA_S7_PKT4_PKT5_S5_PT6_21rocsparse_index_base_b.kd
    .uniform_work_group_size: 1
    .uses_dynamic_stack: false
    .vgpr_count:     102
    .vgpr_spill_count: 0
    .wavefront_size: 64
  - .agpr_count:     0
    .args:
      - .offset:         0
        .size:           8
        .value_kind:     by_value
      - .offset:         8
        .size:           4
        .value_kind:     by_value
      - .offset:         16
        .size:           8
        .value_kind:     by_value
      - .offset:         24
        .size:           8
        .value_kind:     by_value
      - .actual_access:  read_only
        .address_space:  global
        .offset:         32
        .size:           8
        .value_kind:     global_buffer
      - .actual_access:  read_only
        .address_space:  global
        .offset:         40
        .size:           8
        .value_kind:     global_buffer
      - .actual_access:  read_only
        .address_space:  global
        .offset:         48
        .size:           8
        .value_kind:     global_buffer
      - .actual_access:  read_only
        .address_space:  global
        .offset:         56
        .size:           8
        .value_kind:     global_buffer
      - .actual_access:  read_only
        .address_space:  global
        .offset:         64
        .size:           8
        .value_kind:     global_buffer
      - .actual_access:  read_only
        .address_space:  global
        .offset:         72
        .size:           8
        .value_kind:     global_buffer
      - .offset:         80
        .size:           8
        .value_kind:     by_value
      - .address_space:  global
        .offset:         88
        .size:           8
        .value_kind:     global_buffer
      - .offset:         96
        .size:           4
        .value_kind:     by_value
      - .offset:         100
        .size:           1
        .value_kind:     by_value
    .group_segment_fixed_size: 0
    .kernarg_segment_align: 8
    .kernarg_segment_size: 104
    .language:       OpenCL C
    .language_version:
      - 2
      - 0
    .max_flat_workgroup_size: 128
    .name:           _ZN9rocsparseL18bsrxmvn_4x4_kernelILj128ELj64EfllDF16_DF16_fEEvT3_20rocsparse_direction_NS_24const_host_device_scalarIT1_EES1_PKS1_PKT2_SA_S7_PKT4_PKT5_S5_PT6_21rocsparse_index_base_b
    .private_segment_fixed_size: 0
    .sgpr_count:     28
    .sgpr_spill_count: 0
    .symbol:         _ZN9rocsparseL18bsrxmvn_4x4_kernelILj128ELj64EfllDF16_DF16_fEEvT3_20rocsparse_direction_NS_24const_host_device_scalarIT1_EES1_PKS1_PKT2_SA_S7_PKT4_PKT5_S5_PT6_21rocsparse_index_base_b.kd
    .uniform_work_group_size: 1
    .uses_dynamic_stack: false
    .vgpr_count:     102
    .vgpr_spill_count: 0
    .wavefront_size: 64
  - .agpr_count:     0
    .args:
      - .offset:         0
        .size:           4
        .value_kind:     by_value
      - .offset:         4
        .size:           4
        .value_kind:     by_value
      - .offset:         8
        .size:           8
        .value_kind:     by_value
      - .offset:         16
        .size:           4
        .value_kind:     by_value
      - .actual_access:  read_only
        .address_space:  global
        .offset:         24
        .size:           8
        .value_kind:     global_buffer
      - .actual_access:  read_only
        .address_space:  global
        .offset:         32
        .size:           8
        .value_kind:     global_buffer
      - .actual_access:  read_only
        .address_space:  global
        .offset:         40
        .size:           8
        .value_kind:     global_buffer
      - .actual_access:  read_only
        .address_space:  global
        .offset:         48
        .size:           8
        .value_kind:     global_buffer
      - .actual_access:  read_only
        .address_space:  global
        .offset:         56
        .size:           8
        .value_kind:     global_buffer
      - .actual_access:  read_only
        .address_space:  global
        .offset:         64
        .size:           8
        .value_kind:     global_buffer
      - .offset:         72
        .size:           8
        .value_kind:     by_value
      - .address_space:  global
        .offset:         80
        .size:           8
        .value_kind:     global_buffer
      - .offset:         88
        .size:           4
        .value_kind:     by_value
      - .offset:         92
        .size:           1
        .value_kind:     by_value
    .group_segment_fixed_size: 0
    .kernarg_segment_align: 8
    .kernarg_segment_size: 96
    .language:       OpenCL C
    .language_version:
      - 2
      - 0
    .max_flat_workgroup_size: 128
    .name:           _ZN9rocsparseL18bsrxmvn_4x4_kernelILj128ELj4Efii18rocsparse_bfloat16S1_fEEvT3_20rocsparse_direction_NS_24const_host_device_scalarIT1_EES2_PKS2_PKT2_SB_S8_PKT4_PKT5_S6_PT6_21rocsparse_index_base_b
    .private_segment_fixed_size: 0
    .sgpr_count:     24
    .sgpr_spill_count: 0
    .symbol:         _ZN9rocsparseL18bsrxmvn_4x4_kernelILj128ELj4Efii18rocsparse_bfloat16S1_fEEvT3_20rocsparse_direction_NS_24const_host_device_scalarIT1_EES2_PKS2_PKT2_SB_S8_PKT4_PKT5_S6_PT6_21rocsparse_index_base_b.kd
    .uniform_work_group_size: 1
    .uses_dynamic_stack: false
    .vgpr_count:     100
    .vgpr_spill_count: 0
    .wavefront_size: 64
  - .agpr_count:     0
    .args:
      - .offset:         0
        .size:           4
        .value_kind:     by_value
      - .offset:         4
        .size:           4
        .value_kind:     by_value
      - .offset:         8
        .size:           8
        .value_kind:     by_value
      - .offset:         16
        .size:           4
        .value_kind:     by_value
      - .actual_access:  read_only
        .address_space:  global
        .offset:         24
        .size:           8
        .value_kind:     global_buffer
      - .actual_access:  read_only
        .address_space:  global
        .offset:         32
        .size:           8
        .value_kind:     global_buffer
      - .actual_access:  read_only
        .address_space:  global
        .offset:         40
        .size:           8
        .value_kind:     global_buffer
      - .actual_access:  read_only
        .address_space:  global
        .offset:         48
        .size:           8
        .value_kind:     global_buffer
      - .actual_access:  read_only
        .address_space:  global
        .offset:         56
        .size:           8
        .value_kind:     global_buffer
      - .actual_access:  read_only
        .address_space:  global
        .offset:         64
        .size:           8
        .value_kind:     global_buffer
      - .offset:         72
        .size:           8
        .value_kind:     by_value
      - .address_space:  global
        .offset:         80
        .size:           8
        .value_kind:     global_buffer
      - .offset:         88
        .size:           4
        .value_kind:     by_value
      - .offset:         92
        .size:           1
        .value_kind:     by_value
    .group_segment_fixed_size: 0
    .kernarg_segment_align: 8
    .kernarg_segment_size: 96
    .language:       OpenCL C
    .language_version:
      - 2
      - 0
    .max_flat_workgroup_size: 128
    .name:           _ZN9rocsparseL18bsrxmvn_4x4_kernelILj128ELj8Efii18rocsparse_bfloat16S1_fEEvT3_20rocsparse_direction_NS_24const_host_device_scalarIT1_EES2_PKS2_PKT2_SB_S8_PKT4_PKT5_S6_PT6_21rocsparse_index_base_b
    .private_segment_fixed_size: 0
    .sgpr_count:     24
    .sgpr_spill_count: 0
    .symbol:         _ZN9rocsparseL18bsrxmvn_4x4_kernelILj128ELj8Efii18rocsparse_bfloat16S1_fEEvT3_20rocsparse_direction_NS_24const_host_device_scalarIT1_EES2_PKS2_PKT2_SB_S8_PKT4_PKT5_S6_PT6_21rocsparse_index_base_b.kd
    .uniform_work_group_size: 1
    .uses_dynamic_stack: false
    .vgpr_count:     100
    .vgpr_spill_count: 0
    .wavefront_size: 64
  - .agpr_count:     0
    .args:
      - .offset:         0
        .size:           4
        .value_kind:     by_value
      - .offset:         4
        .size:           4
        .value_kind:     by_value
      - .offset:         8
        .size:           8
        .value_kind:     by_value
      - .offset:         16
        .size:           4
        .value_kind:     by_value
      - .actual_access:  read_only
        .address_space:  global
        .offset:         24
        .size:           8
        .value_kind:     global_buffer
      - .actual_access:  read_only
        .address_space:  global
        .offset:         32
        .size:           8
        .value_kind:     global_buffer
      - .actual_access:  read_only
        .address_space:  global
        .offset:         40
        .size:           8
        .value_kind:     global_buffer
      - .actual_access:  read_only
        .address_space:  global
        .offset:         48
        .size:           8
        .value_kind:     global_buffer
      - .actual_access:  read_only
        .address_space:  global
        .offset:         56
        .size:           8
        .value_kind:     global_buffer
      - .actual_access:  read_only
        .address_space:  global
        .offset:         64
        .size:           8
        .value_kind:     global_buffer
      - .offset:         72
        .size:           8
        .value_kind:     by_value
      - .address_space:  global
        .offset:         80
        .size:           8
        .value_kind:     global_buffer
      - .offset:         88
        .size:           4
        .value_kind:     by_value
      - .offset:         92
        .size:           1
        .value_kind:     by_value
    .group_segment_fixed_size: 0
    .kernarg_segment_align: 8
    .kernarg_segment_size: 96
    .language:       OpenCL C
    .language_version:
      - 2
      - 0
    .max_flat_workgroup_size: 128
    .name:           _ZN9rocsparseL18bsrxmvn_4x4_kernelILj128ELj16Efii18rocsparse_bfloat16S1_fEEvT3_20rocsparse_direction_NS_24const_host_device_scalarIT1_EES2_PKS2_PKT2_SB_S8_PKT4_PKT5_S6_PT6_21rocsparse_index_base_b
    .private_segment_fixed_size: 0
    .sgpr_count:     24
    .sgpr_spill_count: 0
    .symbol:         _ZN9rocsparseL18bsrxmvn_4x4_kernelILj128ELj16Efii18rocsparse_bfloat16S1_fEEvT3_20rocsparse_direction_NS_24const_host_device_scalarIT1_EES2_PKS2_PKT2_SB_S8_PKT4_PKT5_S6_PT6_21rocsparse_index_base_b.kd
    .uniform_work_group_size: 1
    .uses_dynamic_stack: false
    .vgpr_count:     100
    .vgpr_spill_count: 0
    .wavefront_size: 64
  - .agpr_count:     0
    .args:
      - .offset:         0
        .size:           4
        .value_kind:     by_value
      - .offset:         4
        .size:           4
        .value_kind:     by_value
      - .offset:         8
        .size:           8
        .value_kind:     by_value
      - .offset:         16
        .size:           4
        .value_kind:     by_value
      - .actual_access:  read_only
        .address_space:  global
        .offset:         24
        .size:           8
        .value_kind:     global_buffer
      - .actual_access:  read_only
        .address_space:  global
        .offset:         32
        .size:           8
        .value_kind:     global_buffer
      - .actual_access:  read_only
        .address_space:  global
        .offset:         40
        .size:           8
        .value_kind:     global_buffer
      - .actual_access:  read_only
        .address_space:  global
        .offset:         48
        .size:           8
        .value_kind:     global_buffer
      - .actual_access:  read_only
        .address_space:  global
        .offset:         56
        .size:           8
        .value_kind:     global_buffer
      - .actual_access:  read_only
        .address_space:  global
        .offset:         64
        .size:           8
        .value_kind:     global_buffer
      - .offset:         72
        .size:           8
        .value_kind:     by_value
      - .address_space:  global
        .offset:         80
        .size:           8
        .value_kind:     global_buffer
      - .offset:         88
        .size:           4
        .value_kind:     by_value
      - .offset:         92
        .size:           1
        .value_kind:     by_value
    .group_segment_fixed_size: 0
    .kernarg_segment_align: 8
    .kernarg_segment_size: 96
    .language:       OpenCL C
    .language_version:
      - 2
      - 0
    .max_flat_workgroup_size: 128
    .name:           _ZN9rocsparseL18bsrxmvn_4x4_kernelILj128ELj32Efii18rocsparse_bfloat16S1_fEEvT3_20rocsparse_direction_NS_24const_host_device_scalarIT1_EES2_PKS2_PKT2_SB_S8_PKT4_PKT5_S6_PT6_21rocsparse_index_base_b
    .private_segment_fixed_size: 0
    .sgpr_count:     24
    .sgpr_spill_count: 0
    .symbol:         _ZN9rocsparseL18bsrxmvn_4x4_kernelILj128ELj32Efii18rocsparse_bfloat16S1_fEEvT3_20rocsparse_direction_NS_24const_host_device_scalarIT1_EES2_PKS2_PKT2_SB_S8_PKT4_PKT5_S6_PT6_21rocsparse_index_base_b.kd
    .uniform_work_group_size: 1
    .uses_dynamic_stack: false
    .vgpr_count:     100
    .vgpr_spill_count: 0
    .wavefront_size: 64
  - .agpr_count:     0
    .args:
      - .offset:         0
        .size:           4
        .value_kind:     by_value
      - .offset:         4
        .size:           4
        .value_kind:     by_value
      - .offset:         8
        .size:           8
        .value_kind:     by_value
      - .offset:         16
        .size:           4
        .value_kind:     by_value
      - .actual_access:  read_only
        .address_space:  global
        .offset:         24
        .size:           8
        .value_kind:     global_buffer
      - .actual_access:  read_only
        .address_space:  global
        .offset:         32
        .size:           8
        .value_kind:     global_buffer
      - .actual_access:  read_only
        .address_space:  global
        .offset:         40
        .size:           8
        .value_kind:     global_buffer
      - .actual_access:  read_only
        .address_space:  global
        .offset:         48
        .size:           8
        .value_kind:     global_buffer
      - .actual_access:  read_only
        .address_space:  global
        .offset:         56
        .size:           8
        .value_kind:     global_buffer
      - .actual_access:  read_only
        .address_space:  global
        .offset:         64
        .size:           8
        .value_kind:     global_buffer
      - .offset:         72
        .size:           8
        .value_kind:     by_value
      - .address_space:  global
        .offset:         80
        .size:           8
        .value_kind:     global_buffer
      - .offset:         88
        .size:           4
        .value_kind:     by_value
      - .offset:         92
        .size:           1
        .value_kind:     by_value
    .group_segment_fixed_size: 0
    .kernarg_segment_align: 8
    .kernarg_segment_size: 96
    .language:       OpenCL C
    .language_version:
      - 2
      - 0
    .max_flat_workgroup_size: 128
    .name:           _ZN9rocsparseL18bsrxmvn_4x4_kernelILj128ELj64Efii18rocsparse_bfloat16S1_fEEvT3_20rocsparse_direction_NS_24const_host_device_scalarIT1_EES2_PKS2_PKT2_SB_S8_PKT4_PKT5_S6_PT6_21rocsparse_index_base_b
    .private_segment_fixed_size: 0
    .sgpr_count:     24
    .sgpr_spill_count: 0
    .symbol:         _ZN9rocsparseL18bsrxmvn_4x4_kernelILj128ELj64Efii18rocsparse_bfloat16S1_fEEvT3_20rocsparse_direction_NS_24const_host_device_scalarIT1_EES2_PKS2_PKT2_SB_S8_PKT4_PKT5_S6_PT6_21rocsparse_index_base_b.kd
    .uniform_work_group_size: 1
    .uses_dynamic_stack: false
    .vgpr_count:     100
    .vgpr_spill_count: 0
    .wavefront_size: 64
  - .agpr_count:     0
    .args:
      - .offset:         0
        .size:           4
        .value_kind:     by_value
      - .offset:         4
        .size:           4
        .value_kind:     by_value
      - .offset:         8
        .size:           8
        .value_kind:     by_value
      - .offset:         16
        .size:           4
        .value_kind:     by_value
      - .actual_access:  read_only
        .address_space:  global
        .offset:         24
        .size:           8
        .value_kind:     global_buffer
      - .actual_access:  read_only
        .address_space:  global
        .offset:         32
        .size:           8
        .value_kind:     global_buffer
      - .actual_access:  read_only
        .address_space:  global
        .offset:         40
        .size:           8
        .value_kind:     global_buffer
      - .actual_access:  read_only
        .address_space:  global
        .offset:         48
        .size:           8
        .value_kind:     global_buffer
      - .actual_access:  read_only
        .address_space:  global
        .offset:         56
        .size:           8
        .value_kind:     global_buffer
      - .actual_access:  read_only
        .address_space:  global
        .offset:         64
        .size:           8
        .value_kind:     global_buffer
      - .offset:         72
        .size:           8
        .value_kind:     by_value
      - .address_space:  global
        .offset:         80
        .size:           8
        .value_kind:     global_buffer
      - .offset:         88
        .size:           4
        .value_kind:     by_value
      - .offset:         92
        .size:           1
        .value_kind:     by_value
    .group_segment_fixed_size: 0
    .kernarg_segment_align: 8
    .kernarg_segment_size: 96
    .language:       OpenCL C
    .language_version:
      - 2
      - 0
    .max_flat_workgroup_size: 128
    .name:           _ZN9rocsparseL18bsrxmvn_4x4_kernelILj128ELj4Efli18rocsparse_bfloat16S1_fEEvT3_20rocsparse_direction_NS_24const_host_device_scalarIT1_EES2_PKS2_PKT2_SB_S8_PKT4_PKT5_S6_PT6_21rocsparse_index_base_b
    .private_segment_fixed_size: 0
    .sgpr_count:     26
    .sgpr_spill_count: 0
    .symbol:         _ZN9rocsparseL18bsrxmvn_4x4_kernelILj128ELj4Efli18rocsparse_bfloat16S1_fEEvT3_20rocsparse_direction_NS_24const_host_device_scalarIT1_EES2_PKS2_PKT2_SB_S8_PKT4_PKT5_S6_PT6_21rocsparse_index_base_b.kd
    .uniform_work_group_size: 1
    .uses_dynamic_stack: false
    .vgpr_count:     100
    .vgpr_spill_count: 0
    .wavefront_size: 64
  - .agpr_count:     0
    .args:
      - .offset:         0
        .size:           4
        .value_kind:     by_value
      - .offset:         4
        .size:           4
        .value_kind:     by_value
      - .offset:         8
        .size:           8
        .value_kind:     by_value
      - .offset:         16
        .size:           4
        .value_kind:     by_value
      - .actual_access:  read_only
        .address_space:  global
        .offset:         24
        .size:           8
        .value_kind:     global_buffer
      - .actual_access:  read_only
        .address_space:  global
        .offset:         32
        .size:           8
        .value_kind:     global_buffer
      - .actual_access:  read_only
        .address_space:  global
        .offset:         40
        .size:           8
        .value_kind:     global_buffer
      - .actual_access:  read_only
        .address_space:  global
        .offset:         48
        .size:           8
        .value_kind:     global_buffer
      - .actual_access:  read_only
        .address_space:  global
        .offset:         56
        .size:           8
        .value_kind:     global_buffer
      - .actual_access:  read_only
        .address_space:  global
        .offset:         64
        .size:           8
        .value_kind:     global_buffer
      - .offset:         72
        .size:           8
        .value_kind:     by_value
      - .address_space:  global
        .offset:         80
        .size:           8
        .value_kind:     global_buffer
      - .offset:         88
        .size:           4
        .value_kind:     by_value
      - .offset:         92
        .size:           1
        .value_kind:     by_value
    .group_segment_fixed_size: 0
    .kernarg_segment_align: 8
    .kernarg_segment_size: 96
    .language:       OpenCL C
    .language_version:
      - 2
      - 0
    .max_flat_workgroup_size: 128
    .name:           _ZN9rocsparseL18bsrxmvn_4x4_kernelILj128ELj8Efli18rocsparse_bfloat16S1_fEEvT3_20rocsparse_direction_NS_24const_host_device_scalarIT1_EES2_PKS2_PKT2_SB_S8_PKT4_PKT5_S6_PT6_21rocsparse_index_base_b
    .private_segment_fixed_size: 0
    .sgpr_count:     26
    .sgpr_spill_count: 0
    .symbol:         _ZN9rocsparseL18bsrxmvn_4x4_kernelILj128ELj8Efli18rocsparse_bfloat16S1_fEEvT3_20rocsparse_direction_NS_24const_host_device_scalarIT1_EES2_PKS2_PKT2_SB_S8_PKT4_PKT5_S6_PT6_21rocsparse_index_base_b.kd
    .uniform_work_group_size: 1
    .uses_dynamic_stack: false
    .vgpr_count:     100
    .vgpr_spill_count: 0
    .wavefront_size: 64
  - .agpr_count:     0
    .args:
      - .offset:         0
        .size:           4
        .value_kind:     by_value
      - .offset:         4
        .size:           4
        .value_kind:     by_value
      - .offset:         8
        .size:           8
        .value_kind:     by_value
      - .offset:         16
        .size:           4
        .value_kind:     by_value
      - .actual_access:  read_only
        .address_space:  global
        .offset:         24
        .size:           8
        .value_kind:     global_buffer
      - .actual_access:  read_only
        .address_space:  global
        .offset:         32
        .size:           8
        .value_kind:     global_buffer
      - .actual_access:  read_only
        .address_space:  global
        .offset:         40
        .size:           8
        .value_kind:     global_buffer
      - .actual_access:  read_only
        .address_space:  global
        .offset:         48
        .size:           8
        .value_kind:     global_buffer
      - .actual_access:  read_only
        .address_space:  global
        .offset:         56
        .size:           8
        .value_kind:     global_buffer
      - .actual_access:  read_only
        .address_space:  global
        .offset:         64
        .size:           8
        .value_kind:     global_buffer
      - .offset:         72
        .size:           8
        .value_kind:     by_value
      - .address_space:  global
        .offset:         80
        .size:           8
        .value_kind:     global_buffer
      - .offset:         88
        .size:           4
        .value_kind:     by_value
      - .offset:         92
        .size:           1
        .value_kind:     by_value
    .group_segment_fixed_size: 0
    .kernarg_segment_align: 8
    .kernarg_segment_size: 96
    .language:       OpenCL C
    .language_version:
      - 2
      - 0
    .max_flat_workgroup_size: 128
    .name:           _ZN9rocsparseL18bsrxmvn_4x4_kernelILj128ELj16Efli18rocsparse_bfloat16S1_fEEvT3_20rocsparse_direction_NS_24const_host_device_scalarIT1_EES2_PKS2_PKT2_SB_S8_PKT4_PKT5_S6_PT6_21rocsparse_index_base_b
    .private_segment_fixed_size: 0
    .sgpr_count:     26
    .sgpr_spill_count: 0
    .symbol:         _ZN9rocsparseL18bsrxmvn_4x4_kernelILj128ELj16Efli18rocsparse_bfloat16S1_fEEvT3_20rocsparse_direction_NS_24const_host_device_scalarIT1_EES2_PKS2_PKT2_SB_S8_PKT4_PKT5_S6_PT6_21rocsparse_index_base_b.kd
    .uniform_work_group_size: 1
    .uses_dynamic_stack: false
    .vgpr_count:     100
    .vgpr_spill_count: 0
    .wavefront_size: 64
  - .agpr_count:     0
    .args:
      - .offset:         0
        .size:           4
        .value_kind:     by_value
      - .offset:         4
        .size:           4
        .value_kind:     by_value
      - .offset:         8
        .size:           8
        .value_kind:     by_value
      - .offset:         16
        .size:           4
        .value_kind:     by_value
      - .actual_access:  read_only
        .address_space:  global
        .offset:         24
        .size:           8
        .value_kind:     global_buffer
      - .actual_access:  read_only
        .address_space:  global
        .offset:         32
        .size:           8
        .value_kind:     global_buffer
      - .actual_access:  read_only
        .address_space:  global
        .offset:         40
        .size:           8
        .value_kind:     global_buffer
      - .actual_access:  read_only
        .address_space:  global
        .offset:         48
        .size:           8
        .value_kind:     global_buffer
      - .actual_access:  read_only
        .address_space:  global
        .offset:         56
        .size:           8
        .value_kind:     global_buffer
      - .actual_access:  read_only
        .address_space:  global
        .offset:         64
        .size:           8
        .value_kind:     global_buffer
      - .offset:         72
        .size:           8
        .value_kind:     by_value
      - .address_space:  global
        .offset:         80
        .size:           8
        .value_kind:     global_buffer
      - .offset:         88
        .size:           4
        .value_kind:     by_value
      - .offset:         92
        .size:           1
        .value_kind:     by_value
    .group_segment_fixed_size: 0
    .kernarg_segment_align: 8
    .kernarg_segment_size: 96
    .language:       OpenCL C
    .language_version:
      - 2
      - 0
    .max_flat_workgroup_size: 128
    .name:           _ZN9rocsparseL18bsrxmvn_4x4_kernelILj128ELj32Efli18rocsparse_bfloat16S1_fEEvT3_20rocsparse_direction_NS_24const_host_device_scalarIT1_EES2_PKS2_PKT2_SB_S8_PKT4_PKT5_S6_PT6_21rocsparse_index_base_b
    .private_segment_fixed_size: 0
    .sgpr_count:     26
    .sgpr_spill_count: 0
    .symbol:         _ZN9rocsparseL18bsrxmvn_4x4_kernelILj128ELj32Efli18rocsparse_bfloat16S1_fEEvT3_20rocsparse_direction_NS_24const_host_device_scalarIT1_EES2_PKS2_PKT2_SB_S8_PKT4_PKT5_S6_PT6_21rocsparse_index_base_b.kd
    .uniform_work_group_size: 1
    .uses_dynamic_stack: false
    .vgpr_count:     100
    .vgpr_spill_count: 0
    .wavefront_size: 64
  - .agpr_count:     0
    .args:
      - .offset:         0
        .size:           4
        .value_kind:     by_value
      - .offset:         4
        .size:           4
        .value_kind:     by_value
      - .offset:         8
        .size:           8
        .value_kind:     by_value
      - .offset:         16
        .size:           4
        .value_kind:     by_value
      - .actual_access:  read_only
        .address_space:  global
        .offset:         24
        .size:           8
        .value_kind:     global_buffer
      - .actual_access:  read_only
        .address_space:  global
        .offset:         32
        .size:           8
        .value_kind:     global_buffer
      - .actual_access:  read_only
        .address_space:  global
        .offset:         40
        .size:           8
        .value_kind:     global_buffer
      - .actual_access:  read_only
        .address_space:  global
        .offset:         48
        .size:           8
        .value_kind:     global_buffer
      - .actual_access:  read_only
        .address_space:  global
        .offset:         56
        .size:           8
        .value_kind:     global_buffer
      - .actual_access:  read_only
        .address_space:  global
        .offset:         64
        .size:           8
        .value_kind:     global_buffer
      - .offset:         72
        .size:           8
        .value_kind:     by_value
      - .address_space:  global
        .offset:         80
        .size:           8
        .value_kind:     global_buffer
      - .offset:         88
        .size:           4
        .value_kind:     by_value
      - .offset:         92
        .size:           1
        .value_kind:     by_value
    .group_segment_fixed_size: 0
    .kernarg_segment_align: 8
    .kernarg_segment_size: 96
    .language:       OpenCL C
    .language_version:
      - 2
      - 0
    .max_flat_workgroup_size: 128
    .name:           _ZN9rocsparseL18bsrxmvn_4x4_kernelILj128ELj64Efli18rocsparse_bfloat16S1_fEEvT3_20rocsparse_direction_NS_24const_host_device_scalarIT1_EES2_PKS2_PKT2_SB_S8_PKT4_PKT5_S6_PT6_21rocsparse_index_base_b
    .private_segment_fixed_size: 0
    .sgpr_count:     26
    .sgpr_spill_count: 0
    .symbol:         _ZN9rocsparseL18bsrxmvn_4x4_kernelILj128ELj64Efli18rocsparse_bfloat16S1_fEEvT3_20rocsparse_direction_NS_24const_host_device_scalarIT1_EES2_PKS2_PKT2_SB_S8_PKT4_PKT5_S6_PT6_21rocsparse_index_base_b.kd
    .uniform_work_group_size: 1
    .uses_dynamic_stack: false
    .vgpr_count:     100
    .vgpr_spill_count: 0
    .wavefront_size: 64
  - .agpr_count:     0
    .args:
      - .offset:         0
        .size:           8
        .value_kind:     by_value
      - .offset:         8
        .size:           4
        .value_kind:     by_value
      - .offset:         16
        .size:           8
        .value_kind:     by_value
      - .offset:         24
        .size:           8
        .value_kind:     by_value
      - .actual_access:  read_only
        .address_space:  global
        .offset:         32
        .size:           8
        .value_kind:     global_buffer
      - .actual_access:  read_only
        .address_space:  global
        .offset:         40
        .size:           8
        .value_kind:     global_buffer
      - .actual_access:  read_only
        .address_space:  global
        .offset:         48
        .size:           8
        .value_kind:     global_buffer
      - .actual_access:  read_only
        .address_space:  global
        .offset:         56
        .size:           8
        .value_kind:     global_buffer
      - .actual_access:  read_only
        .address_space:  global
        .offset:         64
        .size:           8
        .value_kind:     global_buffer
      - .actual_access:  read_only
        .address_space:  global
        .offset:         72
        .size:           8
        .value_kind:     global_buffer
      - .offset:         80
        .size:           8
        .value_kind:     by_value
      - .address_space:  global
        .offset:         88
        .size:           8
        .value_kind:     global_buffer
      - .offset:         96
        .size:           4
        .value_kind:     by_value
      - .offset:         100
        .size:           1
        .value_kind:     by_value
    .group_segment_fixed_size: 0
    .kernarg_segment_align: 8
    .kernarg_segment_size: 104
    .language:       OpenCL C
    .language_version:
      - 2
      - 0
    .max_flat_workgroup_size: 128
    .name:           _ZN9rocsparseL18bsrxmvn_4x4_kernelILj128ELj4Efll18rocsparse_bfloat16S1_fEEvT3_20rocsparse_direction_NS_24const_host_device_scalarIT1_EES2_PKS2_PKT2_SB_S8_PKT4_PKT5_S6_PT6_21rocsparse_index_base_b
    .private_segment_fixed_size: 0
    .sgpr_count:     28
    .sgpr_spill_count: 0
    .symbol:         _ZN9rocsparseL18bsrxmvn_4x4_kernelILj128ELj4Efll18rocsparse_bfloat16S1_fEEvT3_20rocsparse_direction_NS_24const_host_device_scalarIT1_EES2_PKS2_PKT2_SB_S8_PKT4_PKT5_S6_PT6_21rocsparse_index_base_b.kd
    .uniform_work_group_size: 1
    .uses_dynamic_stack: false
    .vgpr_count:     102
    .vgpr_spill_count: 0
    .wavefront_size: 64
  - .agpr_count:     0
    .args:
      - .offset:         0
        .size:           8
        .value_kind:     by_value
      - .offset:         8
        .size:           4
        .value_kind:     by_value
      - .offset:         16
        .size:           8
        .value_kind:     by_value
      - .offset:         24
        .size:           8
        .value_kind:     by_value
      - .actual_access:  read_only
        .address_space:  global
        .offset:         32
        .size:           8
        .value_kind:     global_buffer
      - .actual_access:  read_only
        .address_space:  global
        .offset:         40
        .size:           8
        .value_kind:     global_buffer
      - .actual_access:  read_only
        .address_space:  global
        .offset:         48
        .size:           8
        .value_kind:     global_buffer
      - .actual_access:  read_only
        .address_space:  global
        .offset:         56
        .size:           8
        .value_kind:     global_buffer
      - .actual_access:  read_only
        .address_space:  global
        .offset:         64
        .size:           8
        .value_kind:     global_buffer
      - .actual_access:  read_only
        .address_space:  global
        .offset:         72
        .size:           8
        .value_kind:     global_buffer
      - .offset:         80
        .size:           8
        .value_kind:     by_value
      - .address_space:  global
        .offset:         88
        .size:           8
        .value_kind:     global_buffer
      - .offset:         96
        .size:           4
        .value_kind:     by_value
      - .offset:         100
        .size:           1
        .value_kind:     by_value
    .group_segment_fixed_size: 0
    .kernarg_segment_align: 8
    .kernarg_segment_size: 104
    .language:       OpenCL C
    .language_version:
      - 2
      - 0
    .max_flat_workgroup_size: 128
    .name:           _ZN9rocsparseL18bsrxmvn_4x4_kernelILj128ELj8Efll18rocsparse_bfloat16S1_fEEvT3_20rocsparse_direction_NS_24const_host_device_scalarIT1_EES2_PKS2_PKT2_SB_S8_PKT4_PKT5_S6_PT6_21rocsparse_index_base_b
    .private_segment_fixed_size: 0
    .sgpr_count:     28
    .sgpr_spill_count: 0
    .symbol:         _ZN9rocsparseL18bsrxmvn_4x4_kernelILj128ELj8Efll18rocsparse_bfloat16S1_fEEvT3_20rocsparse_direction_NS_24const_host_device_scalarIT1_EES2_PKS2_PKT2_SB_S8_PKT4_PKT5_S6_PT6_21rocsparse_index_base_b.kd
    .uniform_work_group_size: 1
    .uses_dynamic_stack: false
    .vgpr_count:     102
    .vgpr_spill_count: 0
    .wavefront_size: 64
  - .agpr_count:     0
    .args:
      - .offset:         0
        .size:           8
        .value_kind:     by_value
      - .offset:         8
        .size:           4
        .value_kind:     by_value
      - .offset:         16
        .size:           8
        .value_kind:     by_value
      - .offset:         24
        .size:           8
        .value_kind:     by_value
      - .actual_access:  read_only
        .address_space:  global
        .offset:         32
        .size:           8
        .value_kind:     global_buffer
      - .actual_access:  read_only
        .address_space:  global
        .offset:         40
        .size:           8
        .value_kind:     global_buffer
      - .actual_access:  read_only
        .address_space:  global
        .offset:         48
        .size:           8
        .value_kind:     global_buffer
      - .actual_access:  read_only
        .address_space:  global
        .offset:         56
        .size:           8
        .value_kind:     global_buffer
      - .actual_access:  read_only
        .address_space:  global
        .offset:         64
        .size:           8
        .value_kind:     global_buffer
      - .actual_access:  read_only
        .address_space:  global
        .offset:         72
        .size:           8
        .value_kind:     global_buffer
      - .offset:         80
        .size:           8
        .value_kind:     by_value
      - .address_space:  global
        .offset:         88
        .size:           8
        .value_kind:     global_buffer
      - .offset:         96
        .size:           4
        .value_kind:     by_value
      - .offset:         100
        .size:           1
        .value_kind:     by_value
    .group_segment_fixed_size: 0
    .kernarg_segment_align: 8
    .kernarg_segment_size: 104
    .language:       OpenCL C
    .language_version:
      - 2
      - 0
    .max_flat_workgroup_size: 128
    .name:           _ZN9rocsparseL18bsrxmvn_4x4_kernelILj128ELj16Efll18rocsparse_bfloat16S1_fEEvT3_20rocsparse_direction_NS_24const_host_device_scalarIT1_EES2_PKS2_PKT2_SB_S8_PKT4_PKT5_S6_PT6_21rocsparse_index_base_b
    .private_segment_fixed_size: 0
    .sgpr_count:     28
    .sgpr_spill_count: 0
    .symbol:         _ZN9rocsparseL18bsrxmvn_4x4_kernelILj128ELj16Efll18rocsparse_bfloat16S1_fEEvT3_20rocsparse_direction_NS_24const_host_device_scalarIT1_EES2_PKS2_PKT2_SB_S8_PKT4_PKT5_S6_PT6_21rocsparse_index_base_b.kd
    .uniform_work_group_size: 1
    .uses_dynamic_stack: false
    .vgpr_count:     102
    .vgpr_spill_count: 0
    .wavefront_size: 64
  - .agpr_count:     0
    .args:
      - .offset:         0
        .size:           8
        .value_kind:     by_value
      - .offset:         8
        .size:           4
        .value_kind:     by_value
      - .offset:         16
        .size:           8
        .value_kind:     by_value
      - .offset:         24
        .size:           8
        .value_kind:     by_value
      - .actual_access:  read_only
        .address_space:  global
        .offset:         32
        .size:           8
        .value_kind:     global_buffer
      - .actual_access:  read_only
        .address_space:  global
        .offset:         40
        .size:           8
        .value_kind:     global_buffer
      - .actual_access:  read_only
        .address_space:  global
        .offset:         48
        .size:           8
        .value_kind:     global_buffer
      - .actual_access:  read_only
        .address_space:  global
        .offset:         56
        .size:           8
        .value_kind:     global_buffer
      - .actual_access:  read_only
        .address_space:  global
        .offset:         64
        .size:           8
        .value_kind:     global_buffer
      - .actual_access:  read_only
        .address_space:  global
        .offset:         72
        .size:           8
        .value_kind:     global_buffer
      - .offset:         80
        .size:           8
        .value_kind:     by_value
      - .address_space:  global
        .offset:         88
        .size:           8
        .value_kind:     global_buffer
      - .offset:         96
        .size:           4
        .value_kind:     by_value
      - .offset:         100
        .size:           1
        .value_kind:     by_value
    .group_segment_fixed_size: 0
    .kernarg_segment_align: 8
    .kernarg_segment_size: 104
    .language:       OpenCL C
    .language_version:
      - 2
      - 0
    .max_flat_workgroup_size: 128
    .name:           _ZN9rocsparseL18bsrxmvn_4x4_kernelILj128ELj32Efll18rocsparse_bfloat16S1_fEEvT3_20rocsparse_direction_NS_24const_host_device_scalarIT1_EES2_PKS2_PKT2_SB_S8_PKT4_PKT5_S6_PT6_21rocsparse_index_base_b
    .private_segment_fixed_size: 0
    .sgpr_count:     28
    .sgpr_spill_count: 0
    .symbol:         _ZN9rocsparseL18bsrxmvn_4x4_kernelILj128ELj32Efll18rocsparse_bfloat16S1_fEEvT3_20rocsparse_direction_NS_24const_host_device_scalarIT1_EES2_PKS2_PKT2_SB_S8_PKT4_PKT5_S6_PT6_21rocsparse_index_base_b.kd
    .uniform_work_group_size: 1
    .uses_dynamic_stack: false
    .vgpr_count:     102
    .vgpr_spill_count: 0
    .wavefront_size: 64
  - .agpr_count:     0
    .args:
      - .offset:         0
        .size:           8
        .value_kind:     by_value
      - .offset:         8
        .size:           4
        .value_kind:     by_value
      - .offset:         16
        .size:           8
        .value_kind:     by_value
      - .offset:         24
        .size:           8
        .value_kind:     by_value
      - .actual_access:  read_only
        .address_space:  global
        .offset:         32
        .size:           8
        .value_kind:     global_buffer
      - .actual_access:  read_only
        .address_space:  global
        .offset:         40
        .size:           8
        .value_kind:     global_buffer
      - .actual_access:  read_only
        .address_space:  global
        .offset:         48
        .size:           8
        .value_kind:     global_buffer
      - .actual_access:  read_only
        .address_space:  global
        .offset:         56
        .size:           8
        .value_kind:     global_buffer
      - .actual_access:  read_only
        .address_space:  global
        .offset:         64
        .size:           8
        .value_kind:     global_buffer
      - .actual_access:  read_only
        .address_space:  global
        .offset:         72
        .size:           8
        .value_kind:     global_buffer
      - .offset:         80
        .size:           8
        .value_kind:     by_value
      - .address_space:  global
        .offset:         88
        .size:           8
        .value_kind:     global_buffer
      - .offset:         96
        .size:           4
        .value_kind:     by_value
      - .offset:         100
        .size:           1
        .value_kind:     by_value
    .group_segment_fixed_size: 0
    .kernarg_segment_align: 8
    .kernarg_segment_size: 104
    .language:       OpenCL C
    .language_version:
      - 2
      - 0
    .max_flat_workgroup_size: 128
    .name:           _ZN9rocsparseL18bsrxmvn_4x4_kernelILj128ELj64Efll18rocsparse_bfloat16S1_fEEvT3_20rocsparse_direction_NS_24const_host_device_scalarIT1_EES2_PKS2_PKT2_SB_S8_PKT4_PKT5_S6_PT6_21rocsparse_index_base_b
    .private_segment_fixed_size: 0
    .sgpr_count:     28
    .sgpr_spill_count: 0
    .symbol:         _ZN9rocsparseL18bsrxmvn_4x4_kernelILj128ELj64Efll18rocsparse_bfloat16S1_fEEvT3_20rocsparse_direction_NS_24const_host_device_scalarIT1_EES2_PKS2_PKT2_SB_S8_PKT4_PKT5_S6_PT6_21rocsparse_index_base_b.kd
    .uniform_work_group_size: 1
    .uses_dynamic_stack: false
    .vgpr_count:     102
    .vgpr_spill_count: 0
    .wavefront_size: 64
  - .agpr_count:     0
    .args:
      - .offset:         0
        .size:           4
        .value_kind:     by_value
      - .offset:         4
        .size:           4
        .value_kind:     by_value
      - .offset:         8
        .size:           8
        .value_kind:     by_value
      - .offset:         16
        .size:           4
        .value_kind:     by_value
      - .actual_access:  read_only
        .address_space:  global
        .offset:         24
        .size:           8
        .value_kind:     global_buffer
      - .actual_access:  read_only
        .address_space:  global
        .offset:         32
        .size:           8
        .value_kind:     global_buffer
      - .actual_access:  read_only
        .address_space:  global
        .offset:         40
        .size:           8
        .value_kind:     global_buffer
      - .actual_access:  read_only
        .address_space:  global
        .offset:         48
        .size:           8
        .value_kind:     global_buffer
      - .actual_access:  read_only
        .address_space:  global
        .offset:         56
        .size:           8
        .value_kind:     global_buffer
      - .actual_access:  read_only
        .address_space:  global
        .offset:         64
        .size:           8
        .value_kind:     global_buffer
      - .offset:         72
        .size:           8
        .value_kind:     by_value
      - .address_space:  global
        .offset:         80
        .size:           8
        .value_kind:     global_buffer
      - .offset:         88
        .size:           4
        .value_kind:     by_value
      - .offset:         92
        .size:           1
        .value_kind:     by_value
    .group_segment_fixed_size: 0
    .kernarg_segment_align: 8
    .kernarg_segment_size: 96
    .language:       OpenCL C
    .language_version:
      - 2
      - 0
    .max_flat_workgroup_size: 128
    .name:           _ZN9rocsparseL18bsrxmvn_4x4_kernelILj128ELj4E21rocsparse_complex_numIfEiifS2_S2_EEvT3_20rocsparse_direction_NS_24const_host_device_scalarIT1_EES3_PKS3_PKT2_SC_S9_PKT4_PKT5_S7_PT6_21rocsparse_index_base_b
    .private_segment_fixed_size: 0
    .sgpr_count:     20
    .sgpr_spill_count: 0
    .symbol:         _ZN9rocsparseL18bsrxmvn_4x4_kernelILj128ELj4E21rocsparse_complex_numIfEiifS2_S2_EEvT3_20rocsparse_direction_NS_24const_host_device_scalarIT1_EES3_PKS3_PKT2_SC_S9_PKT4_PKT5_S7_PT6_21rocsparse_index_base_b.kd
    .uniform_work_group_size: 1
    .uses_dynamic_stack: false
    .vgpr_count:     130
    .vgpr_spill_count: 0
    .wavefront_size: 64
  - .agpr_count:     0
    .args:
      - .offset:         0
        .size:           4
        .value_kind:     by_value
      - .offset:         4
        .size:           4
        .value_kind:     by_value
      - .offset:         8
        .size:           8
        .value_kind:     by_value
      - .offset:         16
        .size:           4
        .value_kind:     by_value
      - .actual_access:  read_only
        .address_space:  global
        .offset:         24
        .size:           8
        .value_kind:     global_buffer
      - .actual_access:  read_only
        .address_space:  global
        .offset:         32
        .size:           8
        .value_kind:     global_buffer
      - .actual_access:  read_only
        .address_space:  global
        .offset:         40
        .size:           8
        .value_kind:     global_buffer
      - .actual_access:  read_only
        .address_space:  global
        .offset:         48
        .size:           8
        .value_kind:     global_buffer
      - .actual_access:  read_only
        .address_space:  global
        .offset:         56
        .size:           8
        .value_kind:     global_buffer
      - .actual_access:  read_only
        .address_space:  global
        .offset:         64
        .size:           8
        .value_kind:     global_buffer
      - .offset:         72
        .size:           8
        .value_kind:     by_value
      - .address_space:  global
        .offset:         80
        .size:           8
        .value_kind:     global_buffer
      - .offset:         88
        .size:           4
        .value_kind:     by_value
      - .offset:         92
        .size:           1
        .value_kind:     by_value
    .group_segment_fixed_size: 0
    .kernarg_segment_align: 8
    .kernarg_segment_size: 96
    .language:       OpenCL C
    .language_version:
      - 2
      - 0
    .max_flat_workgroup_size: 128
    .name:           _ZN9rocsparseL18bsrxmvn_4x4_kernelILj128ELj8E21rocsparse_complex_numIfEiifS2_S2_EEvT3_20rocsparse_direction_NS_24const_host_device_scalarIT1_EES3_PKS3_PKT2_SC_S9_PKT4_PKT5_S7_PT6_21rocsparse_index_base_b
    .private_segment_fixed_size: 0
    .sgpr_count:     20
    .sgpr_spill_count: 0
    .symbol:         _ZN9rocsparseL18bsrxmvn_4x4_kernelILj128ELj8E21rocsparse_complex_numIfEiifS2_S2_EEvT3_20rocsparse_direction_NS_24const_host_device_scalarIT1_EES3_PKS3_PKT2_SC_S9_PKT4_PKT5_S7_PT6_21rocsparse_index_base_b.kd
    .uniform_work_group_size: 1
    .uses_dynamic_stack: false
    .vgpr_count:     130
    .vgpr_spill_count: 0
    .wavefront_size: 64
  - .agpr_count:     0
    .args:
      - .offset:         0
        .size:           4
        .value_kind:     by_value
      - .offset:         4
        .size:           4
        .value_kind:     by_value
      - .offset:         8
        .size:           8
        .value_kind:     by_value
      - .offset:         16
        .size:           4
        .value_kind:     by_value
      - .actual_access:  read_only
        .address_space:  global
        .offset:         24
        .size:           8
        .value_kind:     global_buffer
      - .actual_access:  read_only
        .address_space:  global
        .offset:         32
        .size:           8
        .value_kind:     global_buffer
      - .actual_access:  read_only
        .address_space:  global
        .offset:         40
        .size:           8
        .value_kind:     global_buffer
      - .actual_access:  read_only
        .address_space:  global
        .offset:         48
        .size:           8
        .value_kind:     global_buffer
      - .actual_access:  read_only
        .address_space:  global
        .offset:         56
        .size:           8
        .value_kind:     global_buffer
      - .actual_access:  read_only
        .address_space:  global
        .offset:         64
        .size:           8
        .value_kind:     global_buffer
      - .offset:         72
        .size:           8
        .value_kind:     by_value
      - .address_space:  global
        .offset:         80
        .size:           8
        .value_kind:     global_buffer
      - .offset:         88
        .size:           4
        .value_kind:     by_value
      - .offset:         92
        .size:           1
        .value_kind:     by_value
    .group_segment_fixed_size: 0
    .kernarg_segment_align: 8
    .kernarg_segment_size: 96
    .language:       OpenCL C
    .language_version:
      - 2
      - 0
    .max_flat_workgroup_size: 128
    .name:           _ZN9rocsparseL18bsrxmvn_4x4_kernelILj128ELj16E21rocsparse_complex_numIfEiifS2_S2_EEvT3_20rocsparse_direction_NS_24const_host_device_scalarIT1_EES3_PKS3_PKT2_SC_S9_PKT4_PKT5_S7_PT6_21rocsparse_index_base_b
    .private_segment_fixed_size: 0
    .sgpr_count:     20
    .sgpr_spill_count: 0
    .symbol:         _ZN9rocsparseL18bsrxmvn_4x4_kernelILj128ELj16E21rocsparse_complex_numIfEiifS2_S2_EEvT3_20rocsparse_direction_NS_24const_host_device_scalarIT1_EES3_PKS3_PKT2_SC_S9_PKT4_PKT5_S7_PT6_21rocsparse_index_base_b.kd
    .uniform_work_group_size: 1
    .uses_dynamic_stack: false
    .vgpr_count:     130
    .vgpr_spill_count: 0
    .wavefront_size: 64
  - .agpr_count:     0
    .args:
      - .offset:         0
        .size:           4
        .value_kind:     by_value
      - .offset:         4
        .size:           4
        .value_kind:     by_value
      - .offset:         8
        .size:           8
        .value_kind:     by_value
      - .offset:         16
        .size:           4
        .value_kind:     by_value
      - .actual_access:  read_only
        .address_space:  global
        .offset:         24
        .size:           8
        .value_kind:     global_buffer
      - .actual_access:  read_only
        .address_space:  global
        .offset:         32
        .size:           8
        .value_kind:     global_buffer
      - .actual_access:  read_only
        .address_space:  global
        .offset:         40
        .size:           8
        .value_kind:     global_buffer
      - .actual_access:  read_only
        .address_space:  global
        .offset:         48
        .size:           8
        .value_kind:     global_buffer
      - .actual_access:  read_only
        .address_space:  global
        .offset:         56
        .size:           8
        .value_kind:     global_buffer
      - .actual_access:  read_only
        .address_space:  global
        .offset:         64
        .size:           8
        .value_kind:     global_buffer
      - .offset:         72
        .size:           8
        .value_kind:     by_value
      - .address_space:  global
        .offset:         80
        .size:           8
        .value_kind:     global_buffer
      - .offset:         88
        .size:           4
        .value_kind:     by_value
      - .offset:         92
        .size:           1
        .value_kind:     by_value
    .group_segment_fixed_size: 0
    .kernarg_segment_align: 8
    .kernarg_segment_size: 96
    .language:       OpenCL C
    .language_version:
      - 2
      - 0
    .max_flat_workgroup_size: 128
    .name:           _ZN9rocsparseL18bsrxmvn_4x4_kernelILj128ELj32E21rocsparse_complex_numIfEiifS2_S2_EEvT3_20rocsparse_direction_NS_24const_host_device_scalarIT1_EES3_PKS3_PKT2_SC_S9_PKT4_PKT5_S7_PT6_21rocsparse_index_base_b
    .private_segment_fixed_size: 0
    .sgpr_count:     22
    .sgpr_spill_count: 0
    .symbol:         _ZN9rocsparseL18bsrxmvn_4x4_kernelILj128ELj32E21rocsparse_complex_numIfEiifS2_S2_EEvT3_20rocsparse_direction_NS_24const_host_device_scalarIT1_EES3_PKS3_PKT2_SC_S9_PKT4_PKT5_S7_PT6_21rocsparse_index_base_b.kd
    .uniform_work_group_size: 1
    .uses_dynamic_stack: false
    .vgpr_count:     130
    .vgpr_spill_count: 0
    .wavefront_size: 64
  - .agpr_count:     0
    .args:
      - .offset:         0
        .size:           4
        .value_kind:     by_value
      - .offset:         4
        .size:           4
        .value_kind:     by_value
      - .offset:         8
        .size:           8
        .value_kind:     by_value
      - .offset:         16
        .size:           4
        .value_kind:     by_value
      - .actual_access:  read_only
        .address_space:  global
        .offset:         24
        .size:           8
        .value_kind:     global_buffer
      - .actual_access:  read_only
        .address_space:  global
        .offset:         32
        .size:           8
        .value_kind:     global_buffer
      - .actual_access:  read_only
        .address_space:  global
        .offset:         40
        .size:           8
        .value_kind:     global_buffer
      - .actual_access:  read_only
        .address_space:  global
        .offset:         48
        .size:           8
        .value_kind:     global_buffer
      - .actual_access:  read_only
        .address_space:  global
        .offset:         56
        .size:           8
        .value_kind:     global_buffer
      - .actual_access:  read_only
        .address_space:  global
        .offset:         64
        .size:           8
        .value_kind:     global_buffer
      - .offset:         72
        .size:           8
        .value_kind:     by_value
      - .address_space:  global
        .offset:         80
        .size:           8
        .value_kind:     global_buffer
      - .offset:         88
        .size:           4
        .value_kind:     by_value
      - .offset:         92
        .size:           1
        .value_kind:     by_value
    .group_segment_fixed_size: 0
    .kernarg_segment_align: 8
    .kernarg_segment_size: 96
    .language:       OpenCL C
    .language_version:
      - 2
      - 0
    .max_flat_workgroup_size: 128
    .name:           _ZN9rocsparseL18bsrxmvn_4x4_kernelILj128ELj64E21rocsparse_complex_numIfEiifS2_S2_EEvT3_20rocsparse_direction_NS_24const_host_device_scalarIT1_EES3_PKS3_PKT2_SC_S9_PKT4_PKT5_S7_PT6_21rocsparse_index_base_b
    .private_segment_fixed_size: 0
    .sgpr_count:     24
    .sgpr_spill_count: 0
    .symbol:         _ZN9rocsparseL18bsrxmvn_4x4_kernelILj128ELj64E21rocsparse_complex_numIfEiifS2_S2_EEvT3_20rocsparse_direction_NS_24const_host_device_scalarIT1_EES3_PKS3_PKT2_SC_S9_PKT4_PKT5_S7_PT6_21rocsparse_index_base_b.kd
    .uniform_work_group_size: 1
    .uses_dynamic_stack: false
    .vgpr_count:     130
    .vgpr_spill_count: 0
    .wavefront_size: 64
  - .agpr_count:     0
    .args:
      - .offset:         0
        .size:           4
        .value_kind:     by_value
      - .offset:         4
        .size:           4
        .value_kind:     by_value
      - .offset:         8
        .size:           8
        .value_kind:     by_value
      - .offset:         16
        .size:           4
        .value_kind:     by_value
      - .actual_access:  read_only
        .address_space:  global
        .offset:         24
        .size:           8
        .value_kind:     global_buffer
      - .actual_access:  read_only
        .address_space:  global
        .offset:         32
        .size:           8
        .value_kind:     global_buffer
      - .actual_access:  read_only
        .address_space:  global
        .offset:         40
        .size:           8
        .value_kind:     global_buffer
      - .actual_access:  read_only
        .address_space:  global
        .offset:         48
        .size:           8
        .value_kind:     global_buffer
      - .actual_access:  read_only
        .address_space:  global
        .offset:         56
        .size:           8
        .value_kind:     global_buffer
      - .actual_access:  read_only
        .address_space:  global
        .offset:         64
        .size:           8
        .value_kind:     global_buffer
      - .offset:         72
        .size:           8
        .value_kind:     by_value
      - .address_space:  global
        .offset:         80
        .size:           8
        .value_kind:     global_buffer
      - .offset:         88
        .size:           4
        .value_kind:     by_value
      - .offset:         92
        .size:           1
        .value_kind:     by_value
    .group_segment_fixed_size: 0
    .kernarg_segment_align: 8
    .kernarg_segment_size: 96
    .language:       OpenCL C
    .language_version:
      - 2
      - 0
    .max_flat_workgroup_size: 128
    .name:           _ZN9rocsparseL18bsrxmvn_4x4_kernelILj128ELj4E21rocsparse_complex_numIfElifS2_S2_EEvT3_20rocsparse_direction_NS_24const_host_device_scalarIT1_EES3_PKS3_PKT2_SC_S9_PKT4_PKT5_S7_PT6_21rocsparse_index_base_b
    .private_segment_fixed_size: 0
    .sgpr_count:     22
    .sgpr_spill_count: 0
    .symbol:         _ZN9rocsparseL18bsrxmvn_4x4_kernelILj128ELj4E21rocsparse_complex_numIfElifS2_S2_EEvT3_20rocsparse_direction_NS_24const_host_device_scalarIT1_EES3_PKS3_PKT2_SC_S9_PKT4_PKT5_S7_PT6_21rocsparse_index_base_b.kd
    .uniform_work_group_size: 1
    .uses_dynamic_stack: false
    .vgpr_count:     128
    .vgpr_spill_count: 0
    .wavefront_size: 64
  - .agpr_count:     0
    .args:
      - .offset:         0
        .size:           4
        .value_kind:     by_value
      - .offset:         4
        .size:           4
        .value_kind:     by_value
      - .offset:         8
        .size:           8
        .value_kind:     by_value
      - .offset:         16
        .size:           4
        .value_kind:     by_value
      - .actual_access:  read_only
        .address_space:  global
        .offset:         24
        .size:           8
        .value_kind:     global_buffer
      - .actual_access:  read_only
        .address_space:  global
        .offset:         32
        .size:           8
        .value_kind:     global_buffer
      - .actual_access:  read_only
        .address_space:  global
        .offset:         40
        .size:           8
        .value_kind:     global_buffer
      - .actual_access:  read_only
        .address_space:  global
        .offset:         48
        .size:           8
        .value_kind:     global_buffer
      - .actual_access:  read_only
        .address_space:  global
        .offset:         56
        .size:           8
        .value_kind:     global_buffer
      - .actual_access:  read_only
        .address_space:  global
        .offset:         64
        .size:           8
        .value_kind:     global_buffer
      - .offset:         72
        .size:           8
        .value_kind:     by_value
      - .address_space:  global
        .offset:         80
        .size:           8
        .value_kind:     global_buffer
      - .offset:         88
        .size:           4
        .value_kind:     by_value
      - .offset:         92
        .size:           1
        .value_kind:     by_value
    .group_segment_fixed_size: 0
    .kernarg_segment_align: 8
    .kernarg_segment_size: 96
    .language:       OpenCL C
    .language_version:
      - 2
      - 0
    .max_flat_workgroup_size: 128
    .name:           _ZN9rocsparseL18bsrxmvn_4x4_kernelILj128ELj8E21rocsparse_complex_numIfElifS2_S2_EEvT3_20rocsparse_direction_NS_24const_host_device_scalarIT1_EES3_PKS3_PKT2_SC_S9_PKT4_PKT5_S7_PT6_21rocsparse_index_base_b
    .private_segment_fixed_size: 0
    .sgpr_count:     22
    .sgpr_spill_count: 0
    .symbol:         _ZN9rocsparseL18bsrxmvn_4x4_kernelILj128ELj8E21rocsparse_complex_numIfElifS2_S2_EEvT3_20rocsparse_direction_NS_24const_host_device_scalarIT1_EES3_PKS3_PKT2_SC_S9_PKT4_PKT5_S7_PT6_21rocsparse_index_base_b.kd
    .uniform_work_group_size: 1
    .uses_dynamic_stack: false
    .vgpr_count:     128
    .vgpr_spill_count: 0
    .wavefront_size: 64
  - .agpr_count:     0
    .args:
      - .offset:         0
        .size:           4
        .value_kind:     by_value
      - .offset:         4
        .size:           4
        .value_kind:     by_value
      - .offset:         8
        .size:           8
        .value_kind:     by_value
      - .offset:         16
        .size:           4
        .value_kind:     by_value
      - .actual_access:  read_only
        .address_space:  global
        .offset:         24
        .size:           8
        .value_kind:     global_buffer
      - .actual_access:  read_only
        .address_space:  global
        .offset:         32
        .size:           8
        .value_kind:     global_buffer
      - .actual_access:  read_only
        .address_space:  global
        .offset:         40
        .size:           8
        .value_kind:     global_buffer
      - .actual_access:  read_only
        .address_space:  global
        .offset:         48
        .size:           8
        .value_kind:     global_buffer
      - .actual_access:  read_only
        .address_space:  global
        .offset:         56
        .size:           8
        .value_kind:     global_buffer
      - .actual_access:  read_only
        .address_space:  global
        .offset:         64
        .size:           8
        .value_kind:     global_buffer
      - .offset:         72
        .size:           8
        .value_kind:     by_value
      - .address_space:  global
        .offset:         80
        .size:           8
        .value_kind:     global_buffer
      - .offset:         88
        .size:           4
        .value_kind:     by_value
      - .offset:         92
        .size:           1
        .value_kind:     by_value
    .group_segment_fixed_size: 0
    .kernarg_segment_align: 8
    .kernarg_segment_size: 96
    .language:       OpenCL C
    .language_version:
      - 2
      - 0
    .max_flat_workgroup_size: 128
    .name:           _ZN9rocsparseL18bsrxmvn_4x4_kernelILj128ELj16E21rocsparse_complex_numIfElifS2_S2_EEvT3_20rocsparse_direction_NS_24const_host_device_scalarIT1_EES3_PKS3_PKT2_SC_S9_PKT4_PKT5_S7_PT6_21rocsparse_index_base_b
    .private_segment_fixed_size: 0
    .sgpr_count:     22
    .sgpr_spill_count: 0
    .symbol:         _ZN9rocsparseL18bsrxmvn_4x4_kernelILj128ELj16E21rocsparse_complex_numIfElifS2_S2_EEvT3_20rocsparse_direction_NS_24const_host_device_scalarIT1_EES3_PKS3_PKT2_SC_S9_PKT4_PKT5_S7_PT6_21rocsparse_index_base_b.kd
    .uniform_work_group_size: 1
    .uses_dynamic_stack: false
    .vgpr_count:     128
    .vgpr_spill_count: 0
    .wavefront_size: 64
  - .agpr_count:     0
    .args:
      - .offset:         0
        .size:           4
        .value_kind:     by_value
      - .offset:         4
        .size:           4
        .value_kind:     by_value
      - .offset:         8
        .size:           8
        .value_kind:     by_value
      - .offset:         16
        .size:           4
        .value_kind:     by_value
      - .actual_access:  read_only
        .address_space:  global
        .offset:         24
        .size:           8
        .value_kind:     global_buffer
      - .actual_access:  read_only
        .address_space:  global
        .offset:         32
        .size:           8
        .value_kind:     global_buffer
      - .actual_access:  read_only
        .address_space:  global
        .offset:         40
        .size:           8
        .value_kind:     global_buffer
      - .actual_access:  read_only
        .address_space:  global
        .offset:         48
        .size:           8
        .value_kind:     global_buffer
      - .actual_access:  read_only
        .address_space:  global
        .offset:         56
        .size:           8
        .value_kind:     global_buffer
      - .actual_access:  read_only
        .address_space:  global
        .offset:         64
        .size:           8
        .value_kind:     global_buffer
      - .offset:         72
        .size:           8
        .value_kind:     by_value
      - .address_space:  global
        .offset:         80
        .size:           8
        .value_kind:     global_buffer
      - .offset:         88
        .size:           4
        .value_kind:     by_value
      - .offset:         92
        .size:           1
        .value_kind:     by_value
    .group_segment_fixed_size: 0
    .kernarg_segment_align: 8
    .kernarg_segment_size: 96
    .language:       OpenCL C
    .language_version:
      - 2
      - 0
    .max_flat_workgroup_size: 128
    .name:           _ZN9rocsparseL18bsrxmvn_4x4_kernelILj128ELj32E21rocsparse_complex_numIfElifS2_S2_EEvT3_20rocsparse_direction_NS_24const_host_device_scalarIT1_EES3_PKS3_PKT2_SC_S9_PKT4_PKT5_S7_PT6_21rocsparse_index_base_b
    .private_segment_fixed_size: 0
    .sgpr_count:     24
    .sgpr_spill_count: 0
    .symbol:         _ZN9rocsparseL18bsrxmvn_4x4_kernelILj128ELj32E21rocsparse_complex_numIfElifS2_S2_EEvT3_20rocsparse_direction_NS_24const_host_device_scalarIT1_EES3_PKS3_PKT2_SC_S9_PKT4_PKT5_S7_PT6_21rocsparse_index_base_b.kd
    .uniform_work_group_size: 1
    .uses_dynamic_stack: false
    .vgpr_count:     128
    .vgpr_spill_count: 0
    .wavefront_size: 64
  - .agpr_count:     0
    .args:
      - .offset:         0
        .size:           4
        .value_kind:     by_value
      - .offset:         4
        .size:           4
        .value_kind:     by_value
      - .offset:         8
        .size:           8
        .value_kind:     by_value
      - .offset:         16
        .size:           4
        .value_kind:     by_value
      - .actual_access:  read_only
        .address_space:  global
        .offset:         24
        .size:           8
        .value_kind:     global_buffer
      - .actual_access:  read_only
        .address_space:  global
        .offset:         32
        .size:           8
        .value_kind:     global_buffer
      - .actual_access:  read_only
        .address_space:  global
        .offset:         40
        .size:           8
        .value_kind:     global_buffer
      - .actual_access:  read_only
        .address_space:  global
        .offset:         48
        .size:           8
        .value_kind:     global_buffer
      - .actual_access:  read_only
        .address_space:  global
        .offset:         56
        .size:           8
        .value_kind:     global_buffer
      - .actual_access:  read_only
        .address_space:  global
        .offset:         64
        .size:           8
        .value_kind:     global_buffer
      - .offset:         72
        .size:           8
        .value_kind:     by_value
      - .address_space:  global
        .offset:         80
        .size:           8
        .value_kind:     global_buffer
      - .offset:         88
        .size:           4
        .value_kind:     by_value
      - .offset:         92
        .size:           1
        .value_kind:     by_value
    .group_segment_fixed_size: 0
    .kernarg_segment_align: 8
    .kernarg_segment_size: 96
    .language:       OpenCL C
    .language_version:
      - 2
      - 0
    .max_flat_workgroup_size: 128
    .name:           _ZN9rocsparseL18bsrxmvn_4x4_kernelILj128ELj64E21rocsparse_complex_numIfElifS2_S2_EEvT3_20rocsparse_direction_NS_24const_host_device_scalarIT1_EES3_PKS3_PKT2_SC_S9_PKT4_PKT5_S7_PT6_21rocsparse_index_base_b
    .private_segment_fixed_size: 0
    .sgpr_count:     26
    .sgpr_spill_count: 0
    .symbol:         _ZN9rocsparseL18bsrxmvn_4x4_kernelILj128ELj64E21rocsparse_complex_numIfElifS2_S2_EEvT3_20rocsparse_direction_NS_24const_host_device_scalarIT1_EES3_PKS3_PKT2_SC_S9_PKT4_PKT5_S7_PT6_21rocsparse_index_base_b.kd
    .uniform_work_group_size: 1
    .uses_dynamic_stack: false
    .vgpr_count:     128
    .vgpr_spill_count: 0
    .wavefront_size: 64
  - .agpr_count:     0
    .args:
      - .offset:         0
        .size:           8
        .value_kind:     by_value
      - .offset:         8
        .size:           4
        .value_kind:     by_value
      - .offset:         16
        .size:           8
        .value_kind:     by_value
      - .offset:         24
        .size:           8
        .value_kind:     by_value
      - .actual_access:  read_only
        .address_space:  global
        .offset:         32
        .size:           8
        .value_kind:     global_buffer
      - .actual_access:  read_only
        .address_space:  global
        .offset:         40
        .size:           8
        .value_kind:     global_buffer
      - .actual_access:  read_only
        .address_space:  global
        .offset:         48
        .size:           8
        .value_kind:     global_buffer
      - .actual_access:  read_only
        .address_space:  global
        .offset:         56
        .size:           8
        .value_kind:     global_buffer
      - .actual_access:  read_only
        .address_space:  global
        .offset:         64
        .size:           8
        .value_kind:     global_buffer
      - .actual_access:  read_only
        .address_space:  global
        .offset:         72
        .size:           8
        .value_kind:     global_buffer
      - .offset:         80
        .size:           8
        .value_kind:     by_value
      - .address_space:  global
        .offset:         88
        .size:           8
        .value_kind:     global_buffer
      - .offset:         96
        .size:           4
        .value_kind:     by_value
      - .offset:         100
        .size:           1
        .value_kind:     by_value
    .group_segment_fixed_size: 0
    .kernarg_segment_align: 8
    .kernarg_segment_size: 104
    .language:       OpenCL C
    .language_version:
      - 2
      - 0
    .max_flat_workgroup_size: 128
    .name:           _ZN9rocsparseL18bsrxmvn_4x4_kernelILj128ELj4E21rocsparse_complex_numIfEllfS2_S2_EEvT3_20rocsparse_direction_NS_24const_host_device_scalarIT1_EES3_PKS3_PKT2_SC_S9_PKT4_PKT5_S7_PT6_21rocsparse_index_base_b
    .private_segment_fixed_size: 0
    .sgpr_count:     24
    .sgpr_spill_count: 0
    .symbol:         _ZN9rocsparseL18bsrxmvn_4x4_kernelILj128ELj4E21rocsparse_complex_numIfEllfS2_S2_EEvT3_20rocsparse_direction_NS_24const_host_device_scalarIT1_EES3_PKS3_PKT2_SC_S9_PKT4_PKT5_S7_PT6_21rocsparse_index_base_b.kd
    .uniform_work_group_size: 1
    .uses_dynamic_stack: false
    .vgpr_count:     88
    .vgpr_spill_count: 0
    .wavefront_size: 64
  - .agpr_count:     0
    .args:
      - .offset:         0
        .size:           8
        .value_kind:     by_value
      - .offset:         8
        .size:           4
        .value_kind:     by_value
      - .offset:         16
        .size:           8
        .value_kind:     by_value
      - .offset:         24
        .size:           8
        .value_kind:     by_value
      - .actual_access:  read_only
        .address_space:  global
        .offset:         32
        .size:           8
        .value_kind:     global_buffer
      - .actual_access:  read_only
        .address_space:  global
        .offset:         40
        .size:           8
        .value_kind:     global_buffer
      - .actual_access:  read_only
        .address_space:  global
        .offset:         48
        .size:           8
        .value_kind:     global_buffer
      - .actual_access:  read_only
        .address_space:  global
        .offset:         56
        .size:           8
        .value_kind:     global_buffer
      - .actual_access:  read_only
        .address_space:  global
        .offset:         64
        .size:           8
        .value_kind:     global_buffer
      - .actual_access:  read_only
        .address_space:  global
        .offset:         72
        .size:           8
        .value_kind:     global_buffer
      - .offset:         80
        .size:           8
        .value_kind:     by_value
      - .address_space:  global
        .offset:         88
        .size:           8
        .value_kind:     global_buffer
      - .offset:         96
        .size:           4
        .value_kind:     by_value
      - .offset:         100
        .size:           1
        .value_kind:     by_value
    .group_segment_fixed_size: 0
    .kernarg_segment_align: 8
    .kernarg_segment_size: 104
    .language:       OpenCL C
    .language_version:
      - 2
      - 0
    .max_flat_workgroup_size: 128
    .name:           _ZN9rocsparseL18bsrxmvn_4x4_kernelILj128ELj8E21rocsparse_complex_numIfEllfS2_S2_EEvT3_20rocsparse_direction_NS_24const_host_device_scalarIT1_EES3_PKS3_PKT2_SC_S9_PKT4_PKT5_S7_PT6_21rocsparse_index_base_b
    .private_segment_fixed_size: 0
    .sgpr_count:     24
    .sgpr_spill_count: 0
    .symbol:         _ZN9rocsparseL18bsrxmvn_4x4_kernelILj128ELj8E21rocsparse_complex_numIfEllfS2_S2_EEvT3_20rocsparse_direction_NS_24const_host_device_scalarIT1_EES3_PKS3_PKT2_SC_S9_PKT4_PKT5_S7_PT6_21rocsparse_index_base_b.kd
    .uniform_work_group_size: 1
    .uses_dynamic_stack: false
    .vgpr_count:     88
    .vgpr_spill_count: 0
    .wavefront_size: 64
  - .agpr_count:     0
    .args:
      - .offset:         0
        .size:           8
        .value_kind:     by_value
      - .offset:         8
        .size:           4
        .value_kind:     by_value
      - .offset:         16
        .size:           8
        .value_kind:     by_value
      - .offset:         24
        .size:           8
        .value_kind:     by_value
      - .actual_access:  read_only
        .address_space:  global
        .offset:         32
        .size:           8
        .value_kind:     global_buffer
      - .actual_access:  read_only
        .address_space:  global
        .offset:         40
        .size:           8
        .value_kind:     global_buffer
      - .actual_access:  read_only
        .address_space:  global
        .offset:         48
        .size:           8
        .value_kind:     global_buffer
      - .actual_access:  read_only
        .address_space:  global
        .offset:         56
        .size:           8
        .value_kind:     global_buffer
      - .actual_access:  read_only
        .address_space:  global
        .offset:         64
        .size:           8
        .value_kind:     global_buffer
      - .actual_access:  read_only
        .address_space:  global
        .offset:         72
        .size:           8
        .value_kind:     global_buffer
      - .offset:         80
        .size:           8
        .value_kind:     by_value
      - .address_space:  global
        .offset:         88
        .size:           8
        .value_kind:     global_buffer
      - .offset:         96
        .size:           4
        .value_kind:     by_value
      - .offset:         100
        .size:           1
        .value_kind:     by_value
    .group_segment_fixed_size: 0
    .kernarg_segment_align: 8
    .kernarg_segment_size: 104
    .language:       OpenCL C
    .language_version:
      - 2
      - 0
    .max_flat_workgroup_size: 128
    .name:           _ZN9rocsparseL18bsrxmvn_4x4_kernelILj128ELj16E21rocsparse_complex_numIfEllfS2_S2_EEvT3_20rocsparse_direction_NS_24const_host_device_scalarIT1_EES3_PKS3_PKT2_SC_S9_PKT4_PKT5_S7_PT6_21rocsparse_index_base_b
    .private_segment_fixed_size: 0
    .sgpr_count:     24
    .sgpr_spill_count: 0
    .symbol:         _ZN9rocsparseL18bsrxmvn_4x4_kernelILj128ELj16E21rocsparse_complex_numIfEllfS2_S2_EEvT3_20rocsparse_direction_NS_24const_host_device_scalarIT1_EES3_PKS3_PKT2_SC_S9_PKT4_PKT5_S7_PT6_21rocsparse_index_base_b.kd
    .uniform_work_group_size: 1
    .uses_dynamic_stack: false
    .vgpr_count:     90
    .vgpr_spill_count: 0
    .wavefront_size: 64
  - .agpr_count:     0
    .args:
      - .offset:         0
        .size:           8
        .value_kind:     by_value
      - .offset:         8
        .size:           4
        .value_kind:     by_value
      - .offset:         16
        .size:           8
        .value_kind:     by_value
      - .offset:         24
        .size:           8
        .value_kind:     by_value
      - .actual_access:  read_only
        .address_space:  global
        .offset:         32
        .size:           8
        .value_kind:     global_buffer
      - .actual_access:  read_only
        .address_space:  global
        .offset:         40
        .size:           8
        .value_kind:     global_buffer
      - .actual_access:  read_only
        .address_space:  global
        .offset:         48
        .size:           8
        .value_kind:     global_buffer
      - .actual_access:  read_only
        .address_space:  global
        .offset:         56
        .size:           8
        .value_kind:     global_buffer
      - .actual_access:  read_only
        .address_space:  global
        .offset:         64
        .size:           8
        .value_kind:     global_buffer
      - .actual_access:  read_only
        .address_space:  global
        .offset:         72
        .size:           8
        .value_kind:     global_buffer
      - .offset:         80
        .size:           8
        .value_kind:     by_value
      - .address_space:  global
        .offset:         88
        .size:           8
        .value_kind:     global_buffer
      - .offset:         96
        .size:           4
        .value_kind:     by_value
      - .offset:         100
        .size:           1
        .value_kind:     by_value
    .group_segment_fixed_size: 0
    .kernarg_segment_align: 8
    .kernarg_segment_size: 104
    .language:       OpenCL C
    .language_version:
      - 2
      - 0
    .max_flat_workgroup_size: 128
    .name:           _ZN9rocsparseL18bsrxmvn_4x4_kernelILj128ELj32E21rocsparse_complex_numIfEllfS2_S2_EEvT3_20rocsparse_direction_NS_24const_host_device_scalarIT1_EES3_PKS3_PKT2_SC_S9_PKT4_PKT5_S7_PT6_21rocsparse_index_base_b
    .private_segment_fixed_size: 0
    .sgpr_count:     24
    .sgpr_spill_count: 0
    .symbol:         _ZN9rocsparseL18bsrxmvn_4x4_kernelILj128ELj32E21rocsparse_complex_numIfEllfS2_S2_EEvT3_20rocsparse_direction_NS_24const_host_device_scalarIT1_EES3_PKS3_PKT2_SC_S9_PKT4_PKT5_S7_PT6_21rocsparse_index_base_b.kd
    .uniform_work_group_size: 1
    .uses_dynamic_stack: false
    .vgpr_count:     88
    .vgpr_spill_count: 0
    .wavefront_size: 64
  - .agpr_count:     0
    .args:
      - .offset:         0
        .size:           8
        .value_kind:     by_value
      - .offset:         8
        .size:           4
        .value_kind:     by_value
      - .offset:         16
        .size:           8
        .value_kind:     by_value
      - .offset:         24
        .size:           8
        .value_kind:     by_value
      - .actual_access:  read_only
        .address_space:  global
        .offset:         32
        .size:           8
        .value_kind:     global_buffer
      - .actual_access:  read_only
        .address_space:  global
        .offset:         40
        .size:           8
        .value_kind:     global_buffer
      - .actual_access:  read_only
        .address_space:  global
        .offset:         48
        .size:           8
        .value_kind:     global_buffer
      - .actual_access:  read_only
        .address_space:  global
        .offset:         56
        .size:           8
        .value_kind:     global_buffer
      - .actual_access:  read_only
        .address_space:  global
        .offset:         64
        .size:           8
        .value_kind:     global_buffer
      - .actual_access:  read_only
        .address_space:  global
        .offset:         72
        .size:           8
        .value_kind:     global_buffer
      - .offset:         80
        .size:           8
        .value_kind:     by_value
      - .address_space:  global
        .offset:         88
        .size:           8
        .value_kind:     global_buffer
      - .offset:         96
        .size:           4
        .value_kind:     by_value
      - .offset:         100
        .size:           1
        .value_kind:     by_value
    .group_segment_fixed_size: 0
    .kernarg_segment_align: 8
    .kernarg_segment_size: 104
    .language:       OpenCL C
    .language_version:
      - 2
      - 0
    .max_flat_workgroup_size: 128
    .name:           _ZN9rocsparseL18bsrxmvn_4x4_kernelILj128ELj64E21rocsparse_complex_numIfEllfS2_S2_EEvT3_20rocsparse_direction_NS_24const_host_device_scalarIT1_EES3_PKS3_PKT2_SC_S9_PKT4_PKT5_S7_PT6_21rocsparse_index_base_b
    .private_segment_fixed_size: 0
    .sgpr_count:     26
    .sgpr_spill_count: 0
    .symbol:         _ZN9rocsparseL18bsrxmvn_4x4_kernelILj128ELj64E21rocsparse_complex_numIfEllfS2_S2_EEvT3_20rocsparse_direction_NS_24const_host_device_scalarIT1_EES3_PKS3_PKT2_SC_S9_PKT4_PKT5_S7_PT6_21rocsparse_index_base_b.kd
    .uniform_work_group_size: 1
    .uses_dynamic_stack: false
    .vgpr_count:     90
    .vgpr_spill_count: 0
    .wavefront_size: 64
  - .agpr_count:     0
    .args:
      - .offset:         0
        .size:           4
        .value_kind:     by_value
      - .offset:         4
        .size:           4
        .value_kind:     by_value
      - .offset:         8
        .size:           16
        .value_kind:     by_value
      - .offset:         24
        .size:           4
        .value_kind:     by_value
      - .actual_access:  read_only
        .address_space:  global
        .offset:         32
        .size:           8
        .value_kind:     global_buffer
      - .actual_access:  read_only
        .address_space:  global
        .offset:         40
        .size:           8
        .value_kind:     global_buffer
      - .actual_access:  read_only
        .address_space:  global
        .offset:         48
        .size:           8
        .value_kind:     global_buffer
      - .actual_access:  read_only
        .address_space:  global
        .offset:         56
        .size:           8
        .value_kind:     global_buffer
      - .actual_access:  read_only
        .address_space:  global
        .offset:         64
        .size:           8
        .value_kind:     global_buffer
      - .actual_access:  read_only
        .address_space:  global
        .offset:         72
        .size:           8
        .value_kind:     global_buffer
      - .offset:         80
        .size:           16
        .value_kind:     by_value
      - .address_space:  global
        .offset:         96
        .size:           8
        .value_kind:     global_buffer
      - .offset:         104
        .size:           4
        .value_kind:     by_value
      - .offset:         108
        .size:           1
        .value_kind:     by_value
    .group_segment_fixed_size: 2048
    .kernarg_segment_align: 8
    .kernarg_segment_size: 112
    .language:       OpenCL C
    .language_version:
      - 2
      - 0
    .max_flat_workgroup_size: 128
    .name:           _ZN9rocsparseL18bsrxmvn_4x4_kernelILj128ELj4E21rocsparse_complex_numIdEiidS2_S2_EEvT3_20rocsparse_direction_NS_24const_host_device_scalarIT1_EES3_PKS3_PKT2_SC_S9_PKT4_PKT5_S7_PT6_21rocsparse_index_base_b
    .private_segment_fixed_size: 0
    .sgpr_count:     26
    .sgpr_spill_count: 0
    .symbol:         _ZN9rocsparseL18bsrxmvn_4x4_kernelILj128ELj4E21rocsparse_complex_numIdEiidS2_S2_EEvT3_20rocsparse_direction_NS_24const_host_device_scalarIT1_EES3_PKS3_PKT2_SC_S9_PKT4_PKT5_S7_PT6_21rocsparse_index_base_b.kd
    .uniform_work_group_size: 1
    .uses_dynamic_stack: false
    .vgpr_count:     110
    .vgpr_spill_count: 0
    .wavefront_size: 64
  - .agpr_count:     0
    .args:
      - .offset:         0
        .size:           4
        .value_kind:     by_value
      - .offset:         4
        .size:           4
        .value_kind:     by_value
      - .offset:         8
        .size:           16
        .value_kind:     by_value
      - .offset:         24
        .size:           4
        .value_kind:     by_value
      - .actual_access:  read_only
        .address_space:  global
        .offset:         32
        .size:           8
        .value_kind:     global_buffer
      - .actual_access:  read_only
        .address_space:  global
        .offset:         40
        .size:           8
        .value_kind:     global_buffer
      - .actual_access:  read_only
        .address_space:  global
        .offset:         48
        .size:           8
        .value_kind:     global_buffer
      - .actual_access:  read_only
        .address_space:  global
        .offset:         56
        .size:           8
        .value_kind:     global_buffer
      - .actual_access:  read_only
        .address_space:  global
        .offset:         64
        .size:           8
        .value_kind:     global_buffer
      - .actual_access:  read_only
        .address_space:  global
        .offset:         72
        .size:           8
        .value_kind:     global_buffer
      - .offset:         80
        .size:           16
        .value_kind:     by_value
      - .address_space:  global
        .offset:         96
        .size:           8
        .value_kind:     global_buffer
      - .offset:         104
        .size:           4
        .value_kind:     by_value
      - .offset:         108
        .size:           1
        .value_kind:     by_value
    .group_segment_fixed_size: 2048
    .kernarg_segment_align: 8
    .kernarg_segment_size: 112
    .language:       OpenCL C
    .language_version:
      - 2
      - 0
    .max_flat_workgroup_size: 128
    .name:           _ZN9rocsparseL18bsrxmvn_4x4_kernelILj128ELj8E21rocsparse_complex_numIdEiidS2_S2_EEvT3_20rocsparse_direction_NS_24const_host_device_scalarIT1_EES3_PKS3_PKT2_SC_S9_PKT4_PKT5_S7_PT6_21rocsparse_index_base_b
    .private_segment_fixed_size: 0
    .sgpr_count:     26
    .sgpr_spill_count: 0
    .symbol:         _ZN9rocsparseL18bsrxmvn_4x4_kernelILj128ELj8E21rocsparse_complex_numIdEiidS2_S2_EEvT3_20rocsparse_direction_NS_24const_host_device_scalarIT1_EES3_PKS3_PKT2_SC_S9_PKT4_PKT5_S7_PT6_21rocsparse_index_base_b.kd
    .uniform_work_group_size: 1
    .uses_dynamic_stack: false
    .vgpr_count:     110
    .vgpr_spill_count: 0
    .wavefront_size: 64
  - .agpr_count:     0
    .args:
      - .offset:         0
        .size:           4
        .value_kind:     by_value
      - .offset:         4
        .size:           4
        .value_kind:     by_value
      - .offset:         8
        .size:           16
        .value_kind:     by_value
      - .offset:         24
        .size:           4
        .value_kind:     by_value
      - .actual_access:  read_only
        .address_space:  global
        .offset:         32
        .size:           8
        .value_kind:     global_buffer
      - .actual_access:  read_only
        .address_space:  global
        .offset:         40
        .size:           8
        .value_kind:     global_buffer
      - .actual_access:  read_only
        .address_space:  global
        .offset:         48
        .size:           8
        .value_kind:     global_buffer
      - .actual_access:  read_only
        .address_space:  global
        .offset:         56
        .size:           8
        .value_kind:     global_buffer
      - .actual_access:  read_only
        .address_space:  global
        .offset:         64
        .size:           8
        .value_kind:     global_buffer
      - .actual_access:  read_only
        .address_space:  global
        .offset:         72
        .size:           8
        .value_kind:     global_buffer
      - .offset:         80
        .size:           16
        .value_kind:     by_value
      - .address_space:  global
        .offset:         96
        .size:           8
        .value_kind:     global_buffer
      - .offset:         104
        .size:           4
        .value_kind:     by_value
      - .offset:         108
        .size:           1
        .value_kind:     by_value
    .group_segment_fixed_size: 2048
    .kernarg_segment_align: 8
    .kernarg_segment_size: 112
    .language:       OpenCL C
    .language_version:
      - 2
      - 0
    .max_flat_workgroup_size: 128
    .name:           _ZN9rocsparseL18bsrxmvn_4x4_kernelILj128ELj16E21rocsparse_complex_numIdEiidS2_S2_EEvT3_20rocsparse_direction_NS_24const_host_device_scalarIT1_EES3_PKS3_PKT2_SC_S9_PKT4_PKT5_S7_PT6_21rocsparse_index_base_b
    .private_segment_fixed_size: 0
    .sgpr_count:     26
    .sgpr_spill_count: 0
    .symbol:         _ZN9rocsparseL18bsrxmvn_4x4_kernelILj128ELj16E21rocsparse_complex_numIdEiidS2_S2_EEvT3_20rocsparse_direction_NS_24const_host_device_scalarIT1_EES3_PKS3_PKT2_SC_S9_PKT4_PKT5_S7_PT6_21rocsparse_index_base_b.kd
    .uniform_work_group_size: 1
    .uses_dynamic_stack: false
    .vgpr_count:     112
    .vgpr_spill_count: 0
    .wavefront_size: 64
  - .agpr_count:     0
    .args:
      - .offset:         0
        .size:           4
        .value_kind:     by_value
      - .offset:         4
        .size:           4
        .value_kind:     by_value
      - .offset:         8
        .size:           16
        .value_kind:     by_value
      - .offset:         24
        .size:           4
        .value_kind:     by_value
      - .actual_access:  read_only
        .address_space:  global
        .offset:         32
        .size:           8
        .value_kind:     global_buffer
      - .actual_access:  read_only
        .address_space:  global
        .offset:         40
        .size:           8
        .value_kind:     global_buffer
      - .actual_access:  read_only
        .address_space:  global
        .offset:         48
        .size:           8
        .value_kind:     global_buffer
      - .actual_access:  read_only
        .address_space:  global
        .offset:         56
        .size:           8
        .value_kind:     global_buffer
      - .actual_access:  read_only
        .address_space:  global
        .offset:         64
        .size:           8
        .value_kind:     global_buffer
      - .actual_access:  read_only
        .address_space:  global
        .offset:         72
        .size:           8
        .value_kind:     global_buffer
      - .offset:         80
        .size:           16
        .value_kind:     by_value
      - .address_space:  global
        .offset:         96
        .size:           8
        .value_kind:     global_buffer
      - .offset:         104
        .size:           4
        .value_kind:     by_value
      - .offset:         108
        .size:           1
        .value_kind:     by_value
    .group_segment_fixed_size: 2048
    .kernarg_segment_align: 8
    .kernarg_segment_size: 112
    .language:       OpenCL C
    .language_version:
      - 2
      - 0
    .max_flat_workgroup_size: 128
    .name:           _ZN9rocsparseL18bsrxmvn_4x4_kernelILj128ELj32E21rocsparse_complex_numIdEiidS2_S2_EEvT3_20rocsparse_direction_NS_24const_host_device_scalarIT1_EES3_PKS3_PKT2_SC_S9_PKT4_PKT5_S7_PT6_21rocsparse_index_base_b
    .private_segment_fixed_size: 0
    .sgpr_count:     28
    .sgpr_spill_count: 0
    .symbol:         _ZN9rocsparseL18bsrxmvn_4x4_kernelILj128ELj32E21rocsparse_complex_numIdEiidS2_S2_EEvT3_20rocsparse_direction_NS_24const_host_device_scalarIT1_EES3_PKS3_PKT2_SC_S9_PKT4_PKT5_S7_PT6_21rocsparse_index_base_b.kd
    .uniform_work_group_size: 1
    .uses_dynamic_stack: false
    .vgpr_count:     118
    .vgpr_spill_count: 0
    .wavefront_size: 64
  - .agpr_count:     0
    .args:
      - .offset:         0
        .size:           4
        .value_kind:     by_value
      - .offset:         4
        .size:           4
        .value_kind:     by_value
      - .offset:         8
        .size:           16
        .value_kind:     by_value
      - .offset:         24
        .size:           4
        .value_kind:     by_value
      - .actual_access:  read_only
        .address_space:  global
        .offset:         32
        .size:           8
        .value_kind:     global_buffer
      - .actual_access:  read_only
        .address_space:  global
        .offset:         40
        .size:           8
        .value_kind:     global_buffer
      - .actual_access:  read_only
        .address_space:  global
        .offset:         48
        .size:           8
        .value_kind:     global_buffer
      - .actual_access:  read_only
        .address_space:  global
        .offset:         56
        .size:           8
        .value_kind:     global_buffer
      - .actual_access:  read_only
        .address_space:  global
        .offset:         64
        .size:           8
        .value_kind:     global_buffer
      - .actual_access:  read_only
        .address_space:  global
        .offset:         72
        .size:           8
        .value_kind:     global_buffer
      - .offset:         80
        .size:           16
        .value_kind:     by_value
      - .address_space:  global
        .offset:         96
        .size:           8
        .value_kind:     global_buffer
      - .offset:         104
        .size:           4
        .value_kind:     by_value
      - .offset:         108
        .size:           1
        .value_kind:     by_value
    .group_segment_fixed_size: 2048
    .kernarg_segment_align: 8
    .kernarg_segment_size: 112
    .language:       OpenCL C
    .language_version:
      - 2
      - 0
    .max_flat_workgroup_size: 128
    .name:           _ZN9rocsparseL18bsrxmvn_4x4_kernelILj128ELj64E21rocsparse_complex_numIdEiidS2_S2_EEvT3_20rocsparse_direction_NS_24const_host_device_scalarIT1_EES3_PKS3_PKT2_SC_S9_PKT4_PKT5_S7_PT6_21rocsparse_index_base_b
    .private_segment_fixed_size: 0
    .sgpr_count:     28
    .sgpr_spill_count: 0
    .symbol:         _ZN9rocsparseL18bsrxmvn_4x4_kernelILj128ELj64E21rocsparse_complex_numIdEiidS2_S2_EEvT3_20rocsparse_direction_NS_24const_host_device_scalarIT1_EES3_PKS3_PKT2_SC_S9_PKT4_PKT5_S7_PT6_21rocsparse_index_base_b.kd
    .uniform_work_group_size: 1
    .uses_dynamic_stack: false
    .vgpr_count:     114
    .vgpr_spill_count: 0
    .wavefront_size: 64
  - .agpr_count:     0
    .args:
      - .offset:         0
        .size:           4
        .value_kind:     by_value
      - .offset:         4
        .size:           4
        .value_kind:     by_value
      - .offset:         8
        .size:           16
        .value_kind:     by_value
      - .offset:         24
        .size:           4
        .value_kind:     by_value
      - .actual_access:  read_only
        .address_space:  global
        .offset:         32
        .size:           8
        .value_kind:     global_buffer
      - .actual_access:  read_only
        .address_space:  global
        .offset:         40
        .size:           8
        .value_kind:     global_buffer
      - .actual_access:  read_only
        .address_space:  global
        .offset:         48
        .size:           8
        .value_kind:     global_buffer
      - .actual_access:  read_only
        .address_space:  global
        .offset:         56
        .size:           8
        .value_kind:     global_buffer
      - .actual_access:  read_only
        .address_space:  global
        .offset:         64
        .size:           8
        .value_kind:     global_buffer
      - .actual_access:  read_only
        .address_space:  global
        .offset:         72
        .size:           8
        .value_kind:     global_buffer
      - .offset:         80
        .size:           16
        .value_kind:     by_value
      - .address_space:  global
        .offset:         96
        .size:           8
        .value_kind:     global_buffer
      - .offset:         104
        .size:           4
        .value_kind:     by_value
      - .offset:         108
        .size:           1
        .value_kind:     by_value
    .group_segment_fixed_size: 2048
    .kernarg_segment_align: 8
    .kernarg_segment_size: 112
    .language:       OpenCL C
    .language_version:
      - 2
      - 0
    .max_flat_workgroup_size: 128
    .name:           _ZN9rocsparseL18bsrxmvn_4x4_kernelILj128ELj4E21rocsparse_complex_numIdElidS2_S2_EEvT3_20rocsparse_direction_NS_24const_host_device_scalarIT1_EES3_PKS3_PKT2_SC_S9_PKT4_PKT5_S7_PT6_21rocsparse_index_base_b
    .private_segment_fixed_size: 0
    .sgpr_count:     26
    .sgpr_spill_count: 0
    .symbol:         _ZN9rocsparseL18bsrxmvn_4x4_kernelILj128ELj4E21rocsparse_complex_numIdElidS2_S2_EEvT3_20rocsparse_direction_NS_24const_host_device_scalarIT1_EES3_PKS3_PKT2_SC_S9_PKT4_PKT5_S7_PT6_21rocsparse_index_base_b.kd
    .uniform_work_group_size: 1
    .uses_dynamic_stack: false
    .vgpr_count:     105
    .vgpr_spill_count: 0
    .wavefront_size: 64
  - .agpr_count:     0
    .args:
      - .offset:         0
        .size:           4
        .value_kind:     by_value
      - .offset:         4
        .size:           4
        .value_kind:     by_value
      - .offset:         8
        .size:           16
        .value_kind:     by_value
      - .offset:         24
        .size:           4
        .value_kind:     by_value
      - .actual_access:  read_only
        .address_space:  global
        .offset:         32
        .size:           8
        .value_kind:     global_buffer
      - .actual_access:  read_only
        .address_space:  global
        .offset:         40
        .size:           8
        .value_kind:     global_buffer
      - .actual_access:  read_only
        .address_space:  global
        .offset:         48
        .size:           8
        .value_kind:     global_buffer
      - .actual_access:  read_only
        .address_space:  global
        .offset:         56
        .size:           8
        .value_kind:     global_buffer
      - .actual_access:  read_only
        .address_space:  global
        .offset:         64
        .size:           8
        .value_kind:     global_buffer
      - .actual_access:  read_only
        .address_space:  global
        .offset:         72
        .size:           8
        .value_kind:     global_buffer
      - .offset:         80
        .size:           16
        .value_kind:     by_value
      - .address_space:  global
        .offset:         96
        .size:           8
        .value_kind:     global_buffer
      - .offset:         104
        .size:           4
        .value_kind:     by_value
      - .offset:         108
        .size:           1
        .value_kind:     by_value
    .group_segment_fixed_size: 2048
    .kernarg_segment_align: 8
    .kernarg_segment_size: 112
    .language:       OpenCL C
    .language_version:
      - 2
      - 0
    .max_flat_workgroup_size: 128
    .name:           _ZN9rocsparseL18bsrxmvn_4x4_kernelILj128ELj8E21rocsparse_complex_numIdElidS2_S2_EEvT3_20rocsparse_direction_NS_24const_host_device_scalarIT1_EES3_PKS3_PKT2_SC_S9_PKT4_PKT5_S7_PT6_21rocsparse_index_base_b
    .private_segment_fixed_size: 0
    .sgpr_count:     26
    .sgpr_spill_count: 0
    .symbol:         _ZN9rocsparseL18bsrxmvn_4x4_kernelILj128ELj8E21rocsparse_complex_numIdElidS2_S2_EEvT3_20rocsparse_direction_NS_24const_host_device_scalarIT1_EES3_PKS3_PKT2_SC_S9_PKT4_PKT5_S7_PT6_21rocsparse_index_base_b.kd
    .uniform_work_group_size: 1
    .uses_dynamic_stack: false
    .vgpr_count:     105
    .vgpr_spill_count: 0
    .wavefront_size: 64
  - .agpr_count:     0
    .args:
      - .offset:         0
        .size:           4
        .value_kind:     by_value
      - .offset:         4
        .size:           4
        .value_kind:     by_value
      - .offset:         8
        .size:           16
        .value_kind:     by_value
      - .offset:         24
        .size:           4
        .value_kind:     by_value
      - .actual_access:  read_only
        .address_space:  global
        .offset:         32
        .size:           8
        .value_kind:     global_buffer
      - .actual_access:  read_only
        .address_space:  global
        .offset:         40
        .size:           8
        .value_kind:     global_buffer
      - .actual_access:  read_only
        .address_space:  global
        .offset:         48
        .size:           8
        .value_kind:     global_buffer
      - .actual_access:  read_only
        .address_space:  global
        .offset:         56
        .size:           8
        .value_kind:     global_buffer
      - .actual_access:  read_only
        .address_space:  global
        .offset:         64
        .size:           8
        .value_kind:     global_buffer
      - .actual_access:  read_only
        .address_space:  global
        .offset:         72
        .size:           8
        .value_kind:     global_buffer
      - .offset:         80
        .size:           16
        .value_kind:     by_value
      - .address_space:  global
        .offset:         96
        .size:           8
        .value_kind:     global_buffer
      - .offset:         104
        .size:           4
        .value_kind:     by_value
      - .offset:         108
        .size:           1
        .value_kind:     by_value
    .group_segment_fixed_size: 2048
    .kernarg_segment_align: 8
    .kernarg_segment_size: 112
    .language:       OpenCL C
    .language_version:
      - 2
      - 0
    .max_flat_workgroup_size: 128
    .name:           _ZN9rocsparseL18bsrxmvn_4x4_kernelILj128ELj16E21rocsparse_complex_numIdElidS2_S2_EEvT3_20rocsparse_direction_NS_24const_host_device_scalarIT1_EES3_PKS3_PKT2_SC_S9_PKT4_PKT5_S7_PT6_21rocsparse_index_base_b
    .private_segment_fixed_size: 0
    .sgpr_count:     26
    .sgpr_spill_count: 0
    .symbol:         _ZN9rocsparseL18bsrxmvn_4x4_kernelILj128ELj16E21rocsparse_complex_numIdElidS2_S2_EEvT3_20rocsparse_direction_NS_24const_host_device_scalarIT1_EES3_PKS3_PKT2_SC_S9_PKT4_PKT5_S7_PT6_21rocsparse_index_base_b.kd
    .uniform_work_group_size: 1
    .uses_dynamic_stack: false
    .vgpr_count:     106
    .vgpr_spill_count: 0
    .wavefront_size: 64
  - .agpr_count:     0
    .args:
      - .offset:         0
        .size:           4
        .value_kind:     by_value
      - .offset:         4
        .size:           4
        .value_kind:     by_value
      - .offset:         8
        .size:           16
        .value_kind:     by_value
      - .offset:         24
        .size:           4
        .value_kind:     by_value
      - .actual_access:  read_only
        .address_space:  global
        .offset:         32
        .size:           8
        .value_kind:     global_buffer
      - .actual_access:  read_only
        .address_space:  global
        .offset:         40
        .size:           8
        .value_kind:     global_buffer
      - .actual_access:  read_only
        .address_space:  global
        .offset:         48
        .size:           8
        .value_kind:     global_buffer
      - .actual_access:  read_only
        .address_space:  global
        .offset:         56
        .size:           8
        .value_kind:     global_buffer
      - .actual_access:  read_only
        .address_space:  global
        .offset:         64
        .size:           8
        .value_kind:     global_buffer
      - .actual_access:  read_only
        .address_space:  global
        .offset:         72
        .size:           8
        .value_kind:     global_buffer
      - .offset:         80
        .size:           16
        .value_kind:     by_value
      - .address_space:  global
        .offset:         96
        .size:           8
        .value_kind:     global_buffer
      - .offset:         104
        .size:           4
        .value_kind:     by_value
      - .offset:         108
        .size:           1
        .value_kind:     by_value
    .group_segment_fixed_size: 2048
    .kernarg_segment_align: 8
    .kernarg_segment_size: 112
    .language:       OpenCL C
    .language_version:
      - 2
      - 0
    .max_flat_workgroup_size: 128
    .name:           _ZN9rocsparseL18bsrxmvn_4x4_kernelILj128ELj32E21rocsparse_complex_numIdElidS2_S2_EEvT3_20rocsparse_direction_NS_24const_host_device_scalarIT1_EES3_PKS3_PKT2_SC_S9_PKT4_PKT5_S7_PT6_21rocsparse_index_base_b
    .private_segment_fixed_size: 0
    .sgpr_count:     27
    .sgpr_spill_count: 0
    .symbol:         _ZN9rocsparseL18bsrxmvn_4x4_kernelILj128ELj32E21rocsparse_complex_numIdElidS2_S2_EEvT3_20rocsparse_direction_NS_24const_host_device_scalarIT1_EES3_PKS3_PKT2_SC_S9_PKT4_PKT5_S7_PT6_21rocsparse_index_base_b.kd
    .uniform_work_group_size: 1
    .uses_dynamic_stack: false
    .vgpr_count:     110
    .vgpr_spill_count: 0
    .wavefront_size: 64
  - .agpr_count:     0
    .args:
      - .offset:         0
        .size:           4
        .value_kind:     by_value
      - .offset:         4
        .size:           4
        .value_kind:     by_value
      - .offset:         8
        .size:           16
        .value_kind:     by_value
      - .offset:         24
        .size:           4
        .value_kind:     by_value
      - .actual_access:  read_only
        .address_space:  global
        .offset:         32
        .size:           8
        .value_kind:     global_buffer
      - .actual_access:  read_only
        .address_space:  global
        .offset:         40
        .size:           8
        .value_kind:     global_buffer
      - .actual_access:  read_only
        .address_space:  global
        .offset:         48
        .size:           8
        .value_kind:     global_buffer
      - .actual_access:  read_only
        .address_space:  global
        .offset:         56
        .size:           8
        .value_kind:     global_buffer
      - .actual_access:  read_only
        .address_space:  global
        .offset:         64
        .size:           8
        .value_kind:     global_buffer
      - .actual_access:  read_only
        .address_space:  global
        .offset:         72
        .size:           8
        .value_kind:     global_buffer
      - .offset:         80
        .size:           16
        .value_kind:     by_value
      - .address_space:  global
        .offset:         96
        .size:           8
        .value_kind:     global_buffer
      - .offset:         104
        .size:           4
        .value_kind:     by_value
      - .offset:         108
        .size:           1
        .value_kind:     by_value
    .group_segment_fixed_size: 2048
    .kernarg_segment_align: 8
    .kernarg_segment_size: 112
    .language:       OpenCL C
    .language_version:
      - 2
      - 0
    .max_flat_workgroup_size: 128
    .name:           _ZN9rocsparseL18bsrxmvn_4x4_kernelILj128ELj64E21rocsparse_complex_numIdElidS2_S2_EEvT3_20rocsparse_direction_NS_24const_host_device_scalarIT1_EES3_PKS3_PKT2_SC_S9_PKT4_PKT5_S7_PT6_21rocsparse_index_base_b
    .private_segment_fixed_size: 0
    .sgpr_count:     27
    .sgpr_spill_count: 0
    .symbol:         _ZN9rocsparseL18bsrxmvn_4x4_kernelILj128ELj64E21rocsparse_complex_numIdElidS2_S2_EEvT3_20rocsparse_direction_NS_24const_host_device_scalarIT1_EES3_PKS3_PKT2_SC_S9_PKT4_PKT5_S7_PT6_21rocsparse_index_base_b.kd
    .uniform_work_group_size: 1
    .uses_dynamic_stack: false
    .vgpr_count:     116
    .vgpr_spill_count: 0
    .wavefront_size: 64
  - .agpr_count:     0
    .args:
      - .offset:         0
        .size:           8
        .value_kind:     by_value
      - .offset:         8
        .size:           4
        .value_kind:     by_value
      - .offset:         16
        .size:           16
        .value_kind:     by_value
      - .offset:         32
        .size:           8
        .value_kind:     by_value
      - .actual_access:  read_only
        .address_space:  global
        .offset:         40
        .size:           8
        .value_kind:     global_buffer
      - .actual_access:  read_only
        .address_space:  global
        .offset:         48
        .size:           8
        .value_kind:     global_buffer
      - .actual_access:  read_only
        .address_space:  global
        .offset:         56
        .size:           8
        .value_kind:     global_buffer
      - .actual_access:  read_only
        .address_space:  global
        .offset:         64
        .size:           8
        .value_kind:     global_buffer
      - .actual_access:  read_only
        .address_space:  global
        .offset:         72
        .size:           8
        .value_kind:     global_buffer
      - .actual_access:  read_only
        .address_space:  global
        .offset:         80
        .size:           8
        .value_kind:     global_buffer
      - .offset:         88
        .size:           16
        .value_kind:     by_value
      - .address_space:  global
        .offset:         104
        .size:           8
        .value_kind:     global_buffer
      - .offset:         112
        .size:           4
        .value_kind:     by_value
      - .offset:         116
        .size:           1
        .value_kind:     by_value
    .group_segment_fixed_size: 2048
    .kernarg_segment_align: 8
    .kernarg_segment_size: 120
    .language:       OpenCL C
    .language_version:
      - 2
      - 0
    .max_flat_workgroup_size: 128
    .name:           _ZN9rocsparseL18bsrxmvn_4x4_kernelILj128ELj4E21rocsparse_complex_numIdElldS2_S2_EEvT3_20rocsparse_direction_NS_24const_host_device_scalarIT1_EES3_PKS3_PKT2_SC_S9_PKT4_PKT5_S7_PT6_21rocsparse_index_base_b
    .private_segment_fixed_size: 0
    .sgpr_count:     26
    .sgpr_spill_count: 0
    .symbol:         _ZN9rocsparseL18bsrxmvn_4x4_kernelILj128ELj4E21rocsparse_complex_numIdElldS2_S2_EEvT3_20rocsparse_direction_NS_24const_host_device_scalarIT1_EES3_PKS3_PKT2_SC_S9_PKT4_PKT5_S7_PT6_21rocsparse_index_base_b.kd
    .uniform_work_group_size: 1
    .uses_dynamic_stack: false
    .vgpr_count:     112
    .vgpr_spill_count: 0
    .wavefront_size: 64
  - .agpr_count:     0
    .args:
      - .offset:         0
        .size:           8
        .value_kind:     by_value
      - .offset:         8
        .size:           4
        .value_kind:     by_value
      - .offset:         16
        .size:           16
        .value_kind:     by_value
      - .offset:         32
        .size:           8
        .value_kind:     by_value
      - .actual_access:  read_only
        .address_space:  global
        .offset:         40
        .size:           8
        .value_kind:     global_buffer
      - .actual_access:  read_only
        .address_space:  global
        .offset:         48
        .size:           8
        .value_kind:     global_buffer
      - .actual_access:  read_only
        .address_space:  global
        .offset:         56
        .size:           8
        .value_kind:     global_buffer
      - .actual_access:  read_only
        .address_space:  global
        .offset:         64
        .size:           8
        .value_kind:     global_buffer
      - .actual_access:  read_only
        .address_space:  global
        .offset:         72
        .size:           8
        .value_kind:     global_buffer
      - .actual_access:  read_only
        .address_space:  global
        .offset:         80
        .size:           8
        .value_kind:     global_buffer
      - .offset:         88
        .size:           16
        .value_kind:     by_value
      - .address_space:  global
        .offset:         104
        .size:           8
        .value_kind:     global_buffer
      - .offset:         112
        .size:           4
        .value_kind:     by_value
      - .offset:         116
        .size:           1
        .value_kind:     by_value
    .group_segment_fixed_size: 2048
    .kernarg_segment_align: 8
    .kernarg_segment_size: 120
    .language:       OpenCL C
    .language_version:
      - 2
      - 0
    .max_flat_workgroup_size: 128
    .name:           _ZN9rocsparseL18bsrxmvn_4x4_kernelILj128ELj8E21rocsparse_complex_numIdElldS2_S2_EEvT3_20rocsparse_direction_NS_24const_host_device_scalarIT1_EES3_PKS3_PKT2_SC_S9_PKT4_PKT5_S7_PT6_21rocsparse_index_base_b
    .private_segment_fixed_size: 0
    .sgpr_count:     26
    .sgpr_spill_count: 0
    .symbol:         _ZN9rocsparseL18bsrxmvn_4x4_kernelILj128ELj8E21rocsparse_complex_numIdElldS2_S2_EEvT3_20rocsparse_direction_NS_24const_host_device_scalarIT1_EES3_PKS3_PKT2_SC_S9_PKT4_PKT5_S7_PT6_21rocsparse_index_base_b.kd
    .uniform_work_group_size: 1
    .uses_dynamic_stack: false
    .vgpr_count:     112
    .vgpr_spill_count: 0
    .wavefront_size: 64
  - .agpr_count:     0
    .args:
      - .offset:         0
        .size:           8
        .value_kind:     by_value
      - .offset:         8
        .size:           4
        .value_kind:     by_value
      - .offset:         16
        .size:           16
        .value_kind:     by_value
      - .offset:         32
        .size:           8
        .value_kind:     by_value
      - .actual_access:  read_only
        .address_space:  global
        .offset:         40
        .size:           8
        .value_kind:     global_buffer
      - .actual_access:  read_only
        .address_space:  global
        .offset:         48
        .size:           8
        .value_kind:     global_buffer
      - .actual_access:  read_only
        .address_space:  global
        .offset:         56
        .size:           8
        .value_kind:     global_buffer
      - .actual_access:  read_only
        .address_space:  global
        .offset:         64
        .size:           8
        .value_kind:     global_buffer
      - .actual_access:  read_only
        .address_space:  global
        .offset:         72
        .size:           8
        .value_kind:     global_buffer
      - .actual_access:  read_only
        .address_space:  global
        .offset:         80
        .size:           8
        .value_kind:     global_buffer
      - .offset:         88
        .size:           16
        .value_kind:     by_value
      - .address_space:  global
        .offset:         104
        .size:           8
        .value_kind:     global_buffer
      - .offset:         112
        .size:           4
        .value_kind:     by_value
      - .offset:         116
        .size:           1
        .value_kind:     by_value
    .group_segment_fixed_size: 2048
    .kernarg_segment_align: 8
    .kernarg_segment_size: 120
    .language:       OpenCL C
    .language_version:
      - 2
      - 0
    .max_flat_workgroup_size: 128
    .name:           _ZN9rocsparseL18bsrxmvn_4x4_kernelILj128ELj16E21rocsparse_complex_numIdElldS2_S2_EEvT3_20rocsparse_direction_NS_24const_host_device_scalarIT1_EES3_PKS3_PKT2_SC_S9_PKT4_PKT5_S7_PT6_21rocsparse_index_base_b
    .private_segment_fixed_size: 0
    .sgpr_count:     26
    .sgpr_spill_count: 0
    .symbol:         _ZN9rocsparseL18bsrxmvn_4x4_kernelILj128ELj16E21rocsparse_complex_numIdElldS2_S2_EEvT3_20rocsparse_direction_NS_24const_host_device_scalarIT1_EES3_PKS3_PKT2_SC_S9_PKT4_PKT5_S7_PT6_21rocsparse_index_base_b.kd
    .uniform_work_group_size: 1
    .uses_dynamic_stack: false
    .vgpr_count:     110
    .vgpr_spill_count: 0
    .wavefront_size: 64
  - .agpr_count:     0
    .args:
      - .offset:         0
        .size:           8
        .value_kind:     by_value
      - .offset:         8
        .size:           4
        .value_kind:     by_value
      - .offset:         16
        .size:           16
        .value_kind:     by_value
      - .offset:         32
        .size:           8
        .value_kind:     by_value
      - .actual_access:  read_only
        .address_space:  global
        .offset:         40
        .size:           8
        .value_kind:     global_buffer
      - .actual_access:  read_only
        .address_space:  global
        .offset:         48
        .size:           8
        .value_kind:     global_buffer
      - .actual_access:  read_only
        .address_space:  global
        .offset:         56
        .size:           8
        .value_kind:     global_buffer
      - .actual_access:  read_only
        .address_space:  global
        .offset:         64
        .size:           8
        .value_kind:     global_buffer
      - .actual_access:  read_only
        .address_space:  global
        .offset:         72
        .size:           8
        .value_kind:     global_buffer
      - .actual_access:  read_only
        .address_space:  global
        .offset:         80
        .size:           8
        .value_kind:     global_buffer
      - .offset:         88
        .size:           16
        .value_kind:     by_value
      - .address_space:  global
        .offset:         104
        .size:           8
        .value_kind:     global_buffer
      - .offset:         112
        .size:           4
        .value_kind:     by_value
      - .offset:         116
        .size:           1
        .value_kind:     by_value
    .group_segment_fixed_size: 2048
    .kernarg_segment_align: 8
    .kernarg_segment_size: 120
    .language:       OpenCL C
    .language_version:
      - 2
      - 0
    .max_flat_workgroup_size: 128
    .name:           _ZN9rocsparseL18bsrxmvn_4x4_kernelILj128ELj32E21rocsparse_complex_numIdElldS2_S2_EEvT3_20rocsparse_direction_NS_24const_host_device_scalarIT1_EES3_PKS3_PKT2_SC_S9_PKT4_PKT5_S7_PT6_21rocsparse_index_base_b
    .private_segment_fixed_size: 0
    .sgpr_count:     27
    .sgpr_spill_count: 0
    .symbol:         _ZN9rocsparseL18bsrxmvn_4x4_kernelILj128ELj32E21rocsparse_complex_numIdElldS2_S2_EEvT3_20rocsparse_direction_NS_24const_host_device_scalarIT1_EES3_PKS3_PKT2_SC_S9_PKT4_PKT5_S7_PT6_21rocsparse_index_base_b.kd
    .uniform_work_group_size: 1
    .uses_dynamic_stack: false
    .vgpr_count:     106
    .vgpr_spill_count: 0
    .wavefront_size: 64
  - .agpr_count:     0
    .args:
      - .offset:         0
        .size:           8
        .value_kind:     by_value
      - .offset:         8
        .size:           4
        .value_kind:     by_value
      - .offset:         16
        .size:           16
        .value_kind:     by_value
      - .offset:         32
        .size:           8
        .value_kind:     by_value
      - .actual_access:  read_only
        .address_space:  global
        .offset:         40
        .size:           8
        .value_kind:     global_buffer
      - .actual_access:  read_only
        .address_space:  global
        .offset:         48
        .size:           8
        .value_kind:     global_buffer
      - .actual_access:  read_only
        .address_space:  global
        .offset:         56
        .size:           8
        .value_kind:     global_buffer
      - .actual_access:  read_only
        .address_space:  global
        .offset:         64
        .size:           8
        .value_kind:     global_buffer
      - .actual_access:  read_only
        .address_space:  global
        .offset:         72
        .size:           8
        .value_kind:     global_buffer
      - .actual_access:  read_only
        .address_space:  global
        .offset:         80
        .size:           8
        .value_kind:     global_buffer
      - .offset:         88
        .size:           16
        .value_kind:     by_value
      - .address_space:  global
        .offset:         104
        .size:           8
        .value_kind:     global_buffer
      - .offset:         112
        .size:           4
        .value_kind:     by_value
      - .offset:         116
        .size:           1
        .value_kind:     by_value
    .group_segment_fixed_size: 2048
    .kernarg_segment_align: 8
    .kernarg_segment_size: 120
    .language:       OpenCL C
    .language_version:
      - 2
      - 0
    .max_flat_workgroup_size: 128
    .name:           _ZN9rocsparseL18bsrxmvn_4x4_kernelILj128ELj64E21rocsparse_complex_numIdElldS2_S2_EEvT3_20rocsparse_direction_NS_24const_host_device_scalarIT1_EES3_PKS3_PKT2_SC_S9_PKT4_PKT5_S7_PT6_21rocsparse_index_base_b
    .private_segment_fixed_size: 0
    .sgpr_count:     27
    .sgpr_spill_count: 0
    .symbol:         _ZN9rocsparseL18bsrxmvn_4x4_kernelILj128ELj64E21rocsparse_complex_numIdElldS2_S2_EEvT3_20rocsparse_direction_NS_24const_host_device_scalarIT1_EES3_PKS3_PKT2_SC_S9_PKT4_PKT5_S7_PT6_21rocsparse_index_base_b.kd
    .uniform_work_group_size: 1
    .uses_dynamic_stack: false
    .vgpr_count:     108
    .vgpr_spill_count: 0
    .wavefront_size: 64
  - .agpr_count:     0
    .args:
      - .offset:         0
        .size:           4
        .value_kind:     by_value
      - .offset:         4
        .size:           4
        .value_kind:     by_value
      - .offset:         8
        .size:           8
        .value_kind:     by_value
      - .offset:         16
        .size:           4
        .value_kind:     by_value
      - .actual_access:  read_only
        .address_space:  global
        .offset:         24
        .size:           8
        .value_kind:     global_buffer
      - .actual_access:  read_only
        .address_space:  global
        .offset:         32
        .size:           8
        .value_kind:     global_buffer
      - .actual_access:  read_only
        .address_space:  global
        .offset:         40
        .size:           8
        .value_kind:     global_buffer
      - .actual_access:  read_only
        .address_space:  global
        .offset:         48
        .size:           8
        .value_kind:     global_buffer
      - .actual_access:  read_only
        .address_space:  global
        .offset:         56
        .size:           8
        .value_kind:     global_buffer
      - .actual_access:  read_only
        .address_space:  global
        .offset:         64
        .size:           8
        .value_kind:     global_buffer
      - .offset:         72
        .size:           8
        .value_kind:     by_value
      - .address_space:  global
        .offset:         80
        .size:           8
        .value_kind:     global_buffer
      - .offset:         88
        .size:           4
        .value_kind:     by_value
      - .offset:         92
        .size:           1
        .value_kind:     by_value
    .group_segment_fixed_size: 0
    .kernarg_segment_align: 8
    .kernarg_segment_size: 96
    .language:       OpenCL C
    .language_version:
      - 2
      - 0
    .max_flat_workgroup_size: 128
    .name:           _ZN9rocsparseL18bsrxmvn_4x4_kernelILj128ELj4EdiifddEEvT3_20rocsparse_direction_NS_24const_host_device_scalarIT1_EES1_PKS1_PKT2_SA_S7_PKT4_PKT5_S5_PT6_21rocsparse_index_base_b
    .private_segment_fixed_size: 0
    .sgpr_count:     22
    .sgpr_spill_count: 0
    .symbol:         _ZN9rocsparseL18bsrxmvn_4x4_kernelILj128ELj4EdiifddEEvT3_20rocsparse_direction_NS_24const_host_device_scalarIT1_EES1_PKS1_PKT2_SA_S7_PKT4_PKT5_S5_PT6_21rocsparse_index_base_b.kd
    .uniform_work_group_size: 1
    .uses_dynamic_stack: false
    .vgpr_count:     116
    .vgpr_spill_count: 0
    .wavefront_size: 64
  - .agpr_count:     0
    .args:
      - .offset:         0
        .size:           4
        .value_kind:     by_value
      - .offset:         4
        .size:           4
        .value_kind:     by_value
      - .offset:         8
        .size:           8
        .value_kind:     by_value
      - .offset:         16
        .size:           4
        .value_kind:     by_value
      - .actual_access:  read_only
        .address_space:  global
        .offset:         24
        .size:           8
        .value_kind:     global_buffer
      - .actual_access:  read_only
        .address_space:  global
        .offset:         32
        .size:           8
        .value_kind:     global_buffer
      - .actual_access:  read_only
        .address_space:  global
        .offset:         40
        .size:           8
        .value_kind:     global_buffer
      - .actual_access:  read_only
        .address_space:  global
        .offset:         48
        .size:           8
        .value_kind:     global_buffer
      - .actual_access:  read_only
        .address_space:  global
        .offset:         56
        .size:           8
        .value_kind:     global_buffer
      - .actual_access:  read_only
        .address_space:  global
        .offset:         64
        .size:           8
        .value_kind:     global_buffer
      - .offset:         72
        .size:           8
        .value_kind:     by_value
      - .address_space:  global
        .offset:         80
        .size:           8
        .value_kind:     global_buffer
      - .offset:         88
        .size:           4
        .value_kind:     by_value
      - .offset:         92
        .size:           1
        .value_kind:     by_value
    .group_segment_fixed_size: 0
    .kernarg_segment_align: 8
    .kernarg_segment_size: 96
    .language:       OpenCL C
    .language_version:
      - 2
      - 0
    .max_flat_workgroup_size: 128
    .name:           _ZN9rocsparseL18bsrxmvn_4x4_kernelILj128ELj8EdiifddEEvT3_20rocsparse_direction_NS_24const_host_device_scalarIT1_EES1_PKS1_PKT2_SA_S7_PKT4_PKT5_S5_PT6_21rocsparse_index_base_b
    .private_segment_fixed_size: 0
    .sgpr_count:     22
    .sgpr_spill_count: 0
    .symbol:         _ZN9rocsparseL18bsrxmvn_4x4_kernelILj128ELj8EdiifddEEvT3_20rocsparse_direction_NS_24const_host_device_scalarIT1_EES1_PKS1_PKT2_SA_S7_PKT4_PKT5_S5_PT6_21rocsparse_index_base_b.kd
    .uniform_work_group_size: 1
    .uses_dynamic_stack: false
    .vgpr_count:     116
    .vgpr_spill_count: 0
    .wavefront_size: 64
  - .agpr_count:     0
    .args:
      - .offset:         0
        .size:           4
        .value_kind:     by_value
      - .offset:         4
        .size:           4
        .value_kind:     by_value
      - .offset:         8
        .size:           8
        .value_kind:     by_value
      - .offset:         16
        .size:           4
        .value_kind:     by_value
      - .actual_access:  read_only
        .address_space:  global
        .offset:         24
        .size:           8
        .value_kind:     global_buffer
      - .actual_access:  read_only
        .address_space:  global
        .offset:         32
        .size:           8
        .value_kind:     global_buffer
      - .actual_access:  read_only
        .address_space:  global
        .offset:         40
        .size:           8
        .value_kind:     global_buffer
      - .actual_access:  read_only
        .address_space:  global
        .offset:         48
        .size:           8
        .value_kind:     global_buffer
      - .actual_access:  read_only
        .address_space:  global
        .offset:         56
        .size:           8
        .value_kind:     global_buffer
      - .actual_access:  read_only
        .address_space:  global
        .offset:         64
        .size:           8
        .value_kind:     global_buffer
      - .offset:         72
        .size:           8
        .value_kind:     by_value
      - .address_space:  global
        .offset:         80
        .size:           8
        .value_kind:     global_buffer
      - .offset:         88
        .size:           4
        .value_kind:     by_value
      - .offset:         92
        .size:           1
        .value_kind:     by_value
    .group_segment_fixed_size: 0
    .kernarg_segment_align: 8
    .kernarg_segment_size: 96
    .language:       OpenCL C
    .language_version:
      - 2
      - 0
    .max_flat_workgroup_size: 128
    .name:           _ZN9rocsparseL18bsrxmvn_4x4_kernelILj128ELj16EdiifddEEvT3_20rocsparse_direction_NS_24const_host_device_scalarIT1_EES1_PKS1_PKT2_SA_S7_PKT4_PKT5_S5_PT6_21rocsparse_index_base_b
    .private_segment_fixed_size: 0
    .sgpr_count:     22
    .sgpr_spill_count: 0
    .symbol:         _ZN9rocsparseL18bsrxmvn_4x4_kernelILj128ELj16EdiifddEEvT3_20rocsparse_direction_NS_24const_host_device_scalarIT1_EES1_PKS1_PKT2_SA_S7_PKT4_PKT5_S5_PT6_21rocsparse_index_base_b.kd
    .uniform_work_group_size: 1
    .uses_dynamic_stack: false
    .vgpr_count:     116
    .vgpr_spill_count: 0
    .wavefront_size: 64
  - .agpr_count:     0
    .args:
      - .offset:         0
        .size:           4
        .value_kind:     by_value
      - .offset:         4
        .size:           4
        .value_kind:     by_value
      - .offset:         8
        .size:           8
        .value_kind:     by_value
      - .offset:         16
        .size:           4
        .value_kind:     by_value
      - .actual_access:  read_only
        .address_space:  global
        .offset:         24
        .size:           8
        .value_kind:     global_buffer
      - .actual_access:  read_only
        .address_space:  global
        .offset:         32
        .size:           8
        .value_kind:     global_buffer
      - .actual_access:  read_only
        .address_space:  global
        .offset:         40
        .size:           8
        .value_kind:     global_buffer
      - .actual_access:  read_only
        .address_space:  global
        .offset:         48
        .size:           8
        .value_kind:     global_buffer
      - .actual_access:  read_only
        .address_space:  global
        .offset:         56
        .size:           8
        .value_kind:     global_buffer
      - .actual_access:  read_only
        .address_space:  global
        .offset:         64
        .size:           8
        .value_kind:     global_buffer
      - .offset:         72
        .size:           8
        .value_kind:     by_value
      - .address_space:  global
        .offset:         80
        .size:           8
        .value_kind:     global_buffer
      - .offset:         88
        .size:           4
        .value_kind:     by_value
      - .offset:         92
        .size:           1
        .value_kind:     by_value
    .group_segment_fixed_size: 0
    .kernarg_segment_align: 8
    .kernarg_segment_size: 96
    .language:       OpenCL C
    .language_version:
      - 2
      - 0
    .max_flat_workgroup_size: 128
    .name:           _ZN9rocsparseL18bsrxmvn_4x4_kernelILj128ELj32EdiifddEEvT3_20rocsparse_direction_NS_24const_host_device_scalarIT1_EES1_PKS1_PKT2_SA_S7_PKT4_PKT5_S5_PT6_21rocsparse_index_base_b
    .private_segment_fixed_size: 0
    .sgpr_count:     22
    .sgpr_spill_count: 0
    .symbol:         _ZN9rocsparseL18bsrxmvn_4x4_kernelILj128ELj32EdiifddEEvT3_20rocsparse_direction_NS_24const_host_device_scalarIT1_EES1_PKS1_PKT2_SA_S7_PKT4_PKT5_S5_PT6_21rocsparse_index_base_b.kd
    .uniform_work_group_size: 1
    .uses_dynamic_stack: false
    .vgpr_count:     108
    .vgpr_spill_count: 0
    .wavefront_size: 64
  - .agpr_count:     0
    .args:
      - .offset:         0
        .size:           4
        .value_kind:     by_value
      - .offset:         4
        .size:           4
        .value_kind:     by_value
      - .offset:         8
        .size:           8
        .value_kind:     by_value
      - .offset:         16
        .size:           4
        .value_kind:     by_value
      - .actual_access:  read_only
        .address_space:  global
        .offset:         24
        .size:           8
        .value_kind:     global_buffer
      - .actual_access:  read_only
        .address_space:  global
        .offset:         32
        .size:           8
        .value_kind:     global_buffer
      - .actual_access:  read_only
        .address_space:  global
        .offset:         40
        .size:           8
        .value_kind:     global_buffer
      - .actual_access:  read_only
        .address_space:  global
        .offset:         48
        .size:           8
        .value_kind:     global_buffer
      - .actual_access:  read_only
        .address_space:  global
        .offset:         56
        .size:           8
        .value_kind:     global_buffer
      - .actual_access:  read_only
        .address_space:  global
        .offset:         64
        .size:           8
        .value_kind:     global_buffer
      - .offset:         72
        .size:           8
        .value_kind:     by_value
      - .address_space:  global
        .offset:         80
        .size:           8
        .value_kind:     global_buffer
      - .offset:         88
        .size:           4
        .value_kind:     by_value
      - .offset:         92
        .size:           1
        .value_kind:     by_value
    .group_segment_fixed_size: 0
    .kernarg_segment_align: 8
    .kernarg_segment_size: 96
    .language:       OpenCL C
    .language_version:
      - 2
      - 0
    .max_flat_workgroup_size: 128
    .name:           _ZN9rocsparseL18bsrxmvn_4x4_kernelILj128ELj64EdiifddEEvT3_20rocsparse_direction_NS_24const_host_device_scalarIT1_EES1_PKS1_PKT2_SA_S7_PKT4_PKT5_S5_PT6_21rocsparse_index_base_b
    .private_segment_fixed_size: 0
    .sgpr_count:     26
    .sgpr_spill_count: 0
    .symbol:         _ZN9rocsparseL18bsrxmvn_4x4_kernelILj128ELj64EdiifddEEvT3_20rocsparse_direction_NS_24const_host_device_scalarIT1_EES1_PKS1_PKT2_SA_S7_PKT4_PKT5_S5_PT6_21rocsparse_index_base_b.kd
    .uniform_work_group_size: 1
    .uses_dynamic_stack: false
    .vgpr_count:     120
    .vgpr_spill_count: 0
    .wavefront_size: 64
  - .agpr_count:     0
    .args:
      - .offset:         0
        .size:           4
        .value_kind:     by_value
      - .offset:         4
        .size:           4
        .value_kind:     by_value
      - .offset:         8
        .size:           8
        .value_kind:     by_value
      - .offset:         16
        .size:           4
        .value_kind:     by_value
      - .actual_access:  read_only
        .address_space:  global
        .offset:         24
        .size:           8
        .value_kind:     global_buffer
      - .actual_access:  read_only
        .address_space:  global
        .offset:         32
        .size:           8
        .value_kind:     global_buffer
      - .actual_access:  read_only
        .address_space:  global
        .offset:         40
        .size:           8
        .value_kind:     global_buffer
      - .actual_access:  read_only
        .address_space:  global
        .offset:         48
        .size:           8
        .value_kind:     global_buffer
      - .actual_access:  read_only
        .address_space:  global
        .offset:         56
        .size:           8
        .value_kind:     global_buffer
      - .actual_access:  read_only
        .address_space:  global
        .offset:         64
        .size:           8
        .value_kind:     global_buffer
      - .offset:         72
        .size:           8
        .value_kind:     by_value
      - .address_space:  global
        .offset:         80
        .size:           8
        .value_kind:     global_buffer
      - .offset:         88
        .size:           4
        .value_kind:     by_value
      - .offset:         92
        .size:           1
        .value_kind:     by_value
    .group_segment_fixed_size: 0
    .kernarg_segment_align: 8
    .kernarg_segment_size: 96
    .language:       OpenCL C
    .language_version:
      - 2
      - 0
    .max_flat_workgroup_size: 128
    .name:           _ZN9rocsparseL18bsrxmvn_4x4_kernelILj128ELj4EdlifddEEvT3_20rocsparse_direction_NS_24const_host_device_scalarIT1_EES1_PKS1_PKT2_SA_S7_PKT4_PKT5_S5_PT6_21rocsparse_index_base_b
    .private_segment_fixed_size: 0
    .sgpr_count:     27
    .sgpr_spill_count: 0
    .symbol:         _ZN9rocsparseL18bsrxmvn_4x4_kernelILj128ELj4EdlifddEEvT3_20rocsparse_direction_NS_24const_host_device_scalarIT1_EES1_PKS1_PKT2_SA_S7_PKT4_PKT5_S5_PT6_21rocsparse_index_base_b.kd
    .uniform_work_group_size: 1
    .uses_dynamic_stack: false
    .vgpr_count:     122
    .vgpr_spill_count: 0
    .wavefront_size: 64
  - .agpr_count:     0
    .args:
      - .offset:         0
        .size:           4
        .value_kind:     by_value
      - .offset:         4
        .size:           4
        .value_kind:     by_value
      - .offset:         8
        .size:           8
        .value_kind:     by_value
      - .offset:         16
        .size:           4
        .value_kind:     by_value
      - .actual_access:  read_only
        .address_space:  global
        .offset:         24
        .size:           8
        .value_kind:     global_buffer
      - .actual_access:  read_only
        .address_space:  global
        .offset:         32
        .size:           8
        .value_kind:     global_buffer
      - .actual_access:  read_only
        .address_space:  global
        .offset:         40
        .size:           8
        .value_kind:     global_buffer
      - .actual_access:  read_only
        .address_space:  global
        .offset:         48
        .size:           8
        .value_kind:     global_buffer
      - .actual_access:  read_only
        .address_space:  global
        .offset:         56
        .size:           8
        .value_kind:     global_buffer
      - .actual_access:  read_only
        .address_space:  global
        .offset:         64
        .size:           8
        .value_kind:     global_buffer
      - .offset:         72
        .size:           8
        .value_kind:     by_value
      - .address_space:  global
        .offset:         80
        .size:           8
        .value_kind:     global_buffer
      - .offset:         88
        .size:           4
        .value_kind:     by_value
      - .offset:         92
        .size:           1
        .value_kind:     by_value
    .group_segment_fixed_size: 0
    .kernarg_segment_align: 8
    .kernarg_segment_size: 96
    .language:       OpenCL C
    .language_version:
      - 2
      - 0
    .max_flat_workgroup_size: 128
    .name:           _ZN9rocsparseL18bsrxmvn_4x4_kernelILj128ELj8EdlifddEEvT3_20rocsparse_direction_NS_24const_host_device_scalarIT1_EES1_PKS1_PKT2_SA_S7_PKT4_PKT5_S5_PT6_21rocsparse_index_base_b
    .private_segment_fixed_size: 0
    .sgpr_count:     25
    .sgpr_spill_count: 0
    .symbol:         _ZN9rocsparseL18bsrxmvn_4x4_kernelILj128ELj8EdlifddEEvT3_20rocsparse_direction_NS_24const_host_device_scalarIT1_EES1_PKS1_PKT2_SA_S7_PKT4_PKT5_S5_PT6_21rocsparse_index_base_b.kd
    .uniform_work_group_size: 1
    .uses_dynamic_stack: false
    .vgpr_count:     118
    .vgpr_spill_count: 0
    .wavefront_size: 64
  - .agpr_count:     0
    .args:
      - .offset:         0
        .size:           4
        .value_kind:     by_value
      - .offset:         4
        .size:           4
        .value_kind:     by_value
      - .offset:         8
        .size:           8
        .value_kind:     by_value
      - .offset:         16
        .size:           4
        .value_kind:     by_value
      - .actual_access:  read_only
        .address_space:  global
        .offset:         24
        .size:           8
        .value_kind:     global_buffer
      - .actual_access:  read_only
        .address_space:  global
        .offset:         32
        .size:           8
        .value_kind:     global_buffer
      - .actual_access:  read_only
        .address_space:  global
        .offset:         40
        .size:           8
        .value_kind:     global_buffer
      - .actual_access:  read_only
        .address_space:  global
        .offset:         48
        .size:           8
        .value_kind:     global_buffer
      - .actual_access:  read_only
        .address_space:  global
        .offset:         56
        .size:           8
        .value_kind:     global_buffer
      - .actual_access:  read_only
        .address_space:  global
        .offset:         64
        .size:           8
        .value_kind:     global_buffer
      - .offset:         72
        .size:           8
        .value_kind:     by_value
      - .address_space:  global
        .offset:         80
        .size:           8
        .value_kind:     global_buffer
      - .offset:         88
        .size:           4
        .value_kind:     by_value
      - .offset:         92
        .size:           1
        .value_kind:     by_value
    .group_segment_fixed_size: 0
    .kernarg_segment_align: 8
    .kernarg_segment_size: 96
    .language:       OpenCL C
    .language_version:
      - 2
      - 0
    .max_flat_workgroup_size: 128
    .name:           _ZN9rocsparseL18bsrxmvn_4x4_kernelILj128ELj16EdlifddEEvT3_20rocsparse_direction_NS_24const_host_device_scalarIT1_EES1_PKS1_PKT2_SA_S7_PKT4_PKT5_S5_PT6_21rocsparse_index_base_b
    .private_segment_fixed_size: 0
    .sgpr_count:     25
    .sgpr_spill_count: 0
    .symbol:         _ZN9rocsparseL18bsrxmvn_4x4_kernelILj128ELj16EdlifddEEvT3_20rocsparse_direction_NS_24const_host_device_scalarIT1_EES1_PKS1_PKT2_SA_S7_PKT4_PKT5_S5_PT6_21rocsparse_index_base_b.kd
    .uniform_work_group_size: 1
    .uses_dynamic_stack: false
    .vgpr_count:     118
    .vgpr_spill_count: 0
    .wavefront_size: 64
  - .agpr_count:     0
    .args:
      - .offset:         0
        .size:           4
        .value_kind:     by_value
      - .offset:         4
        .size:           4
        .value_kind:     by_value
      - .offset:         8
        .size:           8
        .value_kind:     by_value
      - .offset:         16
        .size:           4
        .value_kind:     by_value
      - .actual_access:  read_only
        .address_space:  global
        .offset:         24
        .size:           8
        .value_kind:     global_buffer
      - .actual_access:  read_only
        .address_space:  global
        .offset:         32
        .size:           8
        .value_kind:     global_buffer
      - .actual_access:  read_only
        .address_space:  global
        .offset:         40
        .size:           8
        .value_kind:     global_buffer
      - .actual_access:  read_only
        .address_space:  global
        .offset:         48
        .size:           8
        .value_kind:     global_buffer
      - .actual_access:  read_only
        .address_space:  global
        .offset:         56
        .size:           8
        .value_kind:     global_buffer
      - .actual_access:  read_only
        .address_space:  global
        .offset:         64
        .size:           8
        .value_kind:     global_buffer
      - .offset:         72
        .size:           8
        .value_kind:     by_value
      - .address_space:  global
        .offset:         80
        .size:           8
        .value_kind:     global_buffer
      - .offset:         88
        .size:           4
        .value_kind:     by_value
      - .offset:         92
        .size:           1
        .value_kind:     by_value
    .group_segment_fixed_size: 0
    .kernarg_segment_align: 8
    .kernarg_segment_size: 96
    .language:       OpenCL C
    .language_version:
      - 2
      - 0
    .max_flat_workgroup_size: 128
    .name:           _ZN9rocsparseL18bsrxmvn_4x4_kernelILj128ELj32EdlifddEEvT3_20rocsparse_direction_NS_24const_host_device_scalarIT1_EES1_PKS1_PKT2_SA_S7_PKT4_PKT5_S5_PT6_21rocsparse_index_base_b
    .private_segment_fixed_size: 0
    .sgpr_count:     27
    .sgpr_spill_count: 0
    .symbol:         _ZN9rocsparseL18bsrxmvn_4x4_kernelILj128ELj32EdlifddEEvT3_20rocsparse_direction_NS_24const_host_device_scalarIT1_EES1_PKS1_PKT2_SA_S7_PKT4_PKT5_S5_PT6_21rocsparse_index_base_b.kd
    .uniform_work_group_size: 1
    .uses_dynamic_stack: false
    .vgpr_count:     112
    .vgpr_spill_count: 0
    .wavefront_size: 64
  - .agpr_count:     0
    .args:
      - .offset:         0
        .size:           4
        .value_kind:     by_value
      - .offset:         4
        .size:           4
        .value_kind:     by_value
      - .offset:         8
        .size:           8
        .value_kind:     by_value
      - .offset:         16
        .size:           4
        .value_kind:     by_value
      - .actual_access:  read_only
        .address_space:  global
        .offset:         24
        .size:           8
        .value_kind:     global_buffer
      - .actual_access:  read_only
        .address_space:  global
        .offset:         32
        .size:           8
        .value_kind:     global_buffer
      - .actual_access:  read_only
        .address_space:  global
        .offset:         40
        .size:           8
        .value_kind:     global_buffer
      - .actual_access:  read_only
        .address_space:  global
        .offset:         48
        .size:           8
        .value_kind:     global_buffer
      - .actual_access:  read_only
        .address_space:  global
        .offset:         56
        .size:           8
        .value_kind:     global_buffer
      - .actual_access:  read_only
        .address_space:  global
        .offset:         64
        .size:           8
        .value_kind:     global_buffer
      - .offset:         72
        .size:           8
        .value_kind:     by_value
      - .address_space:  global
        .offset:         80
        .size:           8
        .value_kind:     global_buffer
      - .offset:         88
        .size:           4
        .value_kind:     by_value
      - .offset:         92
        .size:           1
        .value_kind:     by_value
    .group_segment_fixed_size: 0
    .kernarg_segment_align: 8
    .kernarg_segment_size: 96
    .language:       OpenCL C
    .language_version:
      - 2
      - 0
    .max_flat_workgroup_size: 128
    .name:           _ZN9rocsparseL18bsrxmvn_4x4_kernelILj128ELj64EdlifddEEvT3_20rocsparse_direction_NS_24const_host_device_scalarIT1_EES1_PKS1_PKT2_SA_S7_PKT4_PKT5_S5_PT6_21rocsparse_index_base_b
    .private_segment_fixed_size: 0
    .sgpr_count:     29
    .sgpr_spill_count: 0
    .symbol:         _ZN9rocsparseL18bsrxmvn_4x4_kernelILj128ELj64EdlifddEEvT3_20rocsparse_direction_NS_24const_host_device_scalarIT1_EES1_PKS1_PKT2_SA_S7_PKT4_PKT5_S5_PT6_21rocsparse_index_base_b.kd
    .uniform_work_group_size: 1
    .uses_dynamic_stack: false
    .vgpr_count:     122
    .vgpr_spill_count: 0
    .wavefront_size: 64
  - .agpr_count:     0
    .args:
      - .offset:         0
        .size:           8
        .value_kind:     by_value
      - .offset:         8
        .size:           4
        .value_kind:     by_value
      - .offset:         16
        .size:           8
        .value_kind:     by_value
      - .offset:         24
        .size:           8
        .value_kind:     by_value
      - .actual_access:  read_only
        .address_space:  global
        .offset:         32
        .size:           8
        .value_kind:     global_buffer
      - .actual_access:  read_only
        .address_space:  global
        .offset:         40
        .size:           8
        .value_kind:     global_buffer
      - .actual_access:  read_only
        .address_space:  global
        .offset:         48
        .size:           8
        .value_kind:     global_buffer
      - .actual_access:  read_only
        .address_space:  global
        .offset:         56
        .size:           8
        .value_kind:     global_buffer
      - .actual_access:  read_only
        .address_space:  global
        .offset:         64
        .size:           8
        .value_kind:     global_buffer
      - .actual_access:  read_only
        .address_space:  global
        .offset:         72
        .size:           8
        .value_kind:     global_buffer
      - .offset:         80
        .size:           8
        .value_kind:     by_value
      - .address_space:  global
        .offset:         88
        .size:           8
        .value_kind:     global_buffer
      - .offset:         96
        .size:           4
        .value_kind:     by_value
      - .offset:         100
        .size:           1
        .value_kind:     by_value
    .group_segment_fixed_size: 0
    .kernarg_segment_align: 8
    .kernarg_segment_size: 104
    .language:       OpenCL C
    .language_version:
      - 2
      - 0
    .max_flat_workgroup_size: 128
    .name:           _ZN9rocsparseL18bsrxmvn_4x4_kernelILj128ELj4EdllfddEEvT3_20rocsparse_direction_NS_24const_host_device_scalarIT1_EES1_PKS1_PKT2_SA_S7_PKT4_PKT5_S5_PT6_21rocsparse_index_base_b
    .private_segment_fixed_size: 0
    .sgpr_count:     26
    .sgpr_spill_count: 0
    .symbol:         _ZN9rocsparseL18bsrxmvn_4x4_kernelILj128ELj4EdllfddEEvT3_20rocsparse_direction_NS_24const_host_device_scalarIT1_EES1_PKS1_PKT2_SA_S7_PKT4_PKT5_S5_PT6_21rocsparse_index_base_b.kd
    .uniform_work_group_size: 1
    .uses_dynamic_stack: false
    .vgpr_count:     116
    .vgpr_spill_count: 0
    .wavefront_size: 64
  - .agpr_count:     0
    .args:
      - .offset:         0
        .size:           8
        .value_kind:     by_value
      - .offset:         8
        .size:           4
        .value_kind:     by_value
      - .offset:         16
        .size:           8
        .value_kind:     by_value
      - .offset:         24
        .size:           8
        .value_kind:     by_value
      - .actual_access:  read_only
        .address_space:  global
        .offset:         32
        .size:           8
        .value_kind:     global_buffer
      - .actual_access:  read_only
        .address_space:  global
        .offset:         40
        .size:           8
        .value_kind:     global_buffer
      - .actual_access:  read_only
        .address_space:  global
        .offset:         48
        .size:           8
        .value_kind:     global_buffer
      - .actual_access:  read_only
        .address_space:  global
        .offset:         56
        .size:           8
        .value_kind:     global_buffer
      - .actual_access:  read_only
        .address_space:  global
        .offset:         64
        .size:           8
        .value_kind:     global_buffer
      - .actual_access:  read_only
        .address_space:  global
        .offset:         72
        .size:           8
        .value_kind:     global_buffer
      - .offset:         80
        .size:           8
        .value_kind:     by_value
      - .address_space:  global
        .offset:         88
        .size:           8
        .value_kind:     global_buffer
      - .offset:         96
        .size:           4
        .value_kind:     by_value
      - .offset:         100
        .size:           1
        .value_kind:     by_value
    .group_segment_fixed_size: 0
    .kernarg_segment_align: 8
    .kernarg_segment_size: 104
    .language:       OpenCL C
    .language_version:
      - 2
      - 0
    .max_flat_workgroup_size: 128
    .name:           _ZN9rocsparseL18bsrxmvn_4x4_kernelILj128ELj8EdllfddEEvT3_20rocsparse_direction_NS_24const_host_device_scalarIT1_EES1_PKS1_PKT2_SA_S7_PKT4_PKT5_S5_PT6_21rocsparse_index_base_b
    .private_segment_fixed_size: 0
    .sgpr_count:     26
    .sgpr_spill_count: 0
    .symbol:         _ZN9rocsparseL18bsrxmvn_4x4_kernelILj128ELj8EdllfddEEvT3_20rocsparse_direction_NS_24const_host_device_scalarIT1_EES1_PKS1_PKT2_SA_S7_PKT4_PKT5_S5_PT6_21rocsparse_index_base_b.kd
    .uniform_work_group_size: 1
    .uses_dynamic_stack: false
    .vgpr_count:     116
    .vgpr_spill_count: 0
    .wavefront_size: 64
  - .agpr_count:     0
    .args:
      - .offset:         0
        .size:           8
        .value_kind:     by_value
      - .offset:         8
        .size:           4
        .value_kind:     by_value
      - .offset:         16
        .size:           8
        .value_kind:     by_value
      - .offset:         24
        .size:           8
        .value_kind:     by_value
      - .actual_access:  read_only
        .address_space:  global
        .offset:         32
        .size:           8
        .value_kind:     global_buffer
      - .actual_access:  read_only
        .address_space:  global
        .offset:         40
        .size:           8
        .value_kind:     global_buffer
      - .actual_access:  read_only
        .address_space:  global
        .offset:         48
        .size:           8
        .value_kind:     global_buffer
      - .actual_access:  read_only
        .address_space:  global
        .offset:         56
        .size:           8
        .value_kind:     global_buffer
      - .actual_access:  read_only
        .address_space:  global
        .offset:         64
        .size:           8
        .value_kind:     global_buffer
      - .actual_access:  read_only
        .address_space:  global
        .offset:         72
        .size:           8
        .value_kind:     global_buffer
      - .offset:         80
        .size:           8
        .value_kind:     by_value
      - .address_space:  global
        .offset:         88
        .size:           8
        .value_kind:     global_buffer
      - .offset:         96
        .size:           4
        .value_kind:     by_value
      - .offset:         100
        .size:           1
        .value_kind:     by_value
    .group_segment_fixed_size: 0
    .kernarg_segment_align: 8
    .kernarg_segment_size: 104
    .language:       OpenCL C
    .language_version:
      - 2
      - 0
    .max_flat_workgroup_size: 128
    .name:           _ZN9rocsparseL18bsrxmvn_4x4_kernelILj128ELj16EdllfddEEvT3_20rocsparse_direction_NS_24const_host_device_scalarIT1_EES1_PKS1_PKT2_SA_S7_PKT4_PKT5_S5_PT6_21rocsparse_index_base_b
    .private_segment_fixed_size: 0
    .sgpr_count:     26
    .sgpr_spill_count: 0
    .symbol:         _ZN9rocsparseL18bsrxmvn_4x4_kernelILj128ELj16EdllfddEEvT3_20rocsparse_direction_NS_24const_host_device_scalarIT1_EES1_PKS1_PKT2_SA_S7_PKT4_PKT5_S5_PT6_21rocsparse_index_base_b.kd
    .uniform_work_group_size: 1
    .uses_dynamic_stack: false
    .vgpr_count:     116
    .vgpr_spill_count: 0
    .wavefront_size: 64
  - .agpr_count:     0
    .args:
      - .offset:         0
        .size:           8
        .value_kind:     by_value
      - .offset:         8
        .size:           4
        .value_kind:     by_value
      - .offset:         16
        .size:           8
        .value_kind:     by_value
      - .offset:         24
        .size:           8
        .value_kind:     by_value
      - .actual_access:  read_only
        .address_space:  global
        .offset:         32
        .size:           8
        .value_kind:     global_buffer
      - .actual_access:  read_only
        .address_space:  global
        .offset:         40
        .size:           8
        .value_kind:     global_buffer
      - .actual_access:  read_only
        .address_space:  global
        .offset:         48
        .size:           8
        .value_kind:     global_buffer
      - .actual_access:  read_only
        .address_space:  global
        .offset:         56
        .size:           8
        .value_kind:     global_buffer
      - .actual_access:  read_only
        .address_space:  global
        .offset:         64
        .size:           8
        .value_kind:     global_buffer
      - .actual_access:  read_only
        .address_space:  global
        .offset:         72
        .size:           8
        .value_kind:     global_buffer
      - .offset:         80
        .size:           8
        .value_kind:     by_value
      - .address_space:  global
        .offset:         88
        .size:           8
        .value_kind:     global_buffer
      - .offset:         96
        .size:           4
        .value_kind:     by_value
      - .offset:         100
        .size:           1
        .value_kind:     by_value
    .group_segment_fixed_size: 0
    .kernarg_segment_align: 8
    .kernarg_segment_size: 104
    .language:       OpenCL C
    .language_version:
      - 2
      - 0
    .max_flat_workgroup_size: 128
    .name:           _ZN9rocsparseL18bsrxmvn_4x4_kernelILj128ELj32EdllfddEEvT3_20rocsparse_direction_NS_24const_host_device_scalarIT1_EES1_PKS1_PKT2_SA_S7_PKT4_PKT5_S5_PT6_21rocsparse_index_base_b
    .private_segment_fixed_size: 0
    .sgpr_count:     26
    .sgpr_spill_count: 0
    .symbol:         _ZN9rocsparseL18bsrxmvn_4x4_kernelILj128ELj32EdllfddEEvT3_20rocsparse_direction_NS_24const_host_device_scalarIT1_EES1_PKS1_PKT2_SA_S7_PKT4_PKT5_S5_PT6_21rocsparse_index_base_b.kd
    .uniform_work_group_size: 1
    .uses_dynamic_stack: false
    .vgpr_count:     116
    .vgpr_spill_count: 0
    .wavefront_size: 64
  - .agpr_count:     0
    .args:
      - .offset:         0
        .size:           8
        .value_kind:     by_value
      - .offset:         8
        .size:           4
        .value_kind:     by_value
      - .offset:         16
        .size:           8
        .value_kind:     by_value
      - .offset:         24
        .size:           8
        .value_kind:     by_value
      - .actual_access:  read_only
        .address_space:  global
        .offset:         32
        .size:           8
        .value_kind:     global_buffer
      - .actual_access:  read_only
        .address_space:  global
        .offset:         40
        .size:           8
        .value_kind:     global_buffer
      - .actual_access:  read_only
        .address_space:  global
        .offset:         48
        .size:           8
        .value_kind:     global_buffer
      - .actual_access:  read_only
        .address_space:  global
        .offset:         56
        .size:           8
        .value_kind:     global_buffer
      - .actual_access:  read_only
        .address_space:  global
        .offset:         64
        .size:           8
        .value_kind:     global_buffer
      - .actual_access:  read_only
        .address_space:  global
        .offset:         72
        .size:           8
        .value_kind:     global_buffer
      - .offset:         80
        .size:           8
        .value_kind:     by_value
      - .address_space:  global
        .offset:         88
        .size:           8
        .value_kind:     global_buffer
      - .offset:         96
        .size:           4
        .value_kind:     by_value
      - .offset:         100
        .size:           1
        .value_kind:     by_value
    .group_segment_fixed_size: 0
    .kernarg_segment_align: 8
    .kernarg_segment_size: 104
    .language:       OpenCL C
    .language_version:
      - 2
      - 0
    .max_flat_workgroup_size: 128
    .name:           _ZN9rocsparseL18bsrxmvn_4x4_kernelILj128ELj64EdllfddEEvT3_20rocsparse_direction_NS_24const_host_device_scalarIT1_EES1_PKS1_PKT2_SA_S7_PKT4_PKT5_S5_PT6_21rocsparse_index_base_b
    .private_segment_fixed_size: 0
    .sgpr_count:     27
    .sgpr_spill_count: 0
    .symbol:         _ZN9rocsparseL18bsrxmvn_4x4_kernelILj128ELj64EdllfddEEvT3_20rocsparse_direction_NS_24const_host_device_scalarIT1_EES1_PKS1_PKT2_SA_S7_PKT4_PKT5_S5_PT6_21rocsparse_index_base_b.kd
    .uniform_work_group_size: 1
    .uses_dynamic_stack: false
    .vgpr_count:     118
    .vgpr_spill_count: 0
    .wavefront_size: 64
  - .agpr_count:     0
    .args:
      - .offset:         0
        .size:           4
        .value_kind:     by_value
      - .offset:         4
        .size:           4
        .value_kind:     by_value
      - .offset:         8
        .size:           16
        .value_kind:     by_value
      - .offset:         24
        .size:           4
        .value_kind:     by_value
      - .actual_access:  read_only
        .address_space:  global
        .offset:         32
        .size:           8
        .value_kind:     global_buffer
      - .actual_access:  read_only
        .address_space:  global
        .offset:         40
        .size:           8
        .value_kind:     global_buffer
      - .actual_access:  read_only
        .address_space:  global
        .offset:         48
        .size:           8
        .value_kind:     global_buffer
      - .actual_access:  read_only
        .address_space:  global
        .offset:         56
        .size:           8
        .value_kind:     global_buffer
      - .actual_access:  read_only
        .address_space:  global
        .offset:         64
        .size:           8
        .value_kind:     global_buffer
      - .actual_access:  read_only
        .address_space:  global
        .offset:         72
        .size:           8
        .value_kind:     global_buffer
      - .offset:         80
        .size:           16
        .value_kind:     by_value
      - .address_space:  global
        .offset:         96
        .size:           8
        .value_kind:     global_buffer
      - .offset:         104
        .size:           4
        .value_kind:     by_value
      - .offset:         108
        .size:           1
        .value_kind:     by_value
    .group_segment_fixed_size: 2048
    .kernarg_segment_align: 8
    .kernarg_segment_size: 112
    .language:       OpenCL C
    .language_version:
      - 2
      - 0
    .max_flat_workgroup_size: 128
    .name:           _ZN9rocsparseL18bsrxmvn_4x4_kernelILj128ELj4E21rocsparse_complex_numIdEiiS1_IfES2_S2_EEvT3_20rocsparse_direction_NS_24const_host_device_scalarIT1_EES4_PKS4_PKT2_SD_SA_PKT4_PKT5_S8_PT6_21rocsparse_index_base_b
    .private_segment_fixed_size: 0
    .sgpr_count:     26
    .sgpr_spill_count: 0
    .symbol:         _ZN9rocsparseL18bsrxmvn_4x4_kernelILj128ELj4E21rocsparse_complex_numIdEiiS1_IfES2_S2_EEvT3_20rocsparse_direction_NS_24const_host_device_scalarIT1_EES4_PKS4_PKT2_SD_SA_PKT4_PKT5_S8_PT6_21rocsparse_index_base_b.kd
    .uniform_work_group_size: 1
    .uses_dynamic_stack: false
    .vgpr_count:     120
    .vgpr_spill_count: 0
    .wavefront_size: 64
  - .agpr_count:     0
    .args:
      - .offset:         0
        .size:           4
        .value_kind:     by_value
      - .offset:         4
        .size:           4
        .value_kind:     by_value
      - .offset:         8
        .size:           16
        .value_kind:     by_value
      - .offset:         24
        .size:           4
        .value_kind:     by_value
      - .actual_access:  read_only
        .address_space:  global
        .offset:         32
        .size:           8
        .value_kind:     global_buffer
      - .actual_access:  read_only
        .address_space:  global
        .offset:         40
        .size:           8
        .value_kind:     global_buffer
      - .actual_access:  read_only
        .address_space:  global
        .offset:         48
        .size:           8
        .value_kind:     global_buffer
      - .actual_access:  read_only
        .address_space:  global
        .offset:         56
        .size:           8
        .value_kind:     global_buffer
      - .actual_access:  read_only
        .address_space:  global
        .offset:         64
        .size:           8
        .value_kind:     global_buffer
      - .actual_access:  read_only
        .address_space:  global
        .offset:         72
        .size:           8
        .value_kind:     global_buffer
      - .offset:         80
        .size:           16
        .value_kind:     by_value
      - .address_space:  global
        .offset:         96
        .size:           8
        .value_kind:     global_buffer
      - .offset:         104
        .size:           4
        .value_kind:     by_value
      - .offset:         108
        .size:           1
        .value_kind:     by_value
    .group_segment_fixed_size: 2048
    .kernarg_segment_align: 8
    .kernarg_segment_size: 112
    .language:       OpenCL C
    .language_version:
      - 2
      - 0
    .max_flat_workgroup_size: 128
    .name:           _ZN9rocsparseL18bsrxmvn_4x4_kernelILj128ELj8E21rocsparse_complex_numIdEiiS1_IfES2_S2_EEvT3_20rocsparse_direction_NS_24const_host_device_scalarIT1_EES4_PKS4_PKT2_SD_SA_PKT4_PKT5_S8_PT6_21rocsparse_index_base_b
    .private_segment_fixed_size: 0
    .sgpr_count:     26
    .sgpr_spill_count: 0
    .symbol:         _ZN9rocsparseL18bsrxmvn_4x4_kernelILj128ELj8E21rocsparse_complex_numIdEiiS1_IfES2_S2_EEvT3_20rocsparse_direction_NS_24const_host_device_scalarIT1_EES4_PKS4_PKT2_SD_SA_PKT4_PKT5_S8_PT6_21rocsparse_index_base_b.kd
    .uniform_work_group_size: 1
    .uses_dynamic_stack: false
    .vgpr_count:     120
    .vgpr_spill_count: 0
    .wavefront_size: 64
  - .agpr_count:     0
    .args:
      - .offset:         0
        .size:           4
        .value_kind:     by_value
      - .offset:         4
        .size:           4
        .value_kind:     by_value
      - .offset:         8
        .size:           16
        .value_kind:     by_value
      - .offset:         24
        .size:           4
        .value_kind:     by_value
      - .actual_access:  read_only
        .address_space:  global
        .offset:         32
        .size:           8
        .value_kind:     global_buffer
      - .actual_access:  read_only
        .address_space:  global
        .offset:         40
        .size:           8
        .value_kind:     global_buffer
      - .actual_access:  read_only
        .address_space:  global
        .offset:         48
        .size:           8
        .value_kind:     global_buffer
      - .actual_access:  read_only
        .address_space:  global
        .offset:         56
        .size:           8
        .value_kind:     global_buffer
      - .actual_access:  read_only
        .address_space:  global
        .offset:         64
        .size:           8
        .value_kind:     global_buffer
      - .actual_access:  read_only
        .address_space:  global
        .offset:         72
        .size:           8
        .value_kind:     global_buffer
      - .offset:         80
        .size:           16
        .value_kind:     by_value
      - .address_space:  global
        .offset:         96
        .size:           8
        .value_kind:     global_buffer
      - .offset:         104
        .size:           4
        .value_kind:     by_value
      - .offset:         108
        .size:           1
        .value_kind:     by_value
    .group_segment_fixed_size: 2048
    .kernarg_segment_align: 8
    .kernarg_segment_size: 112
    .language:       OpenCL C
    .language_version:
      - 2
      - 0
    .max_flat_workgroup_size: 128
    .name:           _ZN9rocsparseL18bsrxmvn_4x4_kernelILj128ELj16E21rocsparse_complex_numIdEiiS1_IfES2_S2_EEvT3_20rocsparse_direction_NS_24const_host_device_scalarIT1_EES4_PKS4_PKT2_SD_SA_PKT4_PKT5_S8_PT6_21rocsparse_index_base_b
    .private_segment_fixed_size: 0
    .sgpr_count:     26
    .sgpr_spill_count: 0
    .symbol:         _ZN9rocsparseL18bsrxmvn_4x4_kernelILj128ELj16E21rocsparse_complex_numIdEiiS1_IfES2_S2_EEvT3_20rocsparse_direction_NS_24const_host_device_scalarIT1_EES4_PKS4_PKT2_SD_SA_PKT4_PKT5_S8_PT6_21rocsparse_index_base_b.kd
    .uniform_work_group_size: 1
    .uses_dynamic_stack: false
    .vgpr_count:     120
    .vgpr_spill_count: 0
    .wavefront_size: 64
  - .agpr_count:     0
    .args:
      - .offset:         0
        .size:           4
        .value_kind:     by_value
      - .offset:         4
        .size:           4
        .value_kind:     by_value
      - .offset:         8
        .size:           16
        .value_kind:     by_value
      - .offset:         24
        .size:           4
        .value_kind:     by_value
      - .actual_access:  read_only
        .address_space:  global
        .offset:         32
        .size:           8
        .value_kind:     global_buffer
      - .actual_access:  read_only
        .address_space:  global
        .offset:         40
        .size:           8
        .value_kind:     global_buffer
      - .actual_access:  read_only
        .address_space:  global
        .offset:         48
        .size:           8
        .value_kind:     global_buffer
      - .actual_access:  read_only
        .address_space:  global
        .offset:         56
        .size:           8
        .value_kind:     global_buffer
      - .actual_access:  read_only
        .address_space:  global
        .offset:         64
        .size:           8
        .value_kind:     global_buffer
      - .actual_access:  read_only
        .address_space:  global
        .offset:         72
        .size:           8
        .value_kind:     global_buffer
      - .offset:         80
        .size:           16
        .value_kind:     by_value
      - .address_space:  global
        .offset:         96
        .size:           8
        .value_kind:     global_buffer
      - .offset:         104
        .size:           4
        .value_kind:     by_value
      - .offset:         108
        .size:           1
        .value_kind:     by_value
    .group_segment_fixed_size: 2048
    .kernarg_segment_align: 8
    .kernarg_segment_size: 112
    .language:       OpenCL C
    .language_version:
      - 2
      - 0
    .max_flat_workgroup_size: 128
    .name:           _ZN9rocsparseL18bsrxmvn_4x4_kernelILj128ELj32E21rocsparse_complex_numIdEiiS1_IfES2_S2_EEvT3_20rocsparse_direction_NS_24const_host_device_scalarIT1_EES4_PKS4_PKT2_SD_SA_PKT4_PKT5_S8_PT6_21rocsparse_index_base_b
    .private_segment_fixed_size: 0
    .sgpr_count:     26
    .sgpr_spill_count: 0
    .symbol:         _ZN9rocsparseL18bsrxmvn_4x4_kernelILj128ELj32E21rocsparse_complex_numIdEiiS1_IfES2_S2_EEvT3_20rocsparse_direction_NS_24const_host_device_scalarIT1_EES4_PKS4_PKT2_SD_SA_PKT4_PKT5_S8_PT6_21rocsparse_index_base_b.kd
    .uniform_work_group_size: 1
    .uses_dynamic_stack: false
    .vgpr_count:     120
    .vgpr_spill_count: 0
    .wavefront_size: 64
  - .agpr_count:     0
    .args:
      - .offset:         0
        .size:           4
        .value_kind:     by_value
      - .offset:         4
        .size:           4
        .value_kind:     by_value
      - .offset:         8
        .size:           16
        .value_kind:     by_value
      - .offset:         24
        .size:           4
        .value_kind:     by_value
      - .actual_access:  read_only
        .address_space:  global
        .offset:         32
        .size:           8
        .value_kind:     global_buffer
      - .actual_access:  read_only
        .address_space:  global
        .offset:         40
        .size:           8
        .value_kind:     global_buffer
      - .actual_access:  read_only
        .address_space:  global
        .offset:         48
        .size:           8
        .value_kind:     global_buffer
      - .actual_access:  read_only
        .address_space:  global
        .offset:         56
        .size:           8
        .value_kind:     global_buffer
      - .actual_access:  read_only
        .address_space:  global
        .offset:         64
        .size:           8
        .value_kind:     global_buffer
      - .actual_access:  read_only
        .address_space:  global
        .offset:         72
        .size:           8
        .value_kind:     global_buffer
      - .offset:         80
        .size:           16
        .value_kind:     by_value
      - .address_space:  global
        .offset:         96
        .size:           8
        .value_kind:     global_buffer
      - .offset:         104
        .size:           4
        .value_kind:     by_value
      - .offset:         108
        .size:           1
        .value_kind:     by_value
    .group_segment_fixed_size: 2048
    .kernarg_segment_align: 8
    .kernarg_segment_size: 112
    .language:       OpenCL C
    .language_version:
      - 2
      - 0
    .max_flat_workgroup_size: 128
    .name:           _ZN9rocsparseL18bsrxmvn_4x4_kernelILj128ELj64E21rocsparse_complex_numIdEiiS1_IfES2_S2_EEvT3_20rocsparse_direction_NS_24const_host_device_scalarIT1_EES4_PKS4_PKT2_SD_SA_PKT4_PKT5_S8_PT6_21rocsparse_index_base_b
    .private_segment_fixed_size: 0
    .sgpr_count:     26
    .sgpr_spill_count: 0
    .symbol:         _ZN9rocsparseL18bsrxmvn_4x4_kernelILj128ELj64E21rocsparse_complex_numIdEiiS1_IfES2_S2_EEvT3_20rocsparse_direction_NS_24const_host_device_scalarIT1_EES4_PKS4_PKT2_SD_SA_PKT4_PKT5_S8_PT6_21rocsparse_index_base_b.kd
    .uniform_work_group_size: 1
    .uses_dynamic_stack: false
    .vgpr_count:     120
    .vgpr_spill_count: 0
    .wavefront_size: 64
  - .agpr_count:     0
    .args:
      - .offset:         0
        .size:           4
        .value_kind:     by_value
      - .offset:         4
        .size:           4
        .value_kind:     by_value
      - .offset:         8
        .size:           16
        .value_kind:     by_value
      - .offset:         24
        .size:           4
        .value_kind:     by_value
      - .actual_access:  read_only
        .address_space:  global
        .offset:         32
        .size:           8
        .value_kind:     global_buffer
      - .actual_access:  read_only
        .address_space:  global
        .offset:         40
        .size:           8
        .value_kind:     global_buffer
      - .actual_access:  read_only
        .address_space:  global
        .offset:         48
        .size:           8
        .value_kind:     global_buffer
      - .actual_access:  read_only
        .address_space:  global
        .offset:         56
        .size:           8
        .value_kind:     global_buffer
      - .actual_access:  read_only
        .address_space:  global
        .offset:         64
        .size:           8
        .value_kind:     global_buffer
      - .actual_access:  read_only
        .address_space:  global
        .offset:         72
        .size:           8
        .value_kind:     global_buffer
      - .offset:         80
        .size:           16
        .value_kind:     by_value
      - .address_space:  global
        .offset:         96
        .size:           8
        .value_kind:     global_buffer
      - .offset:         104
        .size:           4
        .value_kind:     by_value
      - .offset:         108
        .size:           1
        .value_kind:     by_value
    .group_segment_fixed_size: 2048
    .kernarg_segment_align: 8
    .kernarg_segment_size: 112
    .language:       OpenCL C
    .language_version:
      - 2
      - 0
    .max_flat_workgroup_size: 128
    .name:           _ZN9rocsparseL18bsrxmvn_4x4_kernelILj128ELj4E21rocsparse_complex_numIdEliS1_IfES2_S2_EEvT3_20rocsparse_direction_NS_24const_host_device_scalarIT1_EES4_PKS4_PKT2_SD_SA_PKT4_PKT5_S8_PT6_21rocsparse_index_base_b
    .private_segment_fixed_size: 0
    .sgpr_count:     26
    .sgpr_spill_count: 0
    .symbol:         _ZN9rocsparseL18bsrxmvn_4x4_kernelILj128ELj4E21rocsparse_complex_numIdEliS1_IfES2_S2_EEvT3_20rocsparse_direction_NS_24const_host_device_scalarIT1_EES4_PKS4_PKT2_SD_SA_PKT4_PKT5_S8_PT6_21rocsparse_index_base_b.kd
    .uniform_work_group_size: 1
    .uses_dynamic_stack: false
    .vgpr_count:     128
    .vgpr_spill_count: 0
    .wavefront_size: 64
  - .agpr_count:     0
    .args:
      - .offset:         0
        .size:           4
        .value_kind:     by_value
      - .offset:         4
        .size:           4
        .value_kind:     by_value
      - .offset:         8
        .size:           16
        .value_kind:     by_value
      - .offset:         24
        .size:           4
        .value_kind:     by_value
      - .actual_access:  read_only
        .address_space:  global
        .offset:         32
        .size:           8
        .value_kind:     global_buffer
      - .actual_access:  read_only
        .address_space:  global
        .offset:         40
        .size:           8
        .value_kind:     global_buffer
      - .actual_access:  read_only
        .address_space:  global
        .offset:         48
        .size:           8
        .value_kind:     global_buffer
      - .actual_access:  read_only
        .address_space:  global
        .offset:         56
        .size:           8
        .value_kind:     global_buffer
      - .actual_access:  read_only
        .address_space:  global
        .offset:         64
        .size:           8
        .value_kind:     global_buffer
      - .actual_access:  read_only
        .address_space:  global
        .offset:         72
        .size:           8
        .value_kind:     global_buffer
      - .offset:         80
        .size:           16
        .value_kind:     by_value
      - .address_space:  global
        .offset:         96
        .size:           8
        .value_kind:     global_buffer
      - .offset:         104
        .size:           4
        .value_kind:     by_value
      - .offset:         108
        .size:           1
        .value_kind:     by_value
    .group_segment_fixed_size: 2048
    .kernarg_segment_align: 8
    .kernarg_segment_size: 112
    .language:       OpenCL C
    .language_version:
      - 2
      - 0
    .max_flat_workgroup_size: 128
    .name:           _ZN9rocsparseL18bsrxmvn_4x4_kernelILj128ELj8E21rocsparse_complex_numIdEliS1_IfES2_S2_EEvT3_20rocsparse_direction_NS_24const_host_device_scalarIT1_EES4_PKS4_PKT2_SD_SA_PKT4_PKT5_S8_PT6_21rocsparse_index_base_b
    .private_segment_fixed_size: 0
    .sgpr_count:     26
    .sgpr_spill_count: 0
    .symbol:         _ZN9rocsparseL18bsrxmvn_4x4_kernelILj128ELj8E21rocsparse_complex_numIdEliS1_IfES2_S2_EEvT3_20rocsparse_direction_NS_24const_host_device_scalarIT1_EES4_PKS4_PKT2_SD_SA_PKT4_PKT5_S8_PT6_21rocsparse_index_base_b.kd
    .uniform_work_group_size: 1
    .uses_dynamic_stack: false
    .vgpr_count:     128
    .vgpr_spill_count: 0
    .wavefront_size: 64
  - .agpr_count:     0
    .args:
      - .offset:         0
        .size:           4
        .value_kind:     by_value
      - .offset:         4
        .size:           4
        .value_kind:     by_value
      - .offset:         8
        .size:           16
        .value_kind:     by_value
      - .offset:         24
        .size:           4
        .value_kind:     by_value
      - .actual_access:  read_only
        .address_space:  global
        .offset:         32
        .size:           8
        .value_kind:     global_buffer
      - .actual_access:  read_only
        .address_space:  global
        .offset:         40
        .size:           8
        .value_kind:     global_buffer
      - .actual_access:  read_only
        .address_space:  global
        .offset:         48
        .size:           8
        .value_kind:     global_buffer
      - .actual_access:  read_only
        .address_space:  global
        .offset:         56
        .size:           8
        .value_kind:     global_buffer
      - .actual_access:  read_only
        .address_space:  global
        .offset:         64
        .size:           8
        .value_kind:     global_buffer
      - .actual_access:  read_only
        .address_space:  global
        .offset:         72
        .size:           8
        .value_kind:     global_buffer
      - .offset:         80
        .size:           16
        .value_kind:     by_value
      - .address_space:  global
        .offset:         96
        .size:           8
        .value_kind:     global_buffer
      - .offset:         104
        .size:           4
        .value_kind:     by_value
      - .offset:         108
        .size:           1
        .value_kind:     by_value
    .group_segment_fixed_size: 2048
    .kernarg_segment_align: 8
    .kernarg_segment_size: 112
    .language:       OpenCL C
    .language_version:
      - 2
      - 0
    .max_flat_workgroup_size: 128
    .name:           _ZN9rocsparseL18bsrxmvn_4x4_kernelILj128ELj16E21rocsparse_complex_numIdEliS1_IfES2_S2_EEvT3_20rocsparse_direction_NS_24const_host_device_scalarIT1_EES4_PKS4_PKT2_SD_SA_PKT4_PKT5_S8_PT6_21rocsparse_index_base_b
    .private_segment_fixed_size: 0
    .sgpr_count:     26
    .sgpr_spill_count: 0
    .symbol:         _ZN9rocsparseL18bsrxmvn_4x4_kernelILj128ELj16E21rocsparse_complex_numIdEliS1_IfES2_S2_EEvT3_20rocsparse_direction_NS_24const_host_device_scalarIT1_EES4_PKS4_PKT2_SD_SA_PKT4_PKT5_S8_PT6_21rocsparse_index_base_b.kd
    .uniform_work_group_size: 1
    .uses_dynamic_stack: false
    .vgpr_count:     128
    .vgpr_spill_count: 0
    .wavefront_size: 64
  - .agpr_count:     0
    .args:
      - .offset:         0
        .size:           4
        .value_kind:     by_value
      - .offset:         4
        .size:           4
        .value_kind:     by_value
      - .offset:         8
        .size:           16
        .value_kind:     by_value
      - .offset:         24
        .size:           4
        .value_kind:     by_value
      - .actual_access:  read_only
        .address_space:  global
        .offset:         32
        .size:           8
        .value_kind:     global_buffer
      - .actual_access:  read_only
        .address_space:  global
        .offset:         40
        .size:           8
        .value_kind:     global_buffer
      - .actual_access:  read_only
        .address_space:  global
        .offset:         48
        .size:           8
        .value_kind:     global_buffer
      - .actual_access:  read_only
        .address_space:  global
        .offset:         56
        .size:           8
        .value_kind:     global_buffer
      - .actual_access:  read_only
        .address_space:  global
        .offset:         64
        .size:           8
        .value_kind:     global_buffer
      - .actual_access:  read_only
        .address_space:  global
        .offset:         72
        .size:           8
        .value_kind:     global_buffer
      - .offset:         80
        .size:           16
        .value_kind:     by_value
      - .address_space:  global
        .offset:         96
        .size:           8
        .value_kind:     global_buffer
      - .offset:         104
        .size:           4
        .value_kind:     by_value
      - .offset:         108
        .size:           1
        .value_kind:     by_value
    .group_segment_fixed_size: 2048
    .kernarg_segment_align: 8
    .kernarg_segment_size: 112
    .language:       OpenCL C
    .language_version:
      - 2
      - 0
    .max_flat_workgroup_size: 128
    .name:           _ZN9rocsparseL18bsrxmvn_4x4_kernelILj128ELj32E21rocsparse_complex_numIdEliS1_IfES2_S2_EEvT3_20rocsparse_direction_NS_24const_host_device_scalarIT1_EES4_PKS4_PKT2_SD_SA_PKT4_PKT5_S8_PT6_21rocsparse_index_base_b
    .private_segment_fixed_size: 0
    .sgpr_count:     27
    .sgpr_spill_count: 0
    .symbol:         _ZN9rocsparseL18bsrxmvn_4x4_kernelILj128ELj32E21rocsparse_complex_numIdEliS1_IfES2_S2_EEvT3_20rocsparse_direction_NS_24const_host_device_scalarIT1_EES4_PKS4_PKT2_SD_SA_PKT4_PKT5_S8_PT6_21rocsparse_index_base_b.kd
    .uniform_work_group_size: 1
    .uses_dynamic_stack: false
    .vgpr_count:     128
    .vgpr_spill_count: 0
    .wavefront_size: 64
  - .agpr_count:     0
    .args:
      - .offset:         0
        .size:           4
        .value_kind:     by_value
      - .offset:         4
        .size:           4
        .value_kind:     by_value
      - .offset:         8
        .size:           16
        .value_kind:     by_value
      - .offset:         24
        .size:           4
        .value_kind:     by_value
      - .actual_access:  read_only
        .address_space:  global
        .offset:         32
        .size:           8
        .value_kind:     global_buffer
      - .actual_access:  read_only
        .address_space:  global
        .offset:         40
        .size:           8
        .value_kind:     global_buffer
      - .actual_access:  read_only
        .address_space:  global
        .offset:         48
        .size:           8
        .value_kind:     global_buffer
      - .actual_access:  read_only
        .address_space:  global
        .offset:         56
        .size:           8
        .value_kind:     global_buffer
      - .actual_access:  read_only
        .address_space:  global
        .offset:         64
        .size:           8
        .value_kind:     global_buffer
      - .actual_access:  read_only
        .address_space:  global
        .offset:         72
        .size:           8
        .value_kind:     global_buffer
      - .offset:         80
        .size:           16
        .value_kind:     by_value
      - .address_space:  global
        .offset:         96
        .size:           8
        .value_kind:     global_buffer
      - .offset:         104
        .size:           4
        .value_kind:     by_value
      - .offset:         108
        .size:           1
        .value_kind:     by_value
    .group_segment_fixed_size: 2048
    .kernarg_segment_align: 8
    .kernarg_segment_size: 112
    .language:       OpenCL C
    .language_version:
      - 2
      - 0
    .max_flat_workgroup_size: 128
    .name:           _ZN9rocsparseL18bsrxmvn_4x4_kernelILj128ELj64E21rocsparse_complex_numIdEliS1_IfES2_S2_EEvT3_20rocsparse_direction_NS_24const_host_device_scalarIT1_EES4_PKS4_PKT2_SD_SA_PKT4_PKT5_S8_PT6_21rocsparse_index_base_b
    .private_segment_fixed_size: 0
    .sgpr_count:     27
    .sgpr_spill_count: 0
    .symbol:         _ZN9rocsparseL18bsrxmvn_4x4_kernelILj128ELj64E21rocsparse_complex_numIdEliS1_IfES2_S2_EEvT3_20rocsparse_direction_NS_24const_host_device_scalarIT1_EES4_PKS4_PKT2_SD_SA_PKT4_PKT5_S8_PT6_21rocsparse_index_base_b.kd
    .uniform_work_group_size: 1
    .uses_dynamic_stack: false
    .vgpr_count:     128
    .vgpr_spill_count: 0
    .wavefront_size: 64
  - .agpr_count:     0
    .args:
      - .offset:         0
        .size:           8
        .value_kind:     by_value
      - .offset:         8
        .size:           4
        .value_kind:     by_value
      - .offset:         16
        .size:           16
        .value_kind:     by_value
      - .offset:         32
        .size:           8
        .value_kind:     by_value
      - .actual_access:  read_only
        .address_space:  global
        .offset:         40
        .size:           8
        .value_kind:     global_buffer
      - .actual_access:  read_only
        .address_space:  global
        .offset:         48
        .size:           8
        .value_kind:     global_buffer
      - .actual_access:  read_only
        .address_space:  global
        .offset:         56
        .size:           8
        .value_kind:     global_buffer
      - .actual_access:  read_only
        .address_space:  global
        .offset:         64
        .size:           8
        .value_kind:     global_buffer
      - .actual_access:  read_only
        .address_space:  global
        .offset:         72
        .size:           8
        .value_kind:     global_buffer
      - .actual_access:  read_only
        .address_space:  global
        .offset:         80
        .size:           8
        .value_kind:     global_buffer
      - .offset:         88
        .size:           16
        .value_kind:     by_value
      - .address_space:  global
        .offset:         104
        .size:           8
        .value_kind:     global_buffer
      - .offset:         112
        .size:           4
        .value_kind:     by_value
      - .offset:         116
        .size:           1
        .value_kind:     by_value
    .group_segment_fixed_size: 2048
    .kernarg_segment_align: 8
    .kernarg_segment_size: 120
    .language:       OpenCL C
    .language_version:
      - 2
      - 0
    .max_flat_workgroup_size: 128
    .name:           _ZN9rocsparseL18bsrxmvn_4x4_kernelILj128ELj4E21rocsparse_complex_numIdEllS1_IfES2_S2_EEvT3_20rocsparse_direction_NS_24const_host_device_scalarIT1_EES4_PKS4_PKT2_SD_SA_PKT4_PKT5_S8_PT6_21rocsparse_index_base_b
    .private_segment_fixed_size: 0
    .sgpr_count:     26
    .sgpr_spill_count: 0
    .symbol:         _ZN9rocsparseL18bsrxmvn_4x4_kernelILj128ELj4E21rocsparse_complex_numIdEllS1_IfES2_S2_EEvT3_20rocsparse_direction_NS_24const_host_device_scalarIT1_EES4_PKS4_PKT2_SD_SA_PKT4_PKT5_S8_PT6_21rocsparse_index_base_b.kd
    .uniform_work_group_size: 1
    .uses_dynamic_stack: false
    .vgpr_count:     128
    .vgpr_spill_count: 0
    .wavefront_size: 64
  - .agpr_count:     0
    .args:
      - .offset:         0
        .size:           8
        .value_kind:     by_value
      - .offset:         8
        .size:           4
        .value_kind:     by_value
      - .offset:         16
        .size:           16
        .value_kind:     by_value
      - .offset:         32
        .size:           8
        .value_kind:     by_value
      - .actual_access:  read_only
        .address_space:  global
        .offset:         40
        .size:           8
        .value_kind:     global_buffer
      - .actual_access:  read_only
        .address_space:  global
        .offset:         48
        .size:           8
        .value_kind:     global_buffer
      - .actual_access:  read_only
        .address_space:  global
        .offset:         56
        .size:           8
        .value_kind:     global_buffer
      - .actual_access:  read_only
        .address_space:  global
        .offset:         64
        .size:           8
        .value_kind:     global_buffer
      - .actual_access:  read_only
        .address_space:  global
        .offset:         72
        .size:           8
        .value_kind:     global_buffer
      - .actual_access:  read_only
        .address_space:  global
        .offset:         80
        .size:           8
        .value_kind:     global_buffer
      - .offset:         88
        .size:           16
        .value_kind:     by_value
      - .address_space:  global
        .offset:         104
        .size:           8
        .value_kind:     global_buffer
      - .offset:         112
        .size:           4
        .value_kind:     by_value
      - .offset:         116
        .size:           1
        .value_kind:     by_value
    .group_segment_fixed_size: 2048
    .kernarg_segment_align: 8
    .kernarg_segment_size: 120
    .language:       OpenCL C
    .language_version:
      - 2
      - 0
    .max_flat_workgroup_size: 128
    .name:           _ZN9rocsparseL18bsrxmvn_4x4_kernelILj128ELj8E21rocsparse_complex_numIdEllS1_IfES2_S2_EEvT3_20rocsparse_direction_NS_24const_host_device_scalarIT1_EES4_PKS4_PKT2_SD_SA_PKT4_PKT5_S8_PT6_21rocsparse_index_base_b
    .private_segment_fixed_size: 0
    .sgpr_count:     26
    .sgpr_spill_count: 0
    .symbol:         _ZN9rocsparseL18bsrxmvn_4x4_kernelILj128ELj8E21rocsparse_complex_numIdEllS1_IfES2_S2_EEvT3_20rocsparse_direction_NS_24const_host_device_scalarIT1_EES4_PKS4_PKT2_SD_SA_PKT4_PKT5_S8_PT6_21rocsparse_index_base_b.kd
    .uniform_work_group_size: 1
    .uses_dynamic_stack: false
    .vgpr_count:     128
    .vgpr_spill_count: 0
    .wavefront_size: 64
  - .agpr_count:     0
    .args:
      - .offset:         0
        .size:           8
        .value_kind:     by_value
      - .offset:         8
        .size:           4
        .value_kind:     by_value
      - .offset:         16
        .size:           16
        .value_kind:     by_value
      - .offset:         32
        .size:           8
        .value_kind:     by_value
      - .actual_access:  read_only
        .address_space:  global
        .offset:         40
        .size:           8
        .value_kind:     global_buffer
      - .actual_access:  read_only
        .address_space:  global
        .offset:         48
        .size:           8
        .value_kind:     global_buffer
      - .actual_access:  read_only
        .address_space:  global
        .offset:         56
        .size:           8
        .value_kind:     global_buffer
      - .actual_access:  read_only
        .address_space:  global
        .offset:         64
        .size:           8
        .value_kind:     global_buffer
      - .actual_access:  read_only
        .address_space:  global
        .offset:         72
        .size:           8
        .value_kind:     global_buffer
      - .actual_access:  read_only
        .address_space:  global
        .offset:         80
        .size:           8
        .value_kind:     global_buffer
      - .offset:         88
        .size:           16
        .value_kind:     by_value
      - .address_space:  global
        .offset:         104
        .size:           8
        .value_kind:     global_buffer
      - .offset:         112
        .size:           4
        .value_kind:     by_value
      - .offset:         116
        .size:           1
        .value_kind:     by_value
    .group_segment_fixed_size: 2048
    .kernarg_segment_align: 8
    .kernarg_segment_size: 120
    .language:       OpenCL C
    .language_version:
      - 2
      - 0
    .max_flat_workgroup_size: 128
    .name:           _ZN9rocsparseL18bsrxmvn_4x4_kernelILj128ELj16E21rocsparse_complex_numIdEllS1_IfES2_S2_EEvT3_20rocsparse_direction_NS_24const_host_device_scalarIT1_EES4_PKS4_PKT2_SD_SA_PKT4_PKT5_S8_PT6_21rocsparse_index_base_b
    .private_segment_fixed_size: 0
    .sgpr_count:     26
    .sgpr_spill_count: 0
    .symbol:         _ZN9rocsparseL18bsrxmvn_4x4_kernelILj128ELj16E21rocsparse_complex_numIdEllS1_IfES2_S2_EEvT3_20rocsparse_direction_NS_24const_host_device_scalarIT1_EES4_PKS4_PKT2_SD_SA_PKT4_PKT5_S8_PT6_21rocsparse_index_base_b.kd
    .uniform_work_group_size: 1
    .uses_dynamic_stack: false
    .vgpr_count:     128
    .vgpr_spill_count: 0
    .wavefront_size: 64
  - .agpr_count:     0
    .args:
      - .offset:         0
        .size:           8
        .value_kind:     by_value
      - .offset:         8
        .size:           4
        .value_kind:     by_value
      - .offset:         16
        .size:           16
        .value_kind:     by_value
      - .offset:         32
        .size:           8
        .value_kind:     by_value
      - .actual_access:  read_only
        .address_space:  global
        .offset:         40
        .size:           8
        .value_kind:     global_buffer
      - .actual_access:  read_only
        .address_space:  global
        .offset:         48
        .size:           8
        .value_kind:     global_buffer
      - .actual_access:  read_only
        .address_space:  global
        .offset:         56
        .size:           8
        .value_kind:     global_buffer
      - .actual_access:  read_only
        .address_space:  global
        .offset:         64
        .size:           8
        .value_kind:     global_buffer
      - .actual_access:  read_only
        .address_space:  global
        .offset:         72
        .size:           8
        .value_kind:     global_buffer
      - .actual_access:  read_only
        .address_space:  global
        .offset:         80
        .size:           8
        .value_kind:     global_buffer
      - .offset:         88
        .size:           16
        .value_kind:     by_value
      - .address_space:  global
        .offset:         104
        .size:           8
        .value_kind:     global_buffer
      - .offset:         112
        .size:           4
        .value_kind:     by_value
      - .offset:         116
        .size:           1
        .value_kind:     by_value
    .group_segment_fixed_size: 2048
    .kernarg_segment_align: 8
    .kernarg_segment_size: 120
    .language:       OpenCL C
    .language_version:
      - 2
      - 0
    .max_flat_workgroup_size: 128
    .name:           _ZN9rocsparseL18bsrxmvn_4x4_kernelILj128ELj32E21rocsparse_complex_numIdEllS1_IfES2_S2_EEvT3_20rocsparse_direction_NS_24const_host_device_scalarIT1_EES4_PKS4_PKT2_SD_SA_PKT4_PKT5_S8_PT6_21rocsparse_index_base_b
    .private_segment_fixed_size: 0
    .sgpr_count:     27
    .sgpr_spill_count: 0
    .symbol:         _ZN9rocsparseL18bsrxmvn_4x4_kernelILj128ELj32E21rocsparse_complex_numIdEllS1_IfES2_S2_EEvT3_20rocsparse_direction_NS_24const_host_device_scalarIT1_EES4_PKS4_PKT2_SD_SA_PKT4_PKT5_S8_PT6_21rocsparse_index_base_b.kd
    .uniform_work_group_size: 1
    .uses_dynamic_stack: false
    .vgpr_count:     128
    .vgpr_spill_count: 0
    .wavefront_size: 64
  - .agpr_count:     0
    .args:
      - .offset:         0
        .size:           8
        .value_kind:     by_value
      - .offset:         8
        .size:           4
        .value_kind:     by_value
      - .offset:         16
        .size:           16
        .value_kind:     by_value
      - .offset:         32
        .size:           8
        .value_kind:     by_value
      - .actual_access:  read_only
        .address_space:  global
        .offset:         40
        .size:           8
        .value_kind:     global_buffer
      - .actual_access:  read_only
        .address_space:  global
        .offset:         48
        .size:           8
        .value_kind:     global_buffer
      - .actual_access:  read_only
        .address_space:  global
        .offset:         56
        .size:           8
        .value_kind:     global_buffer
      - .actual_access:  read_only
        .address_space:  global
        .offset:         64
        .size:           8
        .value_kind:     global_buffer
      - .actual_access:  read_only
        .address_space:  global
        .offset:         72
        .size:           8
        .value_kind:     global_buffer
      - .actual_access:  read_only
        .address_space:  global
        .offset:         80
        .size:           8
        .value_kind:     global_buffer
      - .offset:         88
        .size:           16
        .value_kind:     by_value
      - .address_space:  global
        .offset:         104
        .size:           8
        .value_kind:     global_buffer
      - .offset:         112
        .size:           4
        .value_kind:     by_value
      - .offset:         116
        .size:           1
        .value_kind:     by_value
    .group_segment_fixed_size: 2048
    .kernarg_segment_align: 8
    .kernarg_segment_size: 120
    .language:       OpenCL C
    .language_version:
      - 2
      - 0
    .max_flat_workgroup_size: 128
    .name:           _ZN9rocsparseL18bsrxmvn_4x4_kernelILj128ELj64E21rocsparse_complex_numIdEllS1_IfES2_S2_EEvT3_20rocsparse_direction_NS_24const_host_device_scalarIT1_EES4_PKS4_PKT2_SD_SA_PKT4_PKT5_S8_PT6_21rocsparse_index_base_b
    .private_segment_fixed_size: 0
    .sgpr_count:     27
    .sgpr_spill_count: 0
    .symbol:         _ZN9rocsparseL18bsrxmvn_4x4_kernelILj128ELj64E21rocsparse_complex_numIdEllS1_IfES2_S2_EEvT3_20rocsparse_direction_NS_24const_host_device_scalarIT1_EES4_PKS4_PKT2_SD_SA_PKT4_PKT5_S8_PT6_21rocsparse_index_base_b.kd
    .uniform_work_group_size: 1
    .uses_dynamic_stack: false
    .vgpr_count:     128
    .vgpr_spill_count: 0
    .wavefront_size: 64
amdhsa.target:   amdgcn-amd-amdhsa--gfx90a
amdhsa.version:
  - 1
  - 2
...

	.end_amdgpu_metadata
